;; amdgpu-corpus repo=ROCm/rocSPARSE kind=compiled arch=gfx1250 opt=O3
	.amdgcn_target "amdgcn-amd-amdhsa--gfx1250"
	.amdhsa_code_object_version 6
	.section	.text._ZN9rocsparseL35csr2bsr_block_dim_equals_one_kernelILj256EiiiEEvT2_S1_S1_S1_21rocsparse_index_base_PKT0_PKT1_PKS1_S2_PS3_PS6_PS1_,"axG",@progbits,_ZN9rocsparseL35csr2bsr_block_dim_equals_one_kernelILj256EiiiEEvT2_S1_S1_S1_21rocsparse_index_base_PKT0_PKT1_PKS1_S2_PS3_PS6_PS1_,comdat
	.globl	_ZN9rocsparseL35csr2bsr_block_dim_equals_one_kernelILj256EiiiEEvT2_S1_S1_S1_21rocsparse_index_base_PKT0_PKT1_PKS1_S2_PS3_PS6_PS1_ ; -- Begin function _ZN9rocsparseL35csr2bsr_block_dim_equals_one_kernelILj256EiiiEEvT2_S1_S1_S1_21rocsparse_index_base_PKT0_PKT1_PKS1_S2_PS3_PS6_PS1_
	.p2align	8
	.type	_ZN9rocsparseL35csr2bsr_block_dim_equals_one_kernelILj256EiiiEEvT2_S1_S1_S1_21rocsparse_index_base_PKT0_PKT1_PKS1_S2_PS3_PS6_PS1_,@function
_ZN9rocsparseL35csr2bsr_block_dim_equals_one_kernelILj256EiiiEEvT2_S1_S1_S1_21rocsparse_index_base_PKT0_PKT1_PKS1_S2_PS3_PS6_PS1_: ; @_ZN9rocsparseL35csr2bsr_block_dim_equals_one_kernelILj256EiiiEEvT2_S1_S1_S1_21rocsparse_index_base_PKT0_PKT1_PKS1_S2_PS3_PS6_PS1_
; %bb.0:
	s_clause 0x1
	s_load_b32 s2, s[0:1], 0x0
	s_load_b128 s[4:7], s[0:1], 0x18
	s_bfe_u32 s3, ttmp6, 0x4000c
	s_and_b32 s8, ttmp6, 15
	s_add_co_i32 s3, s3, 1
	s_getreg_b32 s9, hwreg(HW_REG_IB_STS2, 6, 4)
	s_mul_i32 s3, ttmp9, s3
	s_delay_alu instid0(SALU_CYCLE_1)
	s_add_co_i32 s8, s8, s3
	s_wait_kmcnt 0x0
	s_ashr_i32 s3, s2, 31
	s_cmp_eq_u32 s9, 0
	s_cselect_b32 s8, ttmp9, s8
	s_lshl_b64 s[2:3], s[2:3], 2
	v_lshl_or_b32 v0, s8, 8, v0
	s_add_nc_u64 s[2:3], s[6:7], s[2:3]
	s_clause 0x1
	s_load_b32 s9, s[2:3], 0x0
	s_load_b32 s10, s[6:7], 0x0
	s_wait_xcnt 0x0
	s_mov_b32 s7, 0
	s_mov_b32 s2, exec_lo
	s_wait_kmcnt 0x0
	s_sub_co_i32 s6, s9, s10
	s_delay_alu instid0(SALU_CYCLE_1)
	v_cmpx_gt_i32_e64 s6, v0
	s_cbranch_execz .LBB0_3
; %bb.1:
	s_clause 0x3
	s_load_b96 s[8:10], s[0:1], 0x28
	s_load_b64 s[2:3], s[0:1], 0x38
	s_load_b32 s11, s[0:1], 0x10
	s_load_b96 s[12:14], s[0:1], 0x48
	s_wait_kmcnt 0x0
	s_sub_co_i32 s0, s10, s11
	s_lshl_b32 s1, s14, 8
.LBB0_2:                                ; =>This Inner Loop Header: Depth=1
	global_load_b32 v1, v0, s[8:9] scale_offset
	s_wait_loadcnt 0x0
	v_add_nc_u32_e32 v1, s0, v1
	s_clause 0x1
	global_store_b32 v0, v1, s[12:13] scale_offset
	global_load_b32 v1, v0, s[4:5] scale_offset
	s_wait_loadcnt 0x0
	global_store_b32 v0, v1, s[2:3] scale_offset
	s_wait_xcnt 0x0
	v_add_nc_u32_e32 v0, s1, v0
	s_delay_alu instid0(VALU_DEP_1) | instskip(SKIP_1) | instid1(SALU_CYCLE_1)
	v_cmp_le_i32_e32 vcc_lo, s6, v0
	s_or_b32 s7, vcc_lo, s7
	s_and_not1_b32 exec_lo, exec_lo, s7
	s_cbranch_execnz .LBB0_2
.LBB0_3:
	s_endpgm
	.section	.rodata,"a",@progbits
	.p2align	6, 0x0
	.amdhsa_kernel _ZN9rocsparseL35csr2bsr_block_dim_equals_one_kernelILj256EiiiEEvT2_S1_S1_S1_21rocsparse_index_base_PKT0_PKT1_PKS1_S2_PS3_PS6_PS1_
		.amdhsa_group_segment_fixed_size 0
		.amdhsa_private_segment_fixed_size 0
		.amdhsa_kernarg_size 336
		.amdhsa_user_sgpr_count 2
		.amdhsa_user_sgpr_dispatch_ptr 0
		.amdhsa_user_sgpr_queue_ptr 0
		.amdhsa_user_sgpr_kernarg_segment_ptr 1
		.amdhsa_user_sgpr_dispatch_id 0
		.amdhsa_user_sgpr_kernarg_preload_length 0
		.amdhsa_user_sgpr_kernarg_preload_offset 0
		.amdhsa_user_sgpr_private_segment_size 0
		.amdhsa_wavefront_size32 1
		.amdhsa_uses_dynamic_stack 0
		.amdhsa_enable_private_segment 0
		.amdhsa_system_sgpr_workgroup_id_x 1
		.amdhsa_system_sgpr_workgroup_id_y 0
		.amdhsa_system_sgpr_workgroup_id_z 0
		.amdhsa_system_sgpr_workgroup_info 0
		.amdhsa_system_vgpr_workitem_id 0
		.amdhsa_next_free_vgpr 2
		.amdhsa_next_free_sgpr 15
		.amdhsa_named_barrier_count 0
		.amdhsa_reserve_vcc 1
		.amdhsa_float_round_mode_32 0
		.amdhsa_float_round_mode_16_64 0
		.amdhsa_float_denorm_mode_32 3
		.amdhsa_float_denorm_mode_16_64 3
		.amdhsa_fp16_overflow 0
		.amdhsa_memory_ordered 1
		.amdhsa_forward_progress 1
		.amdhsa_inst_pref_size 3
		.amdhsa_round_robin_scheduling 0
		.amdhsa_exception_fp_ieee_invalid_op 0
		.amdhsa_exception_fp_denorm_src 0
		.amdhsa_exception_fp_ieee_div_zero 0
		.amdhsa_exception_fp_ieee_overflow 0
		.amdhsa_exception_fp_ieee_underflow 0
		.amdhsa_exception_fp_ieee_inexact 0
		.amdhsa_exception_int_div_zero 0
	.end_amdhsa_kernel
	.section	.text._ZN9rocsparseL35csr2bsr_block_dim_equals_one_kernelILj256EiiiEEvT2_S1_S1_S1_21rocsparse_index_base_PKT0_PKT1_PKS1_S2_PS3_PS6_PS1_,"axG",@progbits,_ZN9rocsparseL35csr2bsr_block_dim_equals_one_kernelILj256EiiiEEvT2_S1_S1_S1_21rocsparse_index_base_PKT0_PKT1_PKS1_S2_PS3_PS6_PS1_,comdat
.Lfunc_end0:
	.size	_ZN9rocsparseL35csr2bsr_block_dim_equals_one_kernelILj256EiiiEEvT2_S1_S1_S1_21rocsparse_index_base_PKT0_PKT1_PKS1_S2_PS3_PS6_PS1_, .Lfunc_end0-_ZN9rocsparseL35csr2bsr_block_dim_equals_one_kernelILj256EiiiEEvT2_S1_S1_S1_21rocsparse_index_base_PKT0_PKT1_PKS1_S2_PS3_PS6_PS1_
                                        ; -- End function
	.set _ZN9rocsparseL35csr2bsr_block_dim_equals_one_kernelILj256EiiiEEvT2_S1_S1_S1_21rocsparse_index_base_PKT0_PKT1_PKS1_S2_PS3_PS6_PS1_.num_vgpr, 2
	.set _ZN9rocsparseL35csr2bsr_block_dim_equals_one_kernelILj256EiiiEEvT2_S1_S1_S1_21rocsparse_index_base_PKT0_PKT1_PKS1_S2_PS3_PS6_PS1_.num_agpr, 0
	.set _ZN9rocsparseL35csr2bsr_block_dim_equals_one_kernelILj256EiiiEEvT2_S1_S1_S1_21rocsparse_index_base_PKT0_PKT1_PKS1_S2_PS3_PS6_PS1_.numbered_sgpr, 15
	.set _ZN9rocsparseL35csr2bsr_block_dim_equals_one_kernelILj256EiiiEEvT2_S1_S1_S1_21rocsparse_index_base_PKT0_PKT1_PKS1_S2_PS3_PS6_PS1_.num_named_barrier, 0
	.set _ZN9rocsparseL35csr2bsr_block_dim_equals_one_kernelILj256EiiiEEvT2_S1_S1_S1_21rocsparse_index_base_PKT0_PKT1_PKS1_S2_PS3_PS6_PS1_.private_seg_size, 0
	.set _ZN9rocsparseL35csr2bsr_block_dim_equals_one_kernelILj256EiiiEEvT2_S1_S1_S1_21rocsparse_index_base_PKT0_PKT1_PKS1_S2_PS3_PS6_PS1_.uses_vcc, 1
	.set _ZN9rocsparseL35csr2bsr_block_dim_equals_one_kernelILj256EiiiEEvT2_S1_S1_S1_21rocsparse_index_base_PKT0_PKT1_PKS1_S2_PS3_PS6_PS1_.uses_flat_scratch, 0
	.set _ZN9rocsparseL35csr2bsr_block_dim_equals_one_kernelILj256EiiiEEvT2_S1_S1_S1_21rocsparse_index_base_PKT0_PKT1_PKS1_S2_PS3_PS6_PS1_.has_dyn_sized_stack, 0
	.set _ZN9rocsparseL35csr2bsr_block_dim_equals_one_kernelILj256EiiiEEvT2_S1_S1_S1_21rocsparse_index_base_PKT0_PKT1_PKS1_S2_PS3_PS6_PS1_.has_recursion, 0
	.set _ZN9rocsparseL35csr2bsr_block_dim_equals_one_kernelILj256EiiiEEvT2_S1_S1_S1_21rocsparse_index_base_PKT0_PKT1_PKS1_S2_PS3_PS6_PS1_.has_indirect_call, 0
	.section	.AMDGPU.csdata,"",@progbits
; Kernel info:
; codeLenInByte = 284
; TotalNumSgprs: 17
; NumVgprs: 2
; ScratchSize: 0
; MemoryBound: 0
; FloatMode: 240
; IeeeMode: 1
; LDSByteSize: 0 bytes/workgroup (compile time only)
; SGPRBlocks: 0
; VGPRBlocks: 0
; NumSGPRsForWavesPerEU: 17
; NumVGPRsForWavesPerEU: 2
; NamedBarCnt: 0
; Occupancy: 16
; WaveLimiterHint : 0
; COMPUTE_PGM_RSRC2:SCRATCH_EN: 0
; COMPUTE_PGM_RSRC2:USER_SGPR: 2
; COMPUTE_PGM_RSRC2:TRAP_HANDLER: 0
; COMPUTE_PGM_RSRC2:TGID_X_EN: 1
; COMPUTE_PGM_RSRC2:TGID_Y_EN: 0
; COMPUTE_PGM_RSRC2:TGID_Z_EN: 0
; COMPUTE_PGM_RSRC2:TIDIG_COMP_CNT: 0
	.section	.text._ZN9rocsparseL42csr2bsr_wavefront_per_row_multipass_kernelILj256ELj16ELj4EiiiEEv20rocsparse_direction_T4_S2_S2_S2_S2_21rocsparse_index_base_PKT2_PKT3_PKS2_S3_PS4_PS7_PS2_,"axG",@progbits,_ZN9rocsparseL42csr2bsr_wavefront_per_row_multipass_kernelILj256ELj16ELj4EiiiEEv20rocsparse_direction_T4_S2_S2_S2_S2_21rocsparse_index_base_PKT2_PKT3_PKS2_S3_PS4_PS7_PS2_,comdat
	.globl	_ZN9rocsparseL42csr2bsr_wavefront_per_row_multipass_kernelILj256ELj16ELj4EiiiEEv20rocsparse_direction_T4_S2_S2_S2_S2_21rocsparse_index_base_PKT2_PKT3_PKS2_S3_PS4_PS7_PS2_ ; -- Begin function _ZN9rocsparseL42csr2bsr_wavefront_per_row_multipass_kernelILj256ELj16ELj4EiiiEEv20rocsparse_direction_T4_S2_S2_S2_S2_21rocsparse_index_base_PKT2_PKT3_PKS2_S3_PS4_PS7_PS2_
	.p2align	8
	.type	_ZN9rocsparseL42csr2bsr_wavefront_per_row_multipass_kernelILj256ELj16ELj4EiiiEEv20rocsparse_direction_T4_S2_S2_S2_S2_21rocsparse_index_base_PKT2_PKT3_PKS2_S3_PS4_PS7_PS2_,@function
_ZN9rocsparseL42csr2bsr_wavefront_per_row_multipass_kernelILj256ELj16ELj4EiiiEEv20rocsparse_direction_T4_S2_S2_S2_S2_21rocsparse_index_base_PKT2_PKT3_PKS2_S3_PS4_PS7_PS2_: ; @_ZN9rocsparseL42csr2bsr_wavefront_per_row_multipass_kernelILj256ELj16ELj4EiiiEEv20rocsparse_direction_T4_S2_S2_S2_S2_21rocsparse_index_base_PKT2_PKT3_PKS2_S3_PS4_PS7_PS2_
; %bb.0:
	s_clause 0x1
	s_load_b128 s[4:7], s[0:1], 0xc
	s_load_b64 s[12:13], s[0:1], 0x0
	s_bfe_u32 s2, ttmp6, 0x4000c
	s_and_b32 s3, ttmp6, 15
	s_add_co_i32 s2, s2, 1
	s_getreg_b32 s8, hwreg(HW_REG_IB_STS2, 6, 4)
	s_mul_i32 s2, ttmp9, s2
	v_dual_lshrrev_b32 v10, 4, v0 :: v_dual_mov_b32 v2, 0
	s_add_co_i32 s3, s3, s2
	s_cmp_eq_u32 s8, 0
	v_bfe_u32 v3, v0, 2, 2
	s_cselect_b32 s2, ttmp9, s3
	s_load_b64 s[8:9], s[0:1], 0x28
	v_lshl_or_b32 v1, s2, 4, v10
	v_mov_b32_e32 v18, 0
	s_wait_kmcnt 0x0
	s_delay_alu instid0(VALU_DEP_2) | instskip(SKIP_1) | instid1(VALU_DEP_2)
	v_mad_u32 v4, v1, s6, v3
	v_cmp_gt_i32_e32 vcc_lo, s6, v3
	v_cmp_gt_i32_e64 s2, s13, v4
	s_and_b32 s2, vcc_lo, s2
	s_delay_alu instid0(SALU_CYCLE_1)
	s_and_saveexec_b32 s3, s2
	s_cbranch_execz .LBB1_2
; %bb.1:
	global_load_b32 v5, v4, s[8:9] scale_offset
	s_wait_loadcnt 0x0
	v_subrev_nc_u32_e32 v18, s7, v5
.LBB1_2:
	s_or_b32 exec_lo, exec_lo, s3
	v_mov_b32_e32 v11, 0
	s_and_saveexec_b32 s3, s2
	s_cbranch_execz .LBB1_4
; %bb.3:
	global_load_b32 v4, v4, s[8:9] offset:4 scale_offset
	s_wait_loadcnt 0x0
	v_subrev_nc_u32_e32 v11, s7, v4
.LBB1_4:
	s_or_b32 exec_lo, exec_lo, s3
	s_load_b32 s16, s[0:1], 0x38
	s_mov_b32 s3, exec_lo
	v_cmpx_gt_i32_e64 s4, v1
	s_cbranch_execz .LBB1_6
; %bb.5:
	s_load_b64 s[8:9], s[0:1], 0x48
	s_wait_kmcnt 0x0
	global_load_b32 v1, v1, s[8:9] scale_offset
	s_wait_loadcnt 0x0
	v_subrev_nc_u32_e32 v2, s16, v1
.LBB1_6:
	s_or_b32 exec_lo, exec_lo, s3
	s_cmp_lt_i32 s5, 1
	s_cbranch_scc1 .LBB1_24
; %bb.7:
	s_load_b64 s[18:19], s[0:1], 0x40
	v_dual_lshlrev_b32 v4, 4, v3 :: v_dual_bitop2_b32 v12, 3, v0 bitop3:0x40
	v_and_b32_e32 v1, 0xf0, v0
	v_mbcnt_lo_u32_b32 v19, -1, 0
	s_clause 0x2
	s_load_b64 s[2:3], s[0:1], 0x50
	s_load_b64 s[8:9], s[0:1], 0x30
	;; [unrolled: 1-line block ×3, first 2 shown]
	v_mul_lo_u32 v0, s6, v12
	v_lshlrev_b32_e32 v6, 2, v12
	v_lshl_or_b32 v13, v1, 2, v4
	v_dual_mov_b32 v1, 0 :: v_dual_bitop2_b32 v4, 2, v19 bitop3:0x14
	v_xor_b32_e32 v7, 1, v19
	s_wait_xcnt 0x0
	v_cmp_gt_u32_e64 s0, s6, v12
	s_mov_b32 s13, 0
	v_cmp_gt_i32_e64 s1, 32, v4
	v_dual_mov_b32 v22, 1 :: v_dual_bitop2_b32 v14, v13, v6 bitop3:0x54
	s_delay_alu instid0(VALU_DEP_2)
	v_dual_cndmask_b32 v8, v19, v4, s1 :: v_dual_bitop2_b32 v21, 8, v19 bitop3:0x14
	s_and_b32 s1, vcc_lo, s0
	s_wait_kmcnt 0x0
	v_lshl_add_u64 v[4:5], v[0:1], 2, s[18:19]
	v_lshlrev_b32_e32 v0, 2, v3
	s_cmp_lg_u32 s12, 0
	v_lshlrev_b32_e32 v15, 2, v8
	s_cselect_b32 s4, -1, 0
	s_abs_i32 s17, s6
	v_add_nc_u64_e32 v[4:5], v[4:5], v[0:1]
	v_mul_lo_u32 v0, s6, v3
	s_cvt_f32_u32 s0, s17
	v_cmp_gt_i32_e32 vcc_lo, 32, v7
	v_lshlrev_b32_e32 v3, 2, v19
	s_mov_b32 s12, s6
	v_rcp_iflag_f32_e32 v20, s0
	s_mul_u64 s[14:15], s[12:13], s[12:13]
	v_cndmask_b32_e32 v7, v19, v7, vcc_lo
	v_cmp_gt_i32_e32 vcc_lo, 32, v21
	s_sub_co_i32 s12, 0, s17
	v_lshl_add_u64 v[8:9], v[0:1], 2, s[18:19]
	s_delay_alu instid0(TRANS32_DEP_1) | instskip(SKIP_4) | instid1(VALU_DEP_2)
	v_readfirstlane_b32 s0, v20
	v_dual_cndmask_b32 v20, v19, v21, vcc_lo :: v_dual_bitop2_b32 v0, 4, v19 bitop3:0x14
	v_dual_mov_b32 v7, v1 :: v_dual_lshlrev_b32 v16, 2, v7
	s_mul_f32 s0, s0, 0x4f7ffffe
	s_ashr_i32 s18, s6, 31
	v_cmp_gt_i32_e32 vcc_lo, 32, v0
	v_or_b32_e32 v17, 12, v3
	s_cvt_u32_f32 s0, s0
	v_add_nc_u64_e32 v[6:7], v[8:9], v[6:7]
	v_dual_cndmask_b32 v0, v19, v0, vcc_lo :: v_dual_bitop2_b32 v21, 60, v3 bitop3:0x54
	s_delay_alu instid0(SALU_CYCLE_1) | instskip(SKIP_2) | instid1(VALU_DEP_2)
	s_mul_i32 s12, s12, s0
	v_dual_lshlrev_b32 v19, 2, v20 :: v_dual_mov_b32 v3, 0
	s_mul_hi_u32 s12, s0, s12
	v_lshlrev_b32_e32 v20, 2, v0
	s_add_co_i32 s12, s0, s12
	s_mov_b32 s19, s13
	s_branch .LBB1_10
.LBB1_8:                                ;   in Loop: Header=BB1_10 Depth=1
	s_wait_xcnt 0x0
	s_or_b32 exec_lo, exec_lo, s20
	s_wait_dscnt 0x0
	v_mov_b32_e32 v0, 1
.LBB1_9:                                ;   in Loop: Header=BB1_10 Depth=1
	s_or_b32 exec_lo, exec_lo, s0
	ds_bpermute_b32 v3, v19, v23
	s_wait_storecnt_dscnt 0x0
	v_dual_add_nc_u32 v2, v0, v2 :: v_dual_min_i32 v3, v3, v23
	ds_bpermute_b32 v8, v20, v3
	s_wait_dscnt 0x0
	v_min_i32_e32 v3, v8, v3
	ds_bpermute_b32 v8, v15, v3
	s_wait_dscnt 0x0
	v_min_i32_e32 v3, v8, v3
	;; [unrolled: 3-line block ×3, first 2 shown]
	ds_bpermute_b32 v3, v21, v3
	s_wait_dscnt 0x0
	v_cmp_le_i32_e32 vcc_lo, s5, v3
	s_or_b32 s19, vcc_lo, s19
	s_delay_alu instid0(SALU_CYCLE_1)
	s_and_not1_b32 exec_lo, exec_lo, s19
	s_cbranch_execz .LBB1_24
.LBB1_10:                               ; =>This Loop Header: Depth=1
                                        ;     Child Loop BB1_13 Depth 2
	v_dual_mov_b32 v23, s5 :: v_dual_add_nc_u32 v8, v18, v12
	v_mov_b32_e32 v9, v11
	s_mov_b32 s20, exec_lo
	ds_store_b8 v10, v1 offset:1024
	ds_store_b32 v14, v1
	s_wait_dscnt 0x0
	v_cmpx_lt_i32_e64 v8, v11
	s_cbranch_execz .LBB1_18
; %bb.11:                               ;   in Loop: Header=BB1_10 Depth=1
	v_mul_lo_u32 v18, v3, s6
	v_dual_mov_b32 v23, s5 :: v_dual_mov_b32 v9, v11
	s_mov_b32 s21, 0
	s_branch .LBB1_13
.LBB1_12:                               ;   in Loop: Header=BB1_13 Depth=2
	s_wait_xcnt 0x0
	s_or_b32 exec_lo, exec_lo, s0
	v_add_nc_u32_e32 v8, 4, v8
	s_xor_b32 s22, vcc_lo, -1
	s_delay_alu instid0(VALU_DEP_1) | instskip(SKIP_1) | instid1(SALU_CYCLE_1)
	v_cmp_ge_i32_e64 s0, v8, v11
	s_or_b32 s0, s22, s0
	s_and_b32 s0, exec_lo, s0
	s_delay_alu instid0(SALU_CYCLE_1) | instskip(NEXT) | instid1(SALU_CYCLE_1)
	s_or_b32 s21, s0, s21
	s_and_not1_b32 exec_lo, exec_lo, s21
	s_cbranch_execz .LBB1_17
.LBB1_13:                               ;   Parent Loop BB1_10 Depth=1
                                        ; =>  This Inner Loop Header: Depth=2
	global_load_b32 v0, v8, s[8:9] scale_offset
	s_wait_loadcnt 0x0
	v_subrev_nc_u32_e32 v24, s7, v0
	s_delay_alu instid0(VALU_DEP_1) | instskip(NEXT) | instid1(VALU_DEP_1)
	v_sub_nc_u32_e32 v0, 0, v24
	v_max_i32_e32 v0, v24, v0
	s_delay_alu instid0(VALU_DEP_1) | instskip(NEXT) | instid1(VALU_DEP_1)
	v_mul_u64_e32 v[26:27], s[12:13], v[0:1]
	v_mul_lo_u32 v25, v27, s17
	s_delay_alu instid0(VALU_DEP_1) | instskip(NEXT) | instid1(VALU_DEP_1)
	v_dual_sub_nc_u32 v0, v0, v25 :: v_dual_add_nc_u32 v25, 1, v27
	v_cmp_le_u32_e32 vcc_lo, s17, v0
	s_delay_alu instid0(VALU_DEP_2) | instskip(SKIP_1) | instid1(VALU_DEP_1)
	v_dual_cndmask_b32 v25, v27, v25, vcc_lo :: v_dual_ashrrev_i32 v27, 31, v24
	v_subrev_nc_u32_e32 v26, s17, v0
	v_dual_cndmask_b32 v0, v0, v26, vcc_lo :: v_dual_add_nc_u32 v26, 1, v25
	s_delay_alu instid0(VALU_DEP_1) | instskip(NEXT) | instid1(VALU_DEP_2)
	v_cmp_le_u32_e32 vcc_lo, s17, v0
	v_dual_cndmask_b32 v0, v25, v26, vcc_lo :: v_dual_bitop2_b32 v27, s18, v27 bitop3:0x14
	s_delay_alu instid0(VALU_DEP_1) | instskip(NEXT) | instid1(VALU_DEP_1)
	v_xor_b32_e32 v0, v0, v27
	v_dual_mov_b32 v0, v9 :: v_dual_sub_nc_u32 v25, v0, v27
	s_delay_alu instid0(VALU_DEP_1) | instskip(SKIP_3) | instid1(SALU_CYCLE_1)
	v_cmp_ne_u32_e64 s0, v25, v3
	v_cmp_eq_u32_e32 vcc_lo, v25, v3
	s_wait_xcnt 0x0
	s_and_saveexec_b32 s22, s0
	s_xor_b32 s0, exec_lo, s22
; %bb.14:                               ;   in Loop: Header=BB1_13 Depth=2
	v_min_i32_e32 v23, v25, v23
                                        ; implicit-def: $vgpr24
                                        ; implicit-def: $vgpr0
; %bb.15:                               ;   in Loop: Header=BB1_13 Depth=2
	s_or_saveexec_b32 s0, s0
	v_mov_b32_e32 v9, v8
	s_xor_b32 exec_lo, exec_lo, s0
	s_cbranch_execz .LBB1_12
; %bb.16:                               ;   in Loop: Header=BB1_13 Depth=2
	v_ashrrev_i32_e32 v9, 31, v8
	s_delay_alu instid0(VALU_DEP_1)
	v_lshl_add_u64 v[26:27], v[8:9], 2, s[10:11]
	v_sub_nc_u32_e32 v9, v24, v18
	global_load_b32 v25, v[26:27], off
	v_lshl_add_u32 v24, v9, 2, v13
	v_mov_b32_e32 v9, v0
	ds_store_b8 v10, v22 offset:1024
	s_wait_loadcnt 0x0
	ds_store_b32 v24, v25
	s_branch .LBB1_12
.LBB1_17:                               ;   in Loop: Header=BB1_10 Depth=1
	s_or_b32 exec_lo, exec_lo, s21
.LBB1_18:                               ;   in Loop: Header=BB1_10 Depth=1
	s_delay_alu instid0(SALU_CYCLE_1)
	s_or_b32 exec_lo, exec_lo, s20
	ds_bpermute_b32 v0, v15, v9
	s_wait_dscnt 0x0
	v_min_i32_e32 v0, v0, v9
	ds_load_u8 v9, v10 offset:1024
	ds_bpermute_b32 v8, v16, v0
	s_wait_dscnt 0x0
	v_min_i32_e32 v0, v8, v0
	ds_bpermute_b32 v18, v17, v0
	v_and_b32_e32 v0, 1, v9
	s_delay_alu instid0(VALU_DEP_1)
	v_cmp_eq_u32_e32 vcc_lo, 1, v0
	v_mov_b32_e32 v0, 0
	s_and_saveexec_b32 s0, vcc_lo
	s_cbranch_execz .LBB1_9
; %bb.19:                               ;   in Loop: Header=BB1_10 Depth=1
	v_add_nc_u32_e32 v0, s16, v3
	global_store_b32 v2, v0, s[2:3] scale_offset
	s_wait_xcnt 0x0
	s_and_saveexec_b32 s20, s1
	s_cbranch_execz .LBB1_8
; %bb.20:                               ;   in Loop: Header=BB1_10 Depth=1
	v_ashrrev_i32_e32 v3, 31, v2
	ds_load_b32 v0, v14
	s_and_b32 vcc_lo, exec_lo, s4
	v_mul_u64_e32 v[8:9], s[14:15], v[2:3]
	s_cbranch_vccz .LBB1_22
; %bb.21:                               ;   in Loop: Header=BB1_10 Depth=1
	s_delay_alu instid0(VALU_DEP_1)
	v_lshl_add_u64 v[24:25], v[8:9], 2, v[4:5]
	s_wait_dscnt 0x0
	global_store_b32 v[24:25], v0, off
	s_cbranch_execnz .LBB1_8
	s_branch .LBB1_23
.LBB1_22:                               ;   in Loop: Header=BB1_10 Depth=1
.LBB1_23:                               ;   in Loop: Header=BB1_10 Depth=1
	s_delay_alu instid0(VALU_DEP_1)
	v_lshl_add_u64 v[8:9], v[8:9], 2, v[6:7]
	s_wait_dscnt 0x0
	global_store_b32 v[8:9], v0, off
	s_branch .LBB1_8
.LBB1_24:
	s_endpgm
	.section	.rodata,"a",@progbits
	.p2align	6, 0x0
	.amdhsa_kernel _ZN9rocsparseL42csr2bsr_wavefront_per_row_multipass_kernelILj256ELj16ELj4EiiiEEv20rocsparse_direction_T4_S2_S2_S2_S2_21rocsparse_index_base_PKT2_PKT3_PKS2_S3_PS4_PS7_PS2_
		.amdhsa_group_segment_fixed_size 1040
		.amdhsa_private_segment_fixed_size 0
		.amdhsa_kernarg_size 88
		.amdhsa_user_sgpr_count 2
		.amdhsa_user_sgpr_dispatch_ptr 0
		.amdhsa_user_sgpr_queue_ptr 0
		.amdhsa_user_sgpr_kernarg_segment_ptr 1
		.amdhsa_user_sgpr_dispatch_id 0
		.amdhsa_user_sgpr_kernarg_preload_length 0
		.amdhsa_user_sgpr_kernarg_preload_offset 0
		.amdhsa_user_sgpr_private_segment_size 0
		.amdhsa_wavefront_size32 1
		.amdhsa_uses_dynamic_stack 0
		.amdhsa_enable_private_segment 0
		.amdhsa_system_sgpr_workgroup_id_x 1
		.amdhsa_system_sgpr_workgroup_id_y 0
		.amdhsa_system_sgpr_workgroup_id_z 0
		.amdhsa_system_sgpr_workgroup_info 0
		.amdhsa_system_vgpr_workitem_id 0
		.amdhsa_next_free_vgpr 28
		.amdhsa_next_free_sgpr 23
		.amdhsa_named_barrier_count 0
		.amdhsa_reserve_vcc 1
		.amdhsa_float_round_mode_32 0
		.amdhsa_float_round_mode_16_64 0
		.amdhsa_float_denorm_mode_32 3
		.amdhsa_float_denorm_mode_16_64 3
		.amdhsa_fp16_overflow 0
		.amdhsa_memory_ordered 1
		.amdhsa_forward_progress 1
		.amdhsa_inst_pref_size 11
		.amdhsa_round_robin_scheduling 0
		.amdhsa_exception_fp_ieee_invalid_op 0
		.amdhsa_exception_fp_denorm_src 0
		.amdhsa_exception_fp_ieee_div_zero 0
		.amdhsa_exception_fp_ieee_overflow 0
		.amdhsa_exception_fp_ieee_underflow 0
		.amdhsa_exception_fp_ieee_inexact 0
		.amdhsa_exception_int_div_zero 0
	.end_amdhsa_kernel
	.section	.text._ZN9rocsparseL42csr2bsr_wavefront_per_row_multipass_kernelILj256ELj16ELj4EiiiEEv20rocsparse_direction_T4_S2_S2_S2_S2_21rocsparse_index_base_PKT2_PKT3_PKS2_S3_PS4_PS7_PS2_,"axG",@progbits,_ZN9rocsparseL42csr2bsr_wavefront_per_row_multipass_kernelILj256ELj16ELj4EiiiEEv20rocsparse_direction_T4_S2_S2_S2_S2_21rocsparse_index_base_PKT2_PKT3_PKS2_S3_PS4_PS7_PS2_,comdat
.Lfunc_end1:
	.size	_ZN9rocsparseL42csr2bsr_wavefront_per_row_multipass_kernelILj256ELj16ELj4EiiiEEv20rocsparse_direction_T4_S2_S2_S2_S2_21rocsparse_index_base_PKT2_PKT3_PKS2_S3_PS4_PS7_PS2_, .Lfunc_end1-_ZN9rocsparseL42csr2bsr_wavefront_per_row_multipass_kernelILj256ELj16ELj4EiiiEEv20rocsparse_direction_T4_S2_S2_S2_S2_21rocsparse_index_base_PKT2_PKT3_PKS2_S3_PS4_PS7_PS2_
                                        ; -- End function
	.set _ZN9rocsparseL42csr2bsr_wavefront_per_row_multipass_kernelILj256ELj16ELj4EiiiEEv20rocsparse_direction_T4_S2_S2_S2_S2_21rocsparse_index_base_PKT2_PKT3_PKS2_S3_PS4_PS7_PS2_.num_vgpr, 28
	.set _ZN9rocsparseL42csr2bsr_wavefront_per_row_multipass_kernelILj256ELj16ELj4EiiiEEv20rocsparse_direction_T4_S2_S2_S2_S2_21rocsparse_index_base_PKT2_PKT3_PKS2_S3_PS4_PS7_PS2_.num_agpr, 0
	.set _ZN9rocsparseL42csr2bsr_wavefront_per_row_multipass_kernelILj256ELj16ELj4EiiiEEv20rocsparse_direction_T4_S2_S2_S2_S2_21rocsparse_index_base_PKT2_PKT3_PKS2_S3_PS4_PS7_PS2_.numbered_sgpr, 23
	.set _ZN9rocsparseL42csr2bsr_wavefront_per_row_multipass_kernelILj256ELj16ELj4EiiiEEv20rocsparse_direction_T4_S2_S2_S2_S2_21rocsparse_index_base_PKT2_PKT3_PKS2_S3_PS4_PS7_PS2_.num_named_barrier, 0
	.set _ZN9rocsparseL42csr2bsr_wavefront_per_row_multipass_kernelILj256ELj16ELj4EiiiEEv20rocsparse_direction_T4_S2_S2_S2_S2_21rocsparse_index_base_PKT2_PKT3_PKS2_S3_PS4_PS7_PS2_.private_seg_size, 0
	.set _ZN9rocsparseL42csr2bsr_wavefront_per_row_multipass_kernelILj256ELj16ELj4EiiiEEv20rocsparse_direction_T4_S2_S2_S2_S2_21rocsparse_index_base_PKT2_PKT3_PKS2_S3_PS4_PS7_PS2_.uses_vcc, 1
	.set _ZN9rocsparseL42csr2bsr_wavefront_per_row_multipass_kernelILj256ELj16ELj4EiiiEEv20rocsparse_direction_T4_S2_S2_S2_S2_21rocsparse_index_base_PKT2_PKT3_PKS2_S3_PS4_PS7_PS2_.uses_flat_scratch, 0
	.set _ZN9rocsparseL42csr2bsr_wavefront_per_row_multipass_kernelILj256ELj16ELj4EiiiEEv20rocsparse_direction_T4_S2_S2_S2_S2_21rocsparse_index_base_PKT2_PKT3_PKS2_S3_PS4_PS7_PS2_.has_dyn_sized_stack, 0
	.set _ZN9rocsparseL42csr2bsr_wavefront_per_row_multipass_kernelILj256ELj16ELj4EiiiEEv20rocsparse_direction_T4_S2_S2_S2_S2_21rocsparse_index_base_PKT2_PKT3_PKS2_S3_PS4_PS7_PS2_.has_recursion, 0
	.set _ZN9rocsparseL42csr2bsr_wavefront_per_row_multipass_kernelILj256ELj16ELj4EiiiEEv20rocsparse_direction_T4_S2_S2_S2_S2_21rocsparse_index_base_PKT2_PKT3_PKS2_S3_PS4_PS7_PS2_.has_indirect_call, 0
	.section	.AMDGPU.csdata,"",@progbits
; Kernel info:
; codeLenInByte = 1332
; TotalNumSgprs: 25
; NumVgprs: 28
; ScratchSize: 0
; MemoryBound: 0
; FloatMode: 240
; IeeeMode: 1
; LDSByteSize: 1040 bytes/workgroup (compile time only)
; SGPRBlocks: 0
; VGPRBlocks: 1
; NumSGPRsForWavesPerEU: 25
; NumVGPRsForWavesPerEU: 28
; NamedBarCnt: 0
; Occupancy: 16
; WaveLimiterHint : 0
; COMPUTE_PGM_RSRC2:SCRATCH_EN: 0
; COMPUTE_PGM_RSRC2:USER_SGPR: 2
; COMPUTE_PGM_RSRC2:TRAP_HANDLER: 0
; COMPUTE_PGM_RSRC2:TGID_X_EN: 1
; COMPUTE_PGM_RSRC2:TGID_Y_EN: 0
; COMPUTE_PGM_RSRC2:TGID_Z_EN: 0
; COMPUTE_PGM_RSRC2:TIDIG_COMP_CNT: 0
	.section	.text._ZN9rocsparseL42csr2bsr_wavefront_per_row_multipass_kernelILj256ELj64ELj8EiiiEEv20rocsparse_direction_T4_S2_S2_S2_S2_21rocsparse_index_base_PKT2_PKT3_PKS2_S3_PS4_PS7_PS2_,"axG",@progbits,_ZN9rocsparseL42csr2bsr_wavefront_per_row_multipass_kernelILj256ELj64ELj8EiiiEEv20rocsparse_direction_T4_S2_S2_S2_S2_21rocsparse_index_base_PKT2_PKT3_PKS2_S3_PS4_PS7_PS2_,comdat
	.globl	_ZN9rocsparseL42csr2bsr_wavefront_per_row_multipass_kernelILj256ELj64ELj8EiiiEEv20rocsparse_direction_T4_S2_S2_S2_S2_21rocsparse_index_base_PKT2_PKT3_PKS2_S3_PS4_PS7_PS2_ ; -- Begin function _ZN9rocsparseL42csr2bsr_wavefront_per_row_multipass_kernelILj256ELj64ELj8EiiiEEv20rocsparse_direction_T4_S2_S2_S2_S2_21rocsparse_index_base_PKT2_PKT3_PKS2_S3_PS4_PS7_PS2_
	.p2align	8
	.type	_ZN9rocsparseL42csr2bsr_wavefront_per_row_multipass_kernelILj256ELj64ELj8EiiiEEv20rocsparse_direction_T4_S2_S2_S2_S2_21rocsparse_index_base_PKT2_PKT3_PKS2_S3_PS4_PS7_PS2_,@function
_ZN9rocsparseL42csr2bsr_wavefront_per_row_multipass_kernelILj256ELj64ELj8EiiiEEv20rocsparse_direction_T4_S2_S2_S2_S2_21rocsparse_index_base_PKT2_PKT3_PKS2_S3_PS4_PS7_PS2_: ; @_ZN9rocsparseL42csr2bsr_wavefront_per_row_multipass_kernelILj256ELj64ELj8EiiiEEv20rocsparse_direction_T4_S2_S2_S2_S2_21rocsparse_index_base_PKT2_PKT3_PKS2_S3_PS4_PS7_PS2_
; %bb.0:
	s_clause 0x1
	s_load_b128 s[4:7], s[0:1], 0xc
	s_load_b64 s[12:13], s[0:1], 0x0
	s_bfe_u32 s2, ttmp6, 0x4000c
	s_and_b32 s3, ttmp6, 15
	s_add_co_i32 s2, s2, 1
	s_getreg_b32 s8, hwreg(HW_REG_IB_STS2, 6, 4)
	s_mul_i32 s2, ttmp9, s2
	v_dual_lshrrev_b32 v10, 6, v0 :: v_dual_mov_b32 v2, 0
	s_add_co_i32 s3, s3, s2
	s_cmp_eq_u32 s8, 0
	v_bfe_u32 v3, v0, 3, 3
	s_cselect_b32 s2, ttmp9, s3
	s_load_b64 s[8:9], s[0:1], 0x28
	v_lshl_or_b32 v1, s2, 2, v10
	v_mov_b32_e32 v19, 0
	s_wait_kmcnt 0x0
	s_delay_alu instid0(VALU_DEP_2) | instskip(SKIP_1) | instid1(VALU_DEP_2)
	v_mad_u32 v4, v1, s6, v3
	v_cmp_gt_i32_e32 vcc_lo, s6, v3
	v_cmp_gt_i32_e64 s2, s13, v4
	s_and_b32 s2, vcc_lo, s2
	s_delay_alu instid0(SALU_CYCLE_1)
	s_and_saveexec_b32 s3, s2
	s_cbranch_execz .LBB2_2
; %bb.1:
	global_load_b32 v5, v4, s[8:9] scale_offset
	s_wait_loadcnt 0x0
	v_subrev_nc_u32_e32 v19, s7, v5
.LBB2_2:
	s_or_b32 exec_lo, exec_lo, s3
	v_mov_b32_e32 v11, 0
	s_and_saveexec_b32 s3, s2
	s_cbranch_execz .LBB2_4
; %bb.3:
	global_load_b32 v4, v4, s[8:9] offset:4 scale_offset
	s_wait_loadcnt 0x0
	v_subrev_nc_u32_e32 v11, s7, v4
.LBB2_4:
	s_or_b32 exec_lo, exec_lo, s3
	s_load_b32 s16, s[0:1], 0x38
	s_mov_b32 s3, exec_lo
	v_cmpx_gt_i32_e64 s4, v1
	s_cbranch_execz .LBB2_6
; %bb.5:
	s_load_b64 s[8:9], s[0:1], 0x48
	s_wait_kmcnt 0x0
	global_load_b32 v1, v1, s[8:9] scale_offset
	s_wait_loadcnt 0x0
	v_subrev_nc_u32_e32 v2, s16, v1
.LBB2_6:
	s_or_b32 exec_lo, exec_lo, s3
	s_cmp_lt_i32 s5, 1
	s_cbranch_scc1 .LBB2_24
; %bb.7:
	s_load_b64 s[14:15], s[0:1], 0x40
	v_dual_lshlrev_b32 v5, 5, v3 :: v_dual_bitop2_b32 v12, 7, v0 bitop3:0x40
	v_and_b32_e32 v4, 0xc0, v0
	v_mbcnt_lo_u32_b32 v20, -1, 0
	v_mov_b32_e32 v1, 0
	s_delay_alu instid0(VALU_DEP_4)
	v_mul_lo_u32 v0, s6, v12
	s_clause 0x2
	s_load_b64 s[2:3], s[0:1], 0x50
	s_load_b64 s[8:9], s[0:1], 0x30
	;; [unrolled: 1-line block ×3, first 2 shown]
	v_lshl_or_b32 v13, v4, 2, v5
	v_xor_b32_e32 v4, 4, v20
	v_lshlrev_b32_e32 v6, 2, v12
	s_wait_xcnt 0x0
	v_cmp_gt_u32_e64 s0, s6, v12
	s_mov_b32 s13, 0
	v_lshl_or_b32 v18, v20, 2, 28
	v_cmp_gt_i32_e64 s1, 32, v4
	v_bfrev_b32_e32 v23, 0.5
	s_mov_b32 s19, s13
	v_dual_mov_b32 v24, 1 :: v_dual_cndmask_b32 v9, v20, v4, s1
	s_wait_kmcnt 0x0
	v_lshl_add_u64 v[4:5], v[0:1], 2, s[14:15]
	v_dual_lshlrev_b32 v0, 2, v3 :: v_dual_bitop2_b32 v14, v13, v6 bitop3:0x54
	s_delay_alu instid0(VALU_DEP_3) | instskip(NEXT) | instid1(VALU_DEP_2)
	v_dual_lshlrev_b32 v15, 2, v9 :: v_dual_bitop2_b32 v7, 2, v20 bitop3:0x14
	v_add_nc_u64_e32 v[4:5], v[4:5], v[0:1]
	v_mul_lo_u32 v0, s6, v3
	s_delay_alu instid0(VALU_DEP_3) | instskip(NEXT) | instid1(VALU_DEP_1)
	v_cmp_gt_i32_e64 s1, 32, v7
	v_dual_cndmask_b32 v7, v20, v7, s1 :: v_dual_bitop2_b32 v8, 1, v20 bitop3:0x14
	s_delay_alu instid0(VALU_DEP_1) | instskip(NEXT) | instid1(VALU_DEP_1)
	v_cmp_gt_i32_e64 s1, 32, v8
	v_dual_lshlrev_b32 v16, 2, v7 :: v_dual_cndmask_b32 v3, v20, v8, s1
	s_and_b32 s1, vcc_lo, s0
	s_cmp_lg_u32 s12, 0
	v_lshl_add_u64 v[8:9], v[0:1], 2, s[14:15]
	s_delay_alu instid0(VALU_DEP_2)
	v_dual_mov_b32 v7, v1 :: v_dual_lshlrev_b32 v17, 2, v3
	s_cselect_b32 s4, -1, 0
	s_abs_i32 s17, s6
	s_mov_b32 s12, s6
	s_cvt_f32_u32 s0, s17
	v_add_nc_u64_e32 v[6:7], v[8:9], v[6:7]
	v_xor_b32_e32 v9, 8, v20
	v_or_b32_e32 v3, 32, v20
	v_rcp_iflag_f32_e32 v0, s0
	s_mul_u64 s[14:15], s[12:13], s[12:13]
	s_sub_co_i32 s12, 0, s17
	s_ashr_i32 s18, s6, 31
	v_cmp_gt_i32_e32 vcc_lo, 32, v3
	v_xor_b32_e32 v8, 16, v20
	s_delay_alu instid0(TRANS32_DEP_1) | instskip(SKIP_1) | instid1(VALU_DEP_3)
	v_readfirstlane_b32 s0, v0
	v_cndmask_b32_e32 v0, v20, v3, vcc_lo
	v_cmp_gt_i32_e32 vcc_lo, 32, v8
	s_mul_f32 s0, s0, 0x4f7ffffe
	v_cndmask_b32_e32 v3, v20, v8, vcc_lo
	s_delay_alu instid0(SALU_CYCLE_2) | instskip(NEXT) | instid1(VALU_DEP_1)
	s_cvt_u32_f32 s0, s0
	v_lshlrev_b32_e32 v21, 2, v3
	v_cmp_gt_i32_e32 vcc_lo, 32, v9
	s_delay_alu instid0(SALU_CYCLE_1) | instskip(SKIP_4) | instid1(VALU_DEP_1)
	s_mul_i32 s12, s12, s0
	v_mov_b32_e32 v3, 0
	s_mul_hi_u32 s12, s0, s12
	v_dual_cndmask_b32 v8, v20, v9, vcc_lo :: v_dual_lshlrev_b32 v20, 2, v0
	s_add_co_i32 s12, s0, s12
	v_lshlrev_b32_e32 v22, 2, v8
	s_branch .LBB2_10
.LBB2_8:                                ;   in Loop: Header=BB2_10 Depth=1
	s_wait_xcnt 0x0
	s_or_b32 exec_lo, exec_lo, s20
	s_wait_dscnt 0x0
	v_mov_b32_e32 v0, 1
.LBB2_9:                                ;   in Loop: Header=BB2_10 Depth=1
	s_or_b32 exec_lo, exec_lo, s0
	ds_bpermute_b32 v3, v20, v25
	s_wait_storecnt_dscnt 0x0
	v_dual_add_nc_u32 v2, v0, v2 :: v_dual_min_i32 v3, v3, v25
	ds_bpermute_b32 v8, v21, v3
	s_wait_dscnt 0x0
	v_min_i32_e32 v3, v8, v3
	ds_bpermute_b32 v8, v22, v3
	s_wait_dscnt 0x0
	v_min_i32_e32 v3, v8, v3
	;; [unrolled: 3-line block ×5, first 2 shown]
	ds_bpermute_b32 v3, v23, v3
	s_wait_dscnt 0x0
	v_cmp_le_i32_e32 vcc_lo, s5, v3
	s_or_b32 s19, vcc_lo, s19
	s_delay_alu instid0(SALU_CYCLE_1)
	s_and_not1_b32 exec_lo, exec_lo, s19
	s_cbranch_execz .LBB2_24
.LBB2_10:                               ; =>This Loop Header: Depth=1
                                        ;     Child Loop BB2_13 Depth 2
	v_dual_mov_b32 v25, s5 :: v_dual_add_nc_u32 v8, v19, v12
	v_mov_b32_e32 v9, v11
	s_mov_b32 s20, exec_lo
	ds_store_b8 v10, v1 offset:1024
	ds_store_b32 v14, v1
	s_wait_dscnt 0x0
	v_cmpx_lt_i32_e64 v8, v11
	s_cbranch_execz .LBB2_18
; %bb.11:                               ;   in Loop: Header=BB2_10 Depth=1
	v_mul_lo_u32 v19, v3, s6
	v_dual_mov_b32 v25, s5 :: v_dual_mov_b32 v9, v11
	s_mov_b32 s21, 0
	s_branch .LBB2_13
.LBB2_12:                               ;   in Loop: Header=BB2_13 Depth=2
	s_wait_xcnt 0x0
	s_or_b32 exec_lo, exec_lo, s0
	v_add_nc_u32_e32 v8, 8, v8
	s_xor_b32 s22, vcc_lo, -1
	s_delay_alu instid0(VALU_DEP_1) | instskip(SKIP_1) | instid1(SALU_CYCLE_1)
	v_cmp_ge_i32_e64 s0, v8, v11
	s_or_b32 s0, s22, s0
	s_and_b32 s0, exec_lo, s0
	s_delay_alu instid0(SALU_CYCLE_1) | instskip(NEXT) | instid1(SALU_CYCLE_1)
	s_or_b32 s21, s0, s21
	s_and_not1_b32 exec_lo, exec_lo, s21
	s_cbranch_execz .LBB2_17
.LBB2_13:                               ;   Parent Loop BB2_10 Depth=1
                                        ; =>  This Inner Loop Header: Depth=2
	global_load_b32 v0, v8, s[8:9] scale_offset
	s_wait_loadcnt 0x0
	v_subrev_nc_u32_e32 v26, s7, v0
	s_delay_alu instid0(VALU_DEP_1) | instskip(NEXT) | instid1(VALU_DEP_1)
	v_sub_nc_u32_e32 v0, 0, v26
	v_max_i32_e32 v0, v26, v0
	s_delay_alu instid0(VALU_DEP_1) | instskip(NEXT) | instid1(VALU_DEP_1)
	v_mul_u64_e32 v[28:29], s[12:13], v[0:1]
	v_mul_lo_u32 v27, v29, s17
	s_delay_alu instid0(VALU_DEP_1) | instskip(NEXT) | instid1(VALU_DEP_1)
	v_dual_sub_nc_u32 v0, v0, v27 :: v_dual_add_nc_u32 v27, 1, v29
	v_cmp_le_u32_e32 vcc_lo, s17, v0
	s_delay_alu instid0(VALU_DEP_2) | instskip(SKIP_1) | instid1(VALU_DEP_1)
	v_dual_cndmask_b32 v27, v29, v27, vcc_lo :: v_dual_ashrrev_i32 v29, 31, v26
	v_subrev_nc_u32_e32 v28, s17, v0
	v_dual_cndmask_b32 v0, v0, v28, vcc_lo :: v_dual_add_nc_u32 v28, 1, v27
	s_delay_alu instid0(VALU_DEP_1) | instskip(NEXT) | instid1(VALU_DEP_2)
	v_cmp_le_u32_e32 vcc_lo, s17, v0
	v_dual_cndmask_b32 v0, v27, v28, vcc_lo :: v_dual_bitop2_b32 v29, s18, v29 bitop3:0x14
	s_delay_alu instid0(VALU_DEP_1) | instskip(NEXT) | instid1(VALU_DEP_1)
	v_xor_b32_e32 v0, v0, v29
	v_dual_mov_b32 v0, v9 :: v_dual_sub_nc_u32 v27, v0, v29
	s_delay_alu instid0(VALU_DEP_1) | instskip(SKIP_3) | instid1(SALU_CYCLE_1)
	v_cmp_ne_u32_e64 s0, v27, v3
	v_cmp_eq_u32_e32 vcc_lo, v27, v3
	s_wait_xcnt 0x0
	s_and_saveexec_b32 s22, s0
	s_xor_b32 s0, exec_lo, s22
; %bb.14:                               ;   in Loop: Header=BB2_13 Depth=2
	v_min_i32_e32 v25, v27, v25
                                        ; implicit-def: $vgpr26
                                        ; implicit-def: $vgpr0
; %bb.15:                               ;   in Loop: Header=BB2_13 Depth=2
	s_or_saveexec_b32 s0, s0
	v_mov_b32_e32 v9, v8
	s_xor_b32 exec_lo, exec_lo, s0
	s_cbranch_execz .LBB2_12
; %bb.16:                               ;   in Loop: Header=BB2_13 Depth=2
	v_ashrrev_i32_e32 v9, 31, v8
	s_delay_alu instid0(VALU_DEP_1)
	v_lshl_add_u64 v[28:29], v[8:9], 2, s[10:11]
	v_sub_nc_u32_e32 v9, v26, v19
	global_load_b32 v27, v[28:29], off
	v_lshl_add_u32 v26, v9, 2, v13
	v_mov_b32_e32 v9, v0
	ds_store_b8 v10, v24 offset:1024
	s_wait_loadcnt 0x0
	ds_store_b32 v26, v27
	s_branch .LBB2_12
.LBB2_17:                               ;   in Loop: Header=BB2_10 Depth=1
	s_or_b32 exec_lo, exec_lo, s21
.LBB2_18:                               ;   in Loop: Header=BB2_10 Depth=1
	s_delay_alu instid0(SALU_CYCLE_1)
	s_or_b32 exec_lo, exec_lo, s20
	ds_bpermute_b32 v0, v15, v9
	s_wait_dscnt 0x0
	v_min_i32_e32 v0, v0, v9
	ds_load_u8 v9, v10 offset:1024
	ds_bpermute_b32 v8, v16, v0
	s_wait_dscnt 0x0
	v_min_i32_e32 v0, v8, v0
	ds_bpermute_b32 v8, v17, v0
	s_wait_dscnt 0x0
	v_min_i32_e32 v0, v8, v0
	ds_bpermute_b32 v19, v18, v0
	v_and_b32_e32 v0, 1, v9
	s_delay_alu instid0(VALU_DEP_1)
	v_cmp_eq_u32_e32 vcc_lo, 1, v0
	v_mov_b32_e32 v0, 0
	s_and_saveexec_b32 s0, vcc_lo
	s_cbranch_execz .LBB2_9
; %bb.19:                               ;   in Loop: Header=BB2_10 Depth=1
	v_add_nc_u32_e32 v0, s16, v3
	global_store_b32 v2, v0, s[2:3] scale_offset
	s_wait_xcnt 0x0
	s_and_saveexec_b32 s20, s1
	s_cbranch_execz .LBB2_8
; %bb.20:                               ;   in Loop: Header=BB2_10 Depth=1
	v_ashrrev_i32_e32 v3, 31, v2
	ds_load_b32 v0, v14
	s_and_b32 vcc_lo, exec_lo, s4
	v_mul_u64_e32 v[8:9], s[14:15], v[2:3]
	s_cbranch_vccz .LBB2_22
; %bb.21:                               ;   in Loop: Header=BB2_10 Depth=1
	s_delay_alu instid0(VALU_DEP_1)
	v_lshl_add_u64 v[26:27], v[8:9], 2, v[4:5]
	s_wait_dscnt 0x0
	global_store_b32 v[26:27], v0, off
	s_cbranch_execnz .LBB2_8
	s_branch .LBB2_23
.LBB2_22:                               ;   in Loop: Header=BB2_10 Depth=1
.LBB2_23:                               ;   in Loop: Header=BB2_10 Depth=1
	s_delay_alu instid0(VALU_DEP_1)
	v_lshl_add_u64 v[8:9], v[8:9], 2, v[6:7]
	s_wait_dscnt 0x0
	global_store_b32 v[8:9], v0, off
	s_branch .LBB2_8
.LBB2_24:
	s_endpgm
	.section	.rodata,"a",@progbits
	.p2align	6, 0x0
	.amdhsa_kernel _ZN9rocsparseL42csr2bsr_wavefront_per_row_multipass_kernelILj256ELj64ELj8EiiiEEv20rocsparse_direction_T4_S2_S2_S2_S2_21rocsparse_index_base_PKT2_PKT3_PKS2_S3_PS4_PS7_PS2_
		.amdhsa_group_segment_fixed_size 1028
		.amdhsa_private_segment_fixed_size 0
		.amdhsa_kernarg_size 88
		.amdhsa_user_sgpr_count 2
		.amdhsa_user_sgpr_dispatch_ptr 0
		.amdhsa_user_sgpr_queue_ptr 0
		.amdhsa_user_sgpr_kernarg_segment_ptr 1
		.amdhsa_user_sgpr_dispatch_id 0
		.amdhsa_user_sgpr_kernarg_preload_length 0
		.amdhsa_user_sgpr_kernarg_preload_offset 0
		.amdhsa_user_sgpr_private_segment_size 0
		.amdhsa_wavefront_size32 1
		.amdhsa_uses_dynamic_stack 0
		.amdhsa_enable_private_segment 0
		.amdhsa_system_sgpr_workgroup_id_x 1
		.amdhsa_system_sgpr_workgroup_id_y 0
		.amdhsa_system_sgpr_workgroup_id_z 0
		.amdhsa_system_sgpr_workgroup_info 0
		.amdhsa_system_vgpr_workitem_id 0
		.amdhsa_next_free_vgpr 30
		.amdhsa_next_free_sgpr 23
		.amdhsa_named_barrier_count 0
		.amdhsa_reserve_vcc 1
		.amdhsa_float_round_mode_32 0
		.amdhsa_float_round_mode_16_64 0
		.amdhsa_float_denorm_mode_32 3
		.amdhsa_float_denorm_mode_16_64 3
		.amdhsa_fp16_overflow 0
		.amdhsa_memory_ordered 1
		.amdhsa_forward_progress 1
		.amdhsa_inst_pref_size 12
		.amdhsa_round_robin_scheduling 0
		.amdhsa_exception_fp_ieee_invalid_op 0
		.amdhsa_exception_fp_denorm_src 0
		.amdhsa_exception_fp_ieee_div_zero 0
		.amdhsa_exception_fp_ieee_overflow 0
		.amdhsa_exception_fp_ieee_underflow 0
		.amdhsa_exception_fp_ieee_inexact 0
		.amdhsa_exception_int_div_zero 0
	.end_amdhsa_kernel
	.section	.text._ZN9rocsparseL42csr2bsr_wavefront_per_row_multipass_kernelILj256ELj64ELj8EiiiEEv20rocsparse_direction_T4_S2_S2_S2_S2_21rocsparse_index_base_PKT2_PKT3_PKS2_S3_PS4_PS7_PS2_,"axG",@progbits,_ZN9rocsparseL42csr2bsr_wavefront_per_row_multipass_kernelILj256ELj64ELj8EiiiEEv20rocsparse_direction_T4_S2_S2_S2_S2_21rocsparse_index_base_PKT2_PKT3_PKS2_S3_PS4_PS7_PS2_,comdat
.Lfunc_end2:
	.size	_ZN9rocsparseL42csr2bsr_wavefront_per_row_multipass_kernelILj256ELj64ELj8EiiiEEv20rocsparse_direction_T4_S2_S2_S2_S2_21rocsparse_index_base_PKT2_PKT3_PKS2_S3_PS4_PS7_PS2_, .Lfunc_end2-_ZN9rocsparseL42csr2bsr_wavefront_per_row_multipass_kernelILj256ELj64ELj8EiiiEEv20rocsparse_direction_T4_S2_S2_S2_S2_21rocsparse_index_base_PKT2_PKT3_PKS2_S3_PS4_PS7_PS2_
                                        ; -- End function
	.set _ZN9rocsparseL42csr2bsr_wavefront_per_row_multipass_kernelILj256ELj64ELj8EiiiEEv20rocsparse_direction_T4_S2_S2_S2_S2_21rocsparse_index_base_PKT2_PKT3_PKS2_S3_PS4_PS7_PS2_.num_vgpr, 30
	.set _ZN9rocsparseL42csr2bsr_wavefront_per_row_multipass_kernelILj256ELj64ELj8EiiiEEv20rocsparse_direction_T4_S2_S2_S2_S2_21rocsparse_index_base_PKT2_PKT3_PKS2_S3_PS4_PS7_PS2_.num_agpr, 0
	.set _ZN9rocsparseL42csr2bsr_wavefront_per_row_multipass_kernelILj256ELj64ELj8EiiiEEv20rocsparse_direction_T4_S2_S2_S2_S2_21rocsparse_index_base_PKT2_PKT3_PKS2_S3_PS4_PS7_PS2_.numbered_sgpr, 23
	.set _ZN9rocsparseL42csr2bsr_wavefront_per_row_multipass_kernelILj256ELj64ELj8EiiiEEv20rocsparse_direction_T4_S2_S2_S2_S2_21rocsparse_index_base_PKT2_PKT3_PKS2_S3_PS4_PS7_PS2_.num_named_barrier, 0
	.set _ZN9rocsparseL42csr2bsr_wavefront_per_row_multipass_kernelILj256ELj64ELj8EiiiEEv20rocsparse_direction_T4_S2_S2_S2_S2_21rocsparse_index_base_PKT2_PKT3_PKS2_S3_PS4_PS7_PS2_.private_seg_size, 0
	.set _ZN9rocsparseL42csr2bsr_wavefront_per_row_multipass_kernelILj256ELj64ELj8EiiiEEv20rocsparse_direction_T4_S2_S2_S2_S2_21rocsparse_index_base_PKT2_PKT3_PKS2_S3_PS4_PS7_PS2_.uses_vcc, 1
	.set _ZN9rocsparseL42csr2bsr_wavefront_per_row_multipass_kernelILj256ELj64ELj8EiiiEEv20rocsparse_direction_T4_S2_S2_S2_S2_21rocsparse_index_base_PKT2_PKT3_PKS2_S3_PS4_PS7_PS2_.uses_flat_scratch, 0
	.set _ZN9rocsparseL42csr2bsr_wavefront_per_row_multipass_kernelILj256ELj64ELj8EiiiEEv20rocsparse_direction_T4_S2_S2_S2_S2_21rocsparse_index_base_PKT2_PKT3_PKS2_S3_PS4_PS7_PS2_.has_dyn_sized_stack, 0
	.set _ZN9rocsparseL42csr2bsr_wavefront_per_row_multipass_kernelILj256ELj64ELj8EiiiEEv20rocsparse_direction_T4_S2_S2_S2_S2_21rocsparse_index_base_PKT2_PKT3_PKS2_S3_PS4_PS7_PS2_.has_recursion, 0
	.set _ZN9rocsparseL42csr2bsr_wavefront_per_row_multipass_kernelILj256ELj64ELj8EiiiEEv20rocsparse_direction_T4_S2_S2_S2_S2_21rocsparse_index_base_PKT2_PKT3_PKS2_S3_PS4_PS7_PS2_.has_indirect_call, 0
	.section	.AMDGPU.csdata,"",@progbits
; Kernel info:
; codeLenInByte = 1444
; TotalNumSgprs: 25
; NumVgprs: 30
; ScratchSize: 0
; MemoryBound: 0
; FloatMode: 240
; IeeeMode: 1
; LDSByteSize: 1028 bytes/workgroup (compile time only)
; SGPRBlocks: 0
; VGPRBlocks: 1
; NumSGPRsForWavesPerEU: 25
; NumVGPRsForWavesPerEU: 30
; NamedBarCnt: 0
; Occupancy: 16
; WaveLimiterHint : 0
; COMPUTE_PGM_RSRC2:SCRATCH_EN: 0
; COMPUTE_PGM_RSRC2:USER_SGPR: 2
; COMPUTE_PGM_RSRC2:TRAP_HANDLER: 0
; COMPUTE_PGM_RSRC2:TGID_X_EN: 1
; COMPUTE_PGM_RSRC2:TGID_Y_EN: 0
; COMPUTE_PGM_RSRC2:TGID_Z_EN: 0
; COMPUTE_PGM_RSRC2:TIDIG_COMP_CNT: 0
	.section	.text._ZN9rocsparseL42csr2bsr_wavefront_per_row_multipass_kernelILj256ELj32ELj8EiiiEEv20rocsparse_direction_T4_S2_S2_S2_S2_21rocsparse_index_base_PKT2_PKT3_PKS2_S3_PS4_PS7_PS2_,"axG",@progbits,_ZN9rocsparseL42csr2bsr_wavefront_per_row_multipass_kernelILj256ELj32ELj8EiiiEEv20rocsparse_direction_T4_S2_S2_S2_S2_21rocsparse_index_base_PKT2_PKT3_PKS2_S3_PS4_PS7_PS2_,comdat
	.globl	_ZN9rocsparseL42csr2bsr_wavefront_per_row_multipass_kernelILj256ELj32ELj8EiiiEEv20rocsparse_direction_T4_S2_S2_S2_S2_21rocsparse_index_base_PKT2_PKT3_PKS2_S3_PS4_PS7_PS2_ ; -- Begin function _ZN9rocsparseL42csr2bsr_wavefront_per_row_multipass_kernelILj256ELj32ELj8EiiiEEv20rocsparse_direction_T4_S2_S2_S2_S2_21rocsparse_index_base_PKT2_PKT3_PKS2_S3_PS4_PS7_PS2_
	.p2align	8
	.type	_ZN9rocsparseL42csr2bsr_wavefront_per_row_multipass_kernelILj256ELj32ELj8EiiiEEv20rocsparse_direction_T4_S2_S2_S2_S2_21rocsparse_index_base_PKT2_PKT3_PKS2_S3_PS4_PS7_PS2_,@function
_ZN9rocsparseL42csr2bsr_wavefront_per_row_multipass_kernelILj256ELj32ELj8EiiiEEv20rocsparse_direction_T4_S2_S2_S2_S2_21rocsparse_index_base_PKT2_PKT3_PKS2_S3_PS4_PS7_PS2_: ; @_ZN9rocsparseL42csr2bsr_wavefront_per_row_multipass_kernelILj256ELj32ELj8EiiiEEv20rocsparse_direction_T4_S2_S2_S2_S2_21rocsparse_index_base_PKT2_PKT3_PKS2_S3_PS4_PS7_PS2_
; %bb.0:
	s_clause 0x1
	s_load_b128 s[4:7], s[0:1], 0xc
	s_load_b64 s[12:13], s[0:1], 0x0
	s_bfe_u32 s2, ttmp6, 0x4000c
	s_and_b32 s3, ttmp6, 15
	s_add_co_i32 s2, s2, 1
	s_getreg_b32 s8, hwreg(HW_REG_IB_STS2, 6, 4)
	s_mul_i32 s2, ttmp9, s2
	v_dual_mov_b32 v2, 0 :: v_dual_lshrrev_b32 v1, 5, v0
	s_add_co_i32 s3, s3, s2
	s_cmp_eq_u32 s8, 0
	v_bfe_u32 v3, v0, 2, 3
	s_cselect_b32 s2, ttmp9, s3
	s_load_b64 s[8:9], s[0:1], 0x28
	v_lshl_or_b32 v4, s2, 3, v1
	v_mov_b32_e32 v27, 0
	s_wait_kmcnt 0x0
	s_delay_alu instid0(VALU_DEP_2) | instskip(SKIP_1) | instid1(VALU_DEP_2)
	v_mad_u32 v5, v4, s6, v3
	v_cmp_gt_i32_e32 vcc_lo, s6, v3
	v_cmp_gt_i32_e64 s2, s13, v5
	s_and_b32 s2, vcc_lo, s2
	s_delay_alu instid0(SALU_CYCLE_1)
	s_and_saveexec_b32 s3, s2
	s_cbranch_execz .LBB3_2
; %bb.1:
	global_load_b32 v6, v5, s[8:9] scale_offset
	s_wait_loadcnt 0x0
	v_subrev_nc_u32_e32 v27, s7, v6
.LBB3_2:
	s_or_b32 exec_lo, exec_lo, s3
	v_mov_b32_e32 v18, 0
	s_and_saveexec_b32 s3, s2
	s_cbranch_execz .LBB3_4
; %bb.3:
	global_load_b32 v5, v5, s[8:9] offset:4 scale_offset
	s_wait_loadcnt 0x0
	v_subrev_nc_u32_e32 v18, s7, v5
.LBB3_4:
	s_or_b32 exec_lo, exec_lo, s3
	s_load_b32 s16, s[0:1], 0x38
	s_mov_b32 s3, exec_lo
	v_cmpx_gt_i32_e64 s4, v4
	s_cbranch_execz .LBB3_6
; %bb.5:
	s_load_b64 s[8:9], s[0:1], 0x48
	s_wait_kmcnt 0x0
	global_load_b32 v2, v4, s[8:9] scale_offset
	s_wait_loadcnt 0x0
	v_subrev_nc_u32_e32 v2, s16, v2
.LBB3_6:
	s_or_b32 exec_lo, exec_lo, s3
	s_cmp_lt_i32 s5, 1
	s_cbranch_scc1 .LBB3_29
; %bb.7:
	s_clause 0x3
	s_load_b64 s[18:19], s[0:1], 0x40
	s_load_b64 s[2:3], s[0:1], 0x50
	;; [unrolled: 1-line block ×4, first 2 shown]
	v_mbcnt_lo_u32_b32 v10, -1, 0
	v_dual_lshlrev_b32 v6, 5, v3 :: v_dual_bitop2_b32 v0, 3, v0 bitop3:0x40
	v_dual_mov_b32 v5, 0 :: v_dual_lshlrev_b32 v4, 2, v3
	s_delay_alu instid0(VALU_DEP_3) | instskip(SKIP_1) | instid1(VALU_DEP_3)
	v_xor_b32_e32 v8, 2, v10
	s_cmp_lg_u32 s12, 0
	v_lshl_or_b32 v19, v1, 8, v6
	s_cselect_b32 s4, -1, 0
	s_abs_i32 s17, s6
	s_wait_xcnt 0x0
	v_cmp_gt_i32_e64 s0, 32, v8
	v_xor_b32_e32 v9, 1, v10
	s_cvt_f32_u32 s1, s17
	s_mov_b32 s13, 0
	s_mov_b32 s12, s6
	v_lshl_or_b32 v20, v10, 2, 12
	s_wait_kmcnt 0x0
	v_add_nc_u64_e32 v[6:7], s[18:19], v[4:5]
	v_mul_lo_u32 v4, s6, v3
	v_cndmask_b32_e64 v3, v10, v8, s0
	v_cmp_gt_i32_e64 s0, 32, v9
	s_mul_u64 s[14:15], s[12:13], s[12:13]
	v_xor_b32_e32 v11, 16, v10
	v_lshl_or_b32 v21, v0, 2, v19
	v_dual_lshlrev_b32 v22, 2, v3 :: v_dual_cndmask_b32 v8, v10, v9, s0
	v_xor_b32_e32 v12, 8, v10
	s_delay_alu instid0(VALU_DEP_4) | instskip(SKIP_1) | instid1(VALU_DEP_4)
	v_cmp_gt_i32_e64 s0, 32, v11
	v_dual_mov_b32 v13, v5 :: v_dual_bitop2_b32 v3, 4, v10 bitop3:0x14
	v_dual_mov_b32 v29, 1 :: v_dual_lshlrev_b32 v23, 2, v8
	v_lshl_add_u64 v[8:9], v[4:5], 2, s[18:19]
	s_delay_alu instid0(VALU_DEP_4)
	v_cndmask_b32_e64 v4, v10, v11, s0
	v_cmp_gt_i32_e64 s0, 32, v12
	v_rcp_iflag_f32_e32 v11, s1
	s_sub_co_i32 s19, 0, s17
	v_mov_b32_e32 v31, 0
	s_mov_b32 s20, s13
	v_cndmask_b32_e64 v12, v10, v12, s0
	v_cmp_gt_i32_e64 s0, 32, v3
	v_mov_b32_e32 v28, 0x7c
	v_readfirstlane_b32 s1, v11
	s_delay_alu instid0(VALU_DEP_3)
	v_dual_mov_b32 v11, v5 :: v_dual_cndmask_b32 v3, v10, v3, s0
	v_mul_lo_u32 v10, v0, s6
	s_mul_f32 s12, s1, 0x4f7ffffe
	v_lshlrev_b32_e32 v24, 2, v4
	v_cmp_gt_u32_e64 s0, s6, v0
	v_dual_lshlrev_b32 v26, 2, v3 :: v_dual_bitop2_b32 v3, 4, v0 bitop3:0x54
	s_cvt_u32_f32 s12, s12
	v_lshlrev_b32_e32 v25, 2, v12
	s_and_b32 s18, s0, vcc_lo
	s_delay_alu instid0(VALU_DEP_2)
	v_cmp_gt_u32_e64 s1, s6, v3
	s_mul_i32 s19, s19, s12
	v_lshl_add_u32 v12, s6, 2, v10
	s_mul_hi_u32 s0, s12, s19
	s_ashr_i32 s19, s6, 31
	s_and_b32 s1, vcc_lo, s1
	s_add_co_i32 s12, s12, s0
	s_branch .LBB3_10
.LBB3_8:                                ;   in Loop: Header=BB3_10 Depth=1
	s_wait_xcnt 0x0
	s_or_b32 exec_lo, exec_lo, s21
	s_wait_dscnt 0x0
	v_mov_b32_e32 v3, 1
.LBB3_9:                                ;   in Loop: Header=BB3_10 Depth=1
	s_or_b32 exec_lo, exec_lo, s0
	ds_bpermute_b32 v4, v24, v30
	s_wait_storecnt_dscnt 0x0
	v_add_nc_u32_e32 v2, v3, v2
	v_min_i32_e32 v4, v4, v30
	ds_bpermute_b32 v14, v25, v4
	s_wait_dscnt 0x0
	v_min_i32_e32 v4, v14, v4
	ds_bpermute_b32 v14, v26, v4
	s_wait_dscnt 0x0
	;; [unrolled: 3-line block ×5, first 2 shown]
	v_cmp_le_i32_e32 vcc_lo, s5, v31
	s_or_b32 s20, vcc_lo, s20
	s_delay_alu instid0(SALU_CYCLE_1)
	s_and_not1_b32 exec_lo, exec_lo, s20
	s_cbranch_execz .LBB3_29
.LBB3_10:                               ; =>This Loop Header: Depth=1
                                        ;     Child Loop BB3_13 Depth 2
	v_dual_add_nc_u32 v14, v27, v0 :: v_dual_mov_b32 v30, s5
	v_mov_b32_e32 v15, v18
	s_mov_b32 s21, exec_lo
	ds_store_b8 v1, v5 offset:2048
	ds_store_2addr_b32 v21, v5, v5 offset1:4
	s_wait_dscnt 0x0
	v_cmpx_lt_i32_e64 v14, v18
	s_cbranch_execz .LBB3_18
; %bb.11:                               ;   in Loop: Header=BB3_10 Depth=1
	v_mul_lo_u32 v3, v31, s6
	v_dual_mov_b32 v30, s5 :: v_dual_mov_b32 v15, v18
	s_mov_b32 s22, 0
	s_branch .LBB3_13
.LBB3_12:                               ;   in Loop: Header=BB3_13 Depth=2
	s_wait_xcnt 0x0
	s_or_b32 exec_lo, exec_lo, s0
	v_add_nc_u32_e32 v14, 4, v14
	s_xor_b32 s23, vcc_lo, -1
	s_delay_alu instid0(VALU_DEP_1) | instskip(SKIP_1) | instid1(SALU_CYCLE_1)
	v_cmp_ge_i32_e64 s0, v14, v18
	s_or_b32 s0, s23, s0
	s_and_b32 s0, exec_lo, s0
	s_delay_alu instid0(SALU_CYCLE_1) | instskip(NEXT) | instid1(SALU_CYCLE_1)
	s_or_b32 s22, s0, s22
	s_and_not1_b32 exec_lo, exec_lo, s22
	s_cbranch_execz .LBB3_17
.LBB3_13:                               ;   Parent Loop BB3_10 Depth=1
                                        ; =>  This Inner Loop Header: Depth=2
	global_load_b32 v4, v14, s[8:9] scale_offset
	s_wait_loadcnt 0x0
	v_subrev_nc_u32_e32 v16, s7, v4
	s_delay_alu instid0(VALU_DEP_1) | instskip(NEXT) | instid1(VALU_DEP_1)
	v_sub_nc_u32_e32 v4, 0, v16
	v_max_i32_e32 v4, v16, v4
	s_delay_alu instid0(VALU_DEP_1) | instskip(SKIP_1) | instid1(VALU_DEP_2)
	v_mul_u64_e32 v[32:33], s[12:13], v[4:5]
	v_ashrrev_i32_e32 v32, 31, v16
	v_mul_lo_u32 v17, v33, s17
	s_delay_alu instid0(VALU_DEP_1) | instskip(SKIP_1) | instid1(VALU_DEP_2)
	v_sub_nc_u32_e32 v4, v4, v17
	v_add_nc_u32_e32 v17, 1, v33
	v_subrev_nc_u32_e32 v27, s17, v4
	v_cmp_le_u32_e32 vcc_lo, s17, v4
	s_delay_alu instid0(VALU_DEP_2) | instskip(NEXT) | instid1(VALU_DEP_1)
	v_dual_cndmask_b32 v17, v33, v17 :: v_dual_cndmask_b32 v4, v4, v27
	v_add_nc_u32_e32 v27, 1, v17
	s_delay_alu instid0(VALU_DEP_2) | instskip(NEXT) | instid1(VALU_DEP_2)
	v_cmp_le_u32_e32 vcc_lo, s17, v4
	v_dual_cndmask_b32 v4, v17, v27, vcc_lo :: v_dual_bitop2_b32 v32, s19, v32 bitop3:0x14
	s_delay_alu instid0(VALU_DEP_1) | instskip(NEXT) | instid1(VALU_DEP_1)
	v_xor_b32_e32 v4, v4, v32
	v_dual_mov_b32 v4, v15 :: v_dual_sub_nc_u32 v17, v4, v32
	s_delay_alu instid0(VALU_DEP_1) | instskip(SKIP_3) | instid1(SALU_CYCLE_1)
	v_cmp_ne_u32_e64 s0, v17, v31
	v_cmp_eq_u32_e32 vcc_lo, v17, v31
	s_wait_xcnt 0x0
	s_and_saveexec_b32 s23, s0
	s_xor_b32 s0, exec_lo, s23
; %bb.14:                               ;   in Loop: Header=BB3_13 Depth=2
	v_min_i32_e32 v30, v17, v30
                                        ; implicit-def: $vgpr16
                                        ; implicit-def: $vgpr4
; %bb.15:                               ;   in Loop: Header=BB3_13 Depth=2
	s_or_saveexec_b32 s0, s0
	v_mov_b32_e32 v15, v14
	s_xor_b32 exec_lo, exec_lo, s0
	s_cbranch_execz .LBB3_12
; %bb.16:                               ;   in Loop: Header=BB3_13 Depth=2
	v_ashrrev_i32_e32 v15, 31, v14
	s_delay_alu instid0(VALU_DEP_1)
	v_lshl_add_u64 v[32:33], v[14:15], 2, s[10:11]
	v_sub_nc_u32_e32 v15, v16, v3
	global_load_b32 v17, v[32:33], off
	v_lshl_add_u32 v16, v15, 2, v19
	v_mov_b32_e32 v15, v4
	ds_store_b8 v1, v29 offset:2048
	s_wait_loadcnt 0x0
	ds_store_b32 v16, v17
	s_branch .LBB3_12
.LBB3_17:                               ;   in Loop: Header=BB3_10 Depth=1
	s_or_b32 exec_lo, exec_lo, s22
.LBB3_18:                               ;   in Loop: Header=BB3_10 Depth=1
	s_delay_alu instid0(SALU_CYCLE_1)
	s_or_b32 exec_lo, exec_lo, s21
	ds_bpermute_b32 v3, v22, v15
	s_wait_dscnt 0x0
	ds_load_u8 v14, v1 offset:2048
	v_min_i32_e32 v3, v3, v15
	ds_bpermute_b32 v4, v23, v3
	s_wait_dscnt 0x0
	v_min_i32_e32 v3, v4, v3
	ds_bpermute_b32 v27, v20, v3
	v_and_b32_e32 v3, 1, v14
	s_delay_alu instid0(VALU_DEP_1)
	v_cmp_eq_u32_e32 vcc_lo, 1, v3
	v_mov_b32_e32 v3, 0
	s_and_saveexec_b32 s0, vcc_lo
	s_cbranch_execz .LBB3_9
; %bb.19:                               ;   in Loop: Header=BB3_10 Depth=1
	v_ashrrev_i32_e32 v3, 31, v2
	s_delay_alu instid0(VALU_DEP_1) | instskip(SKIP_3) | instid1(VALU_DEP_1)
	v_mul_u64_e32 v[14:15], s[14:15], v[2:3]
	v_add_nc_u32_e32 v3, s16, v31
	global_store_b32 v2, v3, s[2:3] scale_offset
	v_lshlrev_b64_e32 v[14:15], 2, v[14:15]
	v_add_nc_u64_e32 v[16:17], v[6:7], v[14:15]
	v_add_nc_u64_e32 v[14:15], v[8:9], v[14:15]
	s_wait_xcnt 0x0
	s_and_saveexec_b32 s21, s18
	s_cbranch_execz .LBB3_23
; %bb.20:                               ;   in Loop: Header=BB3_10 Depth=1
	ds_load_b32 v3, v21
	s_and_b32 vcc_lo, exec_lo, s4
	s_cbranch_vccz .LBB3_26
; %bb.21:                               ;   in Loop: Header=BB3_10 Depth=1
	v_lshl_add_u64 v[32:33], v[10:11], 2, v[16:17]
	s_wait_dscnt 0x0
	global_store_b32 v[32:33], v3, off
	s_cbranch_execnz .LBB3_23
.LBB3_22:                               ;   in Loop: Header=BB3_10 Depth=1
	v_lshlrev_b32_e32 v4, 2, v0
	s_wait_xcnt 0x0
	s_delay_alu instid0(VALU_DEP_1)
	v_add_nc_u64_e32 v[32:33], v[14:15], v[4:5]
	s_wait_dscnt 0x0
	global_store_b32 v[32:33], v3, off
.LBB3_23:                               ;   in Loop: Header=BB3_10 Depth=1
	s_wait_xcnt 0x0
	s_or_b32 exec_lo, exec_lo, s21
	s_and_saveexec_b32 s21, s1
	s_cbranch_execz .LBB3_8
; %bb.24:                               ;   in Loop: Header=BB3_10 Depth=1
	s_and_not1_b32 vcc_lo, exec_lo, s4
	s_cbranch_vccnz .LBB3_27
; %bb.25:                               ;   in Loop: Header=BB3_10 Depth=1
	s_wait_dscnt 0x0
	ds_load_b32 v3, v21 offset:16
	v_lshl_add_u64 v[16:17], v[12:13], 2, v[16:17]
	s_wait_dscnt 0x0
	global_store_b32 v[16:17], v3, off
	s_cbranch_execnz .LBB3_8
	s_branch .LBB3_28
.LBB3_26:                               ;   in Loop: Header=BB3_10 Depth=1
	s_branch .LBB3_22
.LBB3_27:                               ;   in Loop: Header=BB3_10 Depth=1
.LBB3_28:                               ;   in Loop: Header=BB3_10 Depth=1
	s_wait_dscnt 0x0
	s_wait_xcnt 0x0
	ds_load_b32 v3, v21 offset:16
	v_lshlrev_b32_e32 v4, 2, v0
	s_delay_alu instid0(VALU_DEP_1)
	v_add_nc_u64_e32 v[14:15], v[14:15], v[4:5]
	s_wait_dscnt 0x0
	global_store_b32 v[14:15], v3, off offset:16
	s_branch .LBB3_8
.LBB3_29:
	s_endpgm
	.section	.rodata,"a",@progbits
	.p2align	6, 0x0
	.amdhsa_kernel _ZN9rocsparseL42csr2bsr_wavefront_per_row_multipass_kernelILj256ELj32ELj8EiiiEEv20rocsparse_direction_T4_S2_S2_S2_S2_21rocsparse_index_base_PKT2_PKT3_PKS2_S3_PS4_PS7_PS2_
		.amdhsa_group_segment_fixed_size 2056
		.amdhsa_private_segment_fixed_size 0
		.amdhsa_kernarg_size 88
		.amdhsa_user_sgpr_count 2
		.amdhsa_user_sgpr_dispatch_ptr 0
		.amdhsa_user_sgpr_queue_ptr 0
		.amdhsa_user_sgpr_kernarg_segment_ptr 1
		.amdhsa_user_sgpr_dispatch_id 0
		.amdhsa_user_sgpr_kernarg_preload_length 0
		.amdhsa_user_sgpr_kernarg_preload_offset 0
		.amdhsa_user_sgpr_private_segment_size 0
		.amdhsa_wavefront_size32 1
		.amdhsa_uses_dynamic_stack 0
		.amdhsa_enable_private_segment 0
		.amdhsa_system_sgpr_workgroup_id_x 1
		.amdhsa_system_sgpr_workgroup_id_y 0
		.amdhsa_system_sgpr_workgroup_id_z 0
		.amdhsa_system_sgpr_workgroup_info 0
		.amdhsa_system_vgpr_workitem_id 0
		.amdhsa_next_free_vgpr 34
		.amdhsa_next_free_sgpr 24
		.amdhsa_named_barrier_count 0
		.amdhsa_reserve_vcc 1
		.amdhsa_float_round_mode_32 0
		.amdhsa_float_round_mode_16_64 0
		.amdhsa_float_denorm_mode_32 3
		.amdhsa_float_denorm_mode_16_64 3
		.amdhsa_fp16_overflow 0
		.amdhsa_memory_ordered 1
		.amdhsa_forward_progress 1
		.amdhsa_inst_pref_size 12
		.amdhsa_round_robin_scheduling 0
		.amdhsa_exception_fp_ieee_invalid_op 0
		.amdhsa_exception_fp_denorm_src 0
		.amdhsa_exception_fp_ieee_div_zero 0
		.amdhsa_exception_fp_ieee_overflow 0
		.amdhsa_exception_fp_ieee_underflow 0
		.amdhsa_exception_fp_ieee_inexact 0
		.amdhsa_exception_int_div_zero 0
	.end_amdhsa_kernel
	.section	.text._ZN9rocsparseL42csr2bsr_wavefront_per_row_multipass_kernelILj256ELj32ELj8EiiiEEv20rocsparse_direction_T4_S2_S2_S2_S2_21rocsparse_index_base_PKT2_PKT3_PKS2_S3_PS4_PS7_PS2_,"axG",@progbits,_ZN9rocsparseL42csr2bsr_wavefront_per_row_multipass_kernelILj256ELj32ELj8EiiiEEv20rocsparse_direction_T4_S2_S2_S2_S2_21rocsparse_index_base_PKT2_PKT3_PKS2_S3_PS4_PS7_PS2_,comdat
.Lfunc_end3:
	.size	_ZN9rocsparseL42csr2bsr_wavefront_per_row_multipass_kernelILj256ELj32ELj8EiiiEEv20rocsparse_direction_T4_S2_S2_S2_S2_21rocsparse_index_base_PKT2_PKT3_PKS2_S3_PS4_PS7_PS2_, .Lfunc_end3-_ZN9rocsparseL42csr2bsr_wavefront_per_row_multipass_kernelILj256ELj32ELj8EiiiEEv20rocsparse_direction_T4_S2_S2_S2_S2_21rocsparse_index_base_PKT2_PKT3_PKS2_S3_PS4_PS7_PS2_
                                        ; -- End function
	.set _ZN9rocsparseL42csr2bsr_wavefront_per_row_multipass_kernelILj256ELj32ELj8EiiiEEv20rocsparse_direction_T4_S2_S2_S2_S2_21rocsparse_index_base_PKT2_PKT3_PKS2_S3_PS4_PS7_PS2_.num_vgpr, 34
	.set _ZN9rocsparseL42csr2bsr_wavefront_per_row_multipass_kernelILj256ELj32ELj8EiiiEEv20rocsparse_direction_T4_S2_S2_S2_S2_21rocsparse_index_base_PKT2_PKT3_PKS2_S3_PS4_PS7_PS2_.num_agpr, 0
	.set _ZN9rocsparseL42csr2bsr_wavefront_per_row_multipass_kernelILj256ELj32ELj8EiiiEEv20rocsparse_direction_T4_S2_S2_S2_S2_21rocsparse_index_base_PKT2_PKT3_PKS2_S3_PS4_PS7_PS2_.numbered_sgpr, 24
	.set _ZN9rocsparseL42csr2bsr_wavefront_per_row_multipass_kernelILj256ELj32ELj8EiiiEEv20rocsparse_direction_T4_S2_S2_S2_S2_21rocsparse_index_base_PKT2_PKT3_PKS2_S3_PS4_PS7_PS2_.num_named_barrier, 0
	.set _ZN9rocsparseL42csr2bsr_wavefront_per_row_multipass_kernelILj256ELj32ELj8EiiiEEv20rocsparse_direction_T4_S2_S2_S2_S2_21rocsparse_index_base_PKT2_PKT3_PKS2_S3_PS4_PS7_PS2_.private_seg_size, 0
	.set _ZN9rocsparseL42csr2bsr_wavefront_per_row_multipass_kernelILj256ELj32ELj8EiiiEEv20rocsparse_direction_T4_S2_S2_S2_S2_21rocsparse_index_base_PKT2_PKT3_PKS2_S3_PS4_PS7_PS2_.uses_vcc, 1
	.set _ZN9rocsparseL42csr2bsr_wavefront_per_row_multipass_kernelILj256ELj32ELj8EiiiEEv20rocsparse_direction_T4_S2_S2_S2_S2_21rocsparse_index_base_PKT2_PKT3_PKS2_S3_PS4_PS7_PS2_.uses_flat_scratch, 0
	.set _ZN9rocsparseL42csr2bsr_wavefront_per_row_multipass_kernelILj256ELj32ELj8EiiiEEv20rocsparse_direction_T4_S2_S2_S2_S2_21rocsparse_index_base_PKT2_PKT3_PKS2_S3_PS4_PS7_PS2_.has_dyn_sized_stack, 0
	.set _ZN9rocsparseL42csr2bsr_wavefront_per_row_multipass_kernelILj256ELj32ELj8EiiiEEv20rocsparse_direction_T4_S2_S2_S2_S2_21rocsparse_index_base_PKT2_PKT3_PKS2_S3_PS4_PS7_PS2_.has_recursion, 0
	.set _ZN9rocsparseL42csr2bsr_wavefront_per_row_multipass_kernelILj256ELj32ELj8EiiiEEv20rocsparse_direction_T4_S2_S2_S2_S2_21rocsparse_index_base_PKT2_PKT3_PKS2_S3_PS4_PS7_PS2_.has_indirect_call, 0
	.section	.AMDGPU.csdata,"",@progbits
; Kernel info:
; codeLenInByte = 1516
; TotalNumSgprs: 26
; NumVgprs: 34
; ScratchSize: 0
; MemoryBound: 0
; FloatMode: 240
; IeeeMode: 1
; LDSByteSize: 2056 bytes/workgroup (compile time only)
; SGPRBlocks: 0
; VGPRBlocks: 2
; NumSGPRsForWavesPerEU: 26
; NumVGPRsForWavesPerEU: 34
; NamedBarCnt: 0
; Occupancy: 16
; WaveLimiterHint : 0
; COMPUTE_PGM_RSRC2:SCRATCH_EN: 0
; COMPUTE_PGM_RSRC2:USER_SGPR: 2
; COMPUTE_PGM_RSRC2:TRAP_HANDLER: 0
; COMPUTE_PGM_RSRC2:TGID_X_EN: 1
; COMPUTE_PGM_RSRC2:TGID_Y_EN: 0
; COMPUTE_PGM_RSRC2:TGID_Z_EN: 0
; COMPUTE_PGM_RSRC2:TIDIG_COMP_CNT: 0
	.section	.text._ZN9rocsparseL42csr2bsr_wavefront_per_row_multipass_kernelILj256ELj64ELj16EiiiEEv20rocsparse_direction_T4_S2_S2_S2_S2_21rocsparse_index_base_PKT2_PKT3_PKS2_S3_PS4_PS7_PS2_,"axG",@progbits,_ZN9rocsparseL42csr2bsr_wavefront_per_row_multipass_kernelILj256ELj64ELj16EiiiEEv20rocsparse_direction_T4_S2_S2_S2_S2_21rocsparse_index_base_PKT2_PKT3_PKS2_S3_PS4_PS7_PS2_,comdat
	.globl	_ZN9rocsparseL42csr2bsr_wavefront_per_row_multipass_kernelILj256ELj64ELj16EiiiEEv20rocsparse_direction_T4_S2_S2_S2_S2_21rocsparse_index_base_PKT2_PKT3_PKS2_S3_PS4_PS7_PS2_ ; -- Begin function _ZN9rocsparseL42csr2bsr_wavefront_per_row_multipass_kernelILj256ELj64ELj16EiiiEEv20rocsparse_direction_T4_S2_S2_S2_S2_21rocsparse_index_base_PKT2_PKT3_PKS2_S3_PS4_PS7_PS2_
	.p2align	8
	.type	_ZN9rocsparseL42csr2bsr_wavefront_per_row_multipass_kernelILj256ELj64ELj16EiiiEEv20rocsparse_direction_T4_S2_S2_S2_S2_21rocsparse_index_base_PKT2_PKT3_PKS2_S3_PS4_PS7_PS2_,@function
_ZN9rocsparseL42csr2bsr_wavefront_per_row_multipass_kernelILj256ELj64ELj16EiiiEEv20rocsparse_direction_T4_S2_S2_S2_S2_21rocsparse_index_base_PKT2_PKT3_PKS2_S3_PS4_PS7_PS2_: ; @_ZN9rocsparseL42csr2bsr_wavefront_per_row_multipass_kernelILj256ELj64ELj16EiiiEEv20rocsparse_direction_T4_S2_S2_S2_S2_21rocsparse_index_base_PKT2_PKT3_PKS2_S3_PS4_PS7_PS2_
; %bb.0:
	s_clause 0x1
	s_load_b128 s[4:7], s[0:1], 0xc
	s_load_b64 s[14:15], s[0:1], 0x0
	s_bfe_u32 s2, ttmp6, 0x4000c
	s_and_b32 s3, ttmp6, 15
	s_add_co_i32 s2, s2, 1
	s_getreg_b32 s8, hwreg(HW_REG_IB_STS2, 6, 4)
	s_mul_i32 s2, ttmp9, s2
	v_dual_mov_b32 v2, 0 :: v_dual_lshrrev_b32 v1, 6, v0
	s_add_co_i32 s3, s3, s2
	s_cmp_eq_u32 s8, 0
	v_bfe_u32 v3, v0, 2, 4
	s_cselect_b32 s2, ttmp9, s3
	s_load_b64 s[8:9], s[0:1], 0x28
	v_lshl_or_b32 v4, s2, 2, v1
	v_mov_b32_e32 v32, 0
	s_wait_kmcnt 0x0
	s_delay_alu instid0(VALU_DEP_2) | instskip(SKIP_1) | instid1(VALU_DEP_2)
	v_mad_u32 v5, v4, s6, v3
	v_cmp_gt_i32_e32 vcc_lo, s6, v3
	v_cmp_gt_i32_e64 s2, s15, v5
	s_and_b32 s2, vcc_lo, s2
	s_delay_alu instid0(SALU_CYCLE_1)
	s_and_saveexec_b32 s3, s2
	s_cbranch_execz .LBB4_2
; %bb.1:
	global_load_b32 v6, v5, s[8:9] scale_offset
	s_wait_loadcnt 0x0
	v_subrev_nc_u32_e32 v32, s7, v6
.LBB4_2:
	s_or_b32 exec_lo, exec_lo, s3
	v_mov_b32_e32 v22, 0
	s_and_saveexec_b32 s3, s2
	s_cbranch_execz .LBB4_4
; %bb.3:
	global_load_b32 v5, v5, s[8:9] offset:4 scale_offset
	s_wait_loadcnt 0x0
	v_subrev_nc_u32_e32 v22, s7, v5
.LBB4_4:
	s_or_b32 exec_lo, exec_lo, s3
	s_load_b32 s18, s[0:1], 0x38
	s_mov_b32 s3, exec_lo
	v_cmpx_gt_i32_e64 s4, v4
	s_cbranch_execz .LBB4_6
; %bb.5:
	s_load_b64 s[8:9], s[0:1], 0x48
	s_wait_kmcnt 0x0
	global_load_b32 v2, v4, s[8:9] scale_offset
	s_wait_loadcnt 0x0
	v_subrev_nc_u32_e32 v2, s18, v2
.LBB4_6:
	s_or_b32 exec_lo, exec_lo, s3
	s_cmp_lt_i32 s5, 1
	s_cbranch_scc1 .LBB4_39
; %bb.7:
	s_clause 0x3
	s_load_b64 s[2:3], s[0:1], 0x40
	s_load_b64 s[8:9], s[0:1], 0x50
	s_load_b64 s[10:11], s[0:1], 0x30
	s_load_b64 s[12:13], s[0:1], 0x20
	v_mbcnt_lo_u32_b32 v10, -1, 0
	v_dual_lshlrev_b32 v6, 6, v3 :: v_dual_bitop2_b32 v0, 3, v0 bitop3:0x40
	v_dual_mov_b32 v5, 0 :: v_dual_lshlrev_b32 v4, 2, v3
	s_delay_alu instid0(VALU_DEP_3) | instskip(SKIP_1) | instid1(VALU_DEP_4)
	v_xor_b32_e32 v9, 1, v10
	v_xor_b32_e32 v8, 2, v10
	v_lshl_or_b32 v23, v1, 10, v6
	s_cmp_lg_u32 s14, 0
	v_lshl_or_b32 v24, v10, 2, 12
	s_cselect_b32 s4, -1, 0
	s_wait_xcnt 0x0
	v_cmp_gt_i32_e64 s0, 32, v8
	s_abs_i32 s19, s6
	s_mov_b32 s15, 0
	s_cvt_f32_u32 s1, s19
	s_mov_b32 s14, s6
	s_wait_kmcnt 0x0
	v_add_nc_u64_e32 v[6:7], s[2:3], v[4:5]
	v_mul_lo_u32 v4, s6, v3
	v_dual_cndmask_b32 v8, v10, v8, s0 :: v_dual_bitop2_b32 v3, 32, v10 bitop3:0x54
	v_cmp_gt_i32_e64 s0, 32, v9
	s_mul_u64 s[16:17], s[14:15], s[14:15]
	s_lshl_b32 s14, s6, 2
	v_lshlrev_b32_e32 v26, 2, v8
	v_dual_mov_b32 v17, v5 :: v_dual_bitop2_b32 v16, 12, v0 bitop3:0x54
	v_dual_cndmask_b32 v9, v10, v9, s0 :: v_dual_bitop2_b32 v11, 16, v10 bitop3:0x14
	v_cmp_gt_i32_e64 s0, 32, v3
	v_xor_b32_e32 v12, 8, v10
	v_lshl_or_b32 v25, v0, 2, v23
	s_delay_alu instid0(VALU_DEP_4)
	v_lshlrev_b32_e32 v27, 2, v9
	v_lshl_add_u64 v[8:9], v[4:5], 2, s[2:3]
	v_cndmask_b32_e64 v3, v10, v3, s0
	v_cmp_gt_i32_e64 s0, 32, v11
	v_dual_mov_b32 v13, v5 :: v_dual_bitop2_b32 v4, 4, v10 bitop3:0x14
	v_cmp_gt_u32_e64 s3, s6, v16
	s_delay_alu instid0(VALU_DEP_4) | instskip(NEXT) | instid1(VALU_DEP_4)
	v_lshlrev_b32_e32 v28, 2, v3
	v_cndmask_b32_e64 v11, v10, v11, s0
	v_cmp_gt_i32_e64 s0, 32, v12
	v_or_b32_e32 v3, 4, v0
	v_bfrev_b32_e32 v33, 0.5
	s_and_b32 s3, vcc_lo, s3
	v_dual_lshlrev_b32 v29, 2, v11 :: v_dual_cndmask_b32 v12, v10, v12, s0
	v_cmp_gt_i32_e64 s0, 32, v4
	v_dual_mov_b32 v15, v5 :: v_dual_mov_b32 v11, v5
	s_mov_b32 s22, s15
	v_lshlrev_b32_e32 v30, 2, v12
	v_cndmask_b32_e64 v4, v10, v4, s0
	v_mul_lo_u32 v10, v0, s6
	v_cmp_gt_u32_e64 s0, s6, v0
	v_dual_mov_b32 v34, 1 :: v_dual_mov_b32 v36, 0
	s_delay_alu instid0(VALU_DEP_4) | instskip(SKIP_3) | instid1(TRANS32_DEP_1)
	v_lshlrev_b32_e32 v31, 2, v4
	v_rcp_iflag_f32_e32 v4, s1
	v_cmp_gt_u32_e64 s1, s6, v3
	v_dual_add_nc_u32 v12, s14, v10 :: v_dual_bitop2_b32 v3, 8, v0 bitop3:0x54
	v_readfirstlane_b32 s20, v4
	s_delay_alu instid0(VALU_DEP_2)
	v_cmp_gt_u32_e64 s2, s6, v3
	s_and_b32 s1, vcc_lo, s1
	v_add_nc_u32_e32 v14, s14, v12
	s_mul_f32 s21, s20, 0x4f7ffffe
	s_and_b32 s20, s0, vcc_lo
	s_and_b32 s2, vcc_lo, s2
	s_delay_alu instid0(SALU_CYCLE_1) | instskip(SKIP_4) | instid1(SALU_CYCLE_1)
	s_cvt_u32_f32 s0, s21
	v_add_nc_u32_e32 v16, s14, v14
	s_sub_co_i32 s14, 0, s19
	s_ashr_i32 s21, s6, 31
	s_mul_i32 s14, s14, s0
	s_mul_hi_u32 s14, s0, s14
	s_delay_alu instid0(SALU_CYCLE_1)
	s_add_co_i32 s14, s0, s14
	s_branch .LBB4_10
.LBB4_8:                                ;   in Loop: Header=BB4_10 Depth=1
	s_wait_xcnt 0x0
	s_or_b32 exec_lo, exec_lo, s23
	s_wait_dscnt 0x0
	v_mov_b32_e32 v3, 1
.LBB4_9:                                ;   in Loop: Header=BB4_10 Depth=1
	s_or_b32 exec_lo, exec_lo, s0
	ds_bpermute_b32 v4, v28, v35
	s_wait_storecnt_dscnt 0x0
	v_dual_add_nc_u32 v2, v3, v2 :: v_dual_min_i32 v4, v4, v35
	ds_bpermute_b32 v18, v29, v4
	s_wait_dscnt 0x0
	v_min_i32_e32 v4, v18, v4
	ds_bpermute_b32 v18, v30, v4
	s_wait_dscnt 0x0
	v_min_i32_e32 v4, v18, v4
	;; [unrolled: 3-line block ×5, first 2 shown]
	ds_bpermute_b32 v36, v33, v4
	s_wait_dscnt 0x0
	v_cmp_le_i32_e32 vcc_lo, s5, v36
	s_or_b32 s22, vcc_lo, s22
	s_delay_alu instid0(SALU_CYCLE_1)
	s_and_not1_b32 exec_lo, exec_lo, s22
	s_cbranch_execz .LBB4_39
.LBB4_10:                               ; =>This Loop Header: Depth=1
                                        ;     Child Loop BB4_13 Depth 2
	v_dual_mov_b32 v35, s5 :: v_dual_add_nc_u32 v18, v32, v0
	v_mov_b32_e32 v19, v22
	s_mov_b32 s23, exec_lo
	ds_store_b8 v1, v5 offset:4096
	ds_store_2addr_b32 v25, v5, v5 offset1:4
	ds_store_2addr_b32 v25, v5, v5 offset0:8 offset1:12
	s_wait_dscnt 0x0
	v_cmpx_lt_i32_e64 v18, v22
	s_cbranch_execz .LBB4_18
; %bb.11:                               ;   in Loop: Header=BB4_10 Depth=1
	v_mul_lo_u32 v3, v36, s6
	v_dual_mov_b32 v35, s5 :: v_dual_mov_b32 v19, v22
	s_mov_b32 s24, 0
	s_branch .LBB4_13
.LBB4_12:                               ;   in Loop: Header=BB4_13 Depth=2
	s_wait_xcnt 0x0
	s_or_b32 exec_lo, exec_lo, s0
	v_add_nc_u32_e32 v18, 4, v18
	s_xor_b32 s25, vcc_lo, -1
	s_delay_alu instid0(VALU_DEP_1) | instskip(SKIP_1) | instid1(SALU_CYCLE_1)
	v_cmp_ge_i32_e64 s0, v18, v22
	s_or_b32 s0, s25, s0
	s_and_b32 s0, exec_lo, s0
	s_delay_alu instid0(SALU_CYCLE_1) | instskip(NEXT) | instid1(SALU_CYCLE_1)
	s_or_b32 s24, s0, s24
	s_and_not1_b32 exec_lo, exec_lo, s24
	s_cbranch_execz .LBB4_17
.LBB4_13:                               ;   Parent Loop BB4_10 Depth=1
                                        ; =>  This Inner Loop Header: Depth=2
	global_load_b32 v4, v18, s[10:11] scale_offset
	s_wait_loadcnt 0x0
	v_subrev_nc_u32_e32 v20, s7, v4
	s_delay_alu instid0(VALU_DEP_1) | instskip(NEXT) | instid1(VALU_DEP_1)
	v_dual_sub_nc_u32 v4, 0, v20 :: v_dual_ashrrev_i32 v37, 31, v20
	v_max_i32_e32 v4, v20, v4
	s_delay_alu instid0(VALU_DEP_1) | instskip(NEXT) | instid1(VALU_DEP_1)
	v_mul_u64_e32 v[38:39], s[14:15], v[4:5]
	v_mul_lo_u32 v21, v39, s19
	s_delay_alu instid0(VALU_DEP_1) | instskip(NEXT) | instid1(VALU_DEP_1)
	v_dual_sub_nc_u32 v4, v4, v21 :: v_dual_add_nc_u32 v21, 1, v39
	v_subrev_nc_u32_e32 v32, s19, v4
	v_cmp_le_u32_e32 vcc_lo, s19, v4
	s_delay_alu instid0(VALU_DEP_2) | instskip(NEXT) | instid1(VALU_DEP_1)
	v_dual_cndmask_b32 v21, v39, v21 :: v_dual_cndmask_b32 v4, v4, v32
	v_add_nc_u32_e32 v32, 1, v21
	s_delay_alu instid0(VALU_DEP_2) | instskip(NEXT) | instid1(VALU_DEP_2)
	v_cmp_le_u32_e32 vcc_lo, s19, v4
	v_dual_cndmask_b32 v4, v21, v32, vcc_lo :: v_dual_bitop2_b32 v37, s21, v37 bitop3:0x14
	s_delay_alu instid0(VALU_DEP_1) | instskip(NEXT) | instid1(VALU_DEP_1)
	v_xor_b32_e32 v4, v4, v37
	v_dual_mov_b32 v4, v19 :: v_dual_sub_nc_u32 v21, v4, v37
	s_delay_alu instid0(VALU_DEP_1) | instskip(SKIP_3) | instid1(SALU_CYCLE_1)
	v_cmp_ne_u32_e64 s0, v21, v36
	v_cmp_eq_u32_e32 vcc_lo, v21, v36
	s_wait_xcnt 0x0
	s_and_saveexec_b32 s25, s0
	s_xor_b32 s0, exec_lo, s25
; %bb.14:                               ;   in Loop: Header=BB4_13 Depth=2
	v_min_i32_e32 v35, v21, v35
                                        ; implicit-def: $vgpr20
                                        ; implicit-def: $vgpr4
; %bb.15:                               ;   in Loop: Header=BB4_13 Depth=2
	s_or_saveexec_b32 s0, s0
	v_mov_b32_e32 v19, v18
	s_xor_b32 exec_lo, exec_lo, s0
	s_cbranch_execz .LBB4_12
; %bb.16:                               ;   in Loop: Header=BB4_13 Depth=2
	v_ashrrev_i32_e32 v19, 31, v18
	s_delay_alu instid0(VALU_DEP_1)
	v_lshl_add_u64 v[38:39], v[18:19], 2, s[12:13]
	v_sub_nc_u32_e32 v19, v20, v3
	global_load_b32 v21, v[38:39], off
	v_lshl_add_u32 v20, v19, 2, v23
	v_mov_b32_e32 v19, v4
	ds_store_b8 v1, v34 offset:4096
	s_wait_loadcnt 0x0
	ds_store_b32 v20, v21
	s_branch .LBB4_12
.LBB4_17:                               ;   in Loop: Header=BB4_10 Depth=1
	s_or_b32 exec_lo, exec_lo, s24
.LBB4_18:                               ;   in Loop: Header=BB4_10 Depth=1
	s_delay_alu instid0(SALU_CYCLE_1)
	s_or_b32 exec_lo, exec_lo, s23
	ds_bpermute_b32 v3, v26, v19
	s_wait_dscnt 0x0
	ds_load_u8 v18, v1 offset:4096
	v_min_i32_e32 v3, v3, v19
	ds_bpermute_b32 v4, v27, v3
	s_wait_dscnt 0x0
	v_min_i32_e32 v3, v4, v3
	ds_bpermute_b32 v32, v24, v3
	v_and_b32_e32 v3, 1, v18
	s_delay_alu instid0(VALU_DEP_1)
	v_cmp_eq_u32_e32 vcc_lo, 1, v3
	v_mov_b32_e32 v3, 0
	s_and_saveexec_b32 s0, vcc_lo
	s_cbranch_execz .LBB4_9
; %bb.19:                               ;   in Loop: Header=BB4_10 Depth=1
	v_ashrrev_i32_e32 v3, 31, v2
	s_delay_alu instid0(VALU_DEP_1) | instskip(SKIP_3) | instid1(VALU_DEP_1)
	v_mul_u64_e32 v[18:19], s[16:17], v[2:3]
	v_add_nc_u32_e32 v3, s18, v36
	global_store_b32 v2, v3, s[8:9] scale_offset
	v_lshlrev_b64_e32 v[18:19], 2, v[18:19]
	v_add_nc_u64_e32 v[20:21], v[6:7], v[18:19]
	v_add_nc_u64_e32 v[18:19], v[8:9], v[18:19]
	s_wait_xcnt 0x0
	s_and_saveexec_b32 s23, s20
	s_cbranch_execz .LBB4_23
; %bb.20:                               ;   in Loop: Header=BB4_10 Depth=1
	ds_load_b32 v3, v25
	s_and_b32 vcc_lo, exec_lo, s4
	s_cbranch_vccz .LBB4_34
; %bb.21:                               ;   in Loop: Header=BB4_10 Depth=1
	v_lshl_add_u64 v[36:37], v[10:11], 2, v[20:21]
	s_wait_dscnt 0x0
	global_store_b32 v[36:37], v3, off
	s_cbranch_execnz .LBB4_23
.LBB4_22:                               ;   in Loop: Header=BB4_10 Depth=1
	v_lshlrev_b32_e32 v4, 2, v0
	s_wait_xcnt 0x0
	s_delay_alu instid0(VALU_DEP_1)
	v_add_nc_u64_e32 v[36:37], v[18:19], v[4:5]
	s_wait_dscnt 0x0
	global_store_b32 v[36:37], v3, off
.LBB4_23:                               ;   in Loop: Header=BB4_10 Depth=1
	s_wait_xcnt 0x0
	s_or_b32 exec_lo, exec_lo, s23
	s_and_saveexec_b32 s23, s1
	s_cbranch_execz .LBB4_27
; %bb.24:                               ;   in Loop: Header=BB4_10 Depth=1
	s_and_not1_b32 vcc_lo, exec_lo, s4
	s_cbranch_vccnz .LBB4_35
; %bb.25:                               ;   in Loop: Header=BB4_10 Depth=1
	s_wait_dscnt 0x0
	ds_load_b32 v3, v25 offset:16
	v_lshl_add_u64 v[36:37], v[12:13], 2, v[20:21]
	s_wait_dscnt 0x0
	global_store_b32 v[36:37], v3, off
	s_cbranch_execnz .LBB4_27
.LBB4_26:                               ;   in Loop: Header=BB4_10 Depth=1
	s_wait_dscnt 0x0
	s_wait_xcnt 0x0
	ds_load_b32 v3, v25 offset:16
	v_lshlrev_b32_e32 v4, 2, v0
	s_delay_alu instid0(VALU_DEP_1)
	v_add_nc_u64_e32 v[36:37], v[18:19], v[4:5]
	s_wait_dscnt 0x0
	global_store_b32 v[36:37], v3, off offset:16
.LBB4_27:                               ;   in Loop: Header=BB4_10 Depth=1
	s_wait_xcnt 0x0
	s_or_b32 exec_lo, exec_lo, s23
	s_and_saveexec_b32 s23, s2
	s_cbranch_execz .LBB4_31
; %bb.28:                               ;   in Loop: Header=BB4_10 Depth=1
	s_and_not1_b32 vcc_lo, exec_lo, s4
	s_cbranch_vccnz .LBB4_36
; %bb.29:                               ;   in Loop: Header=BB4_10 Depth=1
	s_wait_dscnt 0x0
	ds_load_b32 v3, v25 offset:32
	v_lshl_add_u64 v[36:37], v[14:15], 2, v[20:21]
	s_wait_dscnt 0x0
	global_store_b32 v[36:37], v3, off
	s_cbranch_execnz .LBB4_31
.LBB4_30:                               ;   in Loop: Header=BB4_10 Depth=1
	s_wait_dscnt 0x0
	s_wait_xcnt 0x0
	ds_load_b32 v3, v25 offset:32
	v_lshlrev_b32_e32 v4, 2, v0
	s_delay_alu instid0(VALU_DEP_1)
	v_add_nc_u64_e32 v[36:37], v[18:19], v[4:5]
	s_wait_dscnt 0x0
	global_store_b32 v[36:37], v3, off offset:32
.LBB4_31:                               ;   in Loop: Header=BB4_10 Depth=1
	s_wait_xcnt 0x0
	s_or_b32 exec_lo, exec_lo, s23
	s_and_saveexec_b32 s23, s3
	s_cbranch_execz .LBB4_8
; %bb.32:                               ;   in Loop: Header=BB4_10 Depth=1
	s_and_not1_b32 vcc_lo, exec_lo, s4
	s_cbranch_vccnz .LBB4_37
; %bb.33:                               ;   in Loop: Header=BB4_10 Depth=1
	s_wait_dscnt 0x0
	ds_load_b32 v3, v25 offset:48
	v_lshl_add_u64 v[20:21], v[16:17], 2, v[20:21]
	s_wait_dscnt 0x0
	global_store_b32 v[20:21], v3, off
	s_cbranch_execnz .LBB4_8
	s_branch .LBB4_38
.LBB4_34:                               ;   in Loop: Header=BB4_10 Depth=1
	s_branch .LBB4_22
.LBB4_35:                               ;   in Loop: Header=BB4_10 Depth=1
	s_branch .LBB4_26
.LBB4_36:                               ;   in Loop: Header=BB4_10 Depth=1
	s_branch .LBB4_30
.LBB4_37:                               ;   in Loop: Header=BB4_10 Depth=1
.LBB4_38:                               ;   in Loop: Header=BB4_10 Depth=1
	s_wait_dscnt 0x0
	s_wait_xcnt 0x0
	ds_load_b32 v3, v25 offset:48
	v_lshlrev_b32_e32 v4, 2, v0
	s_delay_alu instid0(VALU_DEP_1)
	v_add_nc_u64_e32 v[18:19], v[18:19], v[4:5]
	s_wait_dscnt 0x0
	global_store_b32 v[18:19], v3, off offset:48
	s_branch .LBB4_8
.LBB4_39:
	s_endpgm
	.section	.rodata,"a",@progbits
	.p2align	6, 0x0
	.amdhsa_kernel _ZN9rocsparseL42csr2bsr_wavefront_per_row_multipass_kernelILj256ELj64ELj16EiiiEEv20rocsparse_direction_T4_S2_S2_S2_S2_21rocsparse_index_base_PKT2_PKT3_PKS2_S3_PS4_PS7_PS2_
		.amdhsa_group_segment_fixed_size 4100
		.amdhsa_private_segment_fixed_size 0
		.amdhsa_kernarg_size 88
		.amdhsa_user_sgpr_count 2
		.amdhsa_user_sgpr_dispatch_ptr 0
		.amdhsa_user_sgpr_queue_ptr 0
		.amdhsa_user_sgpr_kernarg_segment_ptr 1
		.amdhsa_user_sgpr_dispatch_id 0
		.amdhsa_user_sgpr_kernarg_preload_length 0
		.amdhsa_user_sgpr_kernarg_preload_offset 0
		.amdhsa_user_sgpr_private_segment_size 0
		.amdhsa_wavefront_size32 1
		.amdhsa_uses_dynamic_stack 0
		.amdhsa_enable_private_segment 0
		.amdhsa_system_sgpr_workgroup_id_x 1
		.amdhsa_system_sgpr_workgroup_id_y 0
		.amdhsa_system_sgpr_workgroup_id_z 0
		.amdhsa_system_sgpr_workgroup_info 0
		.amdhsa_system_vgpr_workitem_id 0
		.amdhsa_next_free_vgpr 40
		.amdhsa_next_free_sgpr 26
		.amdhsa_named_barrier_count 0
		.amdhsa_reserve_vcc 1
		.amdhsa_float_round_mode_32 0
		.amdhsa_float_round_mode_16_64 0
		.amdhsa_float_denorm_mode_32 3
		.amdhsa_float_denorm_mode_16_64 3
		.amdhsa_fp16_overflow 0
		.amdhsa_memory_ordered 1
		.amdhsa_forward_progress 1
		.amdhsa_inst_pref_size 15
		.amdhsa_round_robin_scheduling 0
		.amdhsa_exception_fp_ieee_invalid_op 0
		.amdhsa_exception_fp_denorm_src 0
		.amdhsa_exception_fp_ieee_div_zero 0
		.amdhsa_exception_fp_ieee_overflow 0
		.amdhsa_exception_fp_ieee_underflow 0
		.amdhsa_exception_fp_ieee_inexact 0
		.amdhsa_exception_int_div_zero 0
	.end_amdhsa_kernel
	.section	.text._ZN9rocsparseL42csr2bsr_wavefront_per_row_multipass_kernelILj256ELj64ELj16EiiiEEv20rocsparse_direction_T4_S2_S2_S2_S2_21rocsparse_index_base_PKT2_PKT3_PKS2_S3_PS4_PS7_PS2_,"axG",@progbits,_ZN9rocsparseL42csr2bsr_wavefront_per_row_multipass_kernelILj256ELj64ELj16EiiiEEv20rocsparse_direction_T4_S2_S2_S2_S2_21rocsparse_index_base_PKT2_PKT3_PKS2_S3_PS4_PS7_PS2_,comdat
.Lfunc_end4:
	.size	_ZN9rocsparseL42csr2bsr_wavefront_per_row_multipass_kernelILj256ELj64ELj16EiiiEEv20rocsparse_direction_T4_S2_S2_S2_S2_21rocsparse_index_base_PKT2_PKT3_PKS2_S3_PS4_PS7_PS2_, .Lfunc_end4-_ZN9rocsparseL42csr2bsr_wavefront_per_row_multipass_kernelILj256ELj64ELj16EiiiEEv20rocsparse_direction_T4_S2_S2_S2_S2_21rocsparse_index_base_PKT2_PKT3_PKS2_S3_PS4_PS7_PS2_
                                        ; -- End function
	.set _ZN9rocsparseL42csr2bsr_wavefront_per_row_multipass_kernelILj256ELj64ELj16EiiiEEv20rocsparse_direction_T4_S2_S2_S2_S2_21rocsparse_index_base_PKT2_PKT3_PKS2_S3_PS4_PS7_PS2_.num_vgpr, 40
	.set _ZN9rocsparseL42csr2bsr_wavefront_per_row_multipass_kernelILj256ELj64ELj16EiiiEEv20rocsparse_direction_T4_S2_S2_S2_S2_21rocsparse_index_base_PKT2_PKT3_PKS2_S3_PS4_PS7_PS2_.num_agpr, 0
	.set _ZN9rocsparseL42csr2bsr_wavefront_per_row_multipass_kernelILj256ELj64ELj16EiiiEEv20rocsparse_direction_T4_S2_S2_S2_S2_21rocsparse_index_base_PKT2_PKT3_PKS2_S3_PS4_PS7_PS2_.numbered_sgpr, 26
	.set _ZN9rocsparseL42csr2bsr_wavefront_per_row_multipass_kernelILj256ELj64ELj16EiiiEEv20rocsparse_direction_T4_S2_S2_S2_S2_21rocsparse_index_base_PKT2_PKT3_PKS2_S3_PS4_PS7_PS2_.num_named_barrier, 0
	.set _ZN9rocsparseL42csr2bsr_wavefront_per_row_multipass_kernelILj256ELj64ELj16EiiiEEv20rocsparse_direction_T4_S2_S2_S2_S2_21rocsparse_index_base_PKT2_PKT3_PKS2_S3_PS4_PS7_PS2_.private_seg_size, 0
	.set _ZN9rocsparseL42csr2bsr_wavefront_per_row_multipass_kernelILj256ELj64ELj16EiiiEEv20rocsparse_direction_T4_S2_S2_S2_S2_21rocsparse_index_base_PKT2_PKT3_PKS2_S3_PS4_PS7_PS2_.uses_vcc, 1
	.set _ZN9rocsparseL42csr2bsr_wavefront_per_row_multipass_kernelILj256ELj64ELj16EiiiEEv20rocsparse_direction_T4_S2_S2_S2_S2_21rocsparse_index_base_PKT2_PKT3_PKS2_S3_PS4_PS7_PS2_.uses_flat_scratch, 0
	.set _ZN9rocsparseL42csr2bsr_wavefront_per_row_multipass_kernelILj256ELj64ELj16EiiiEEv20rocsparse_direction_T4_S2_S2_S2_S2_21rocsparse_index_base_PKT2_PKT3_PKS2_S3_PS4_PS7_PS2_.has_dyn_sized_stack, 0
	.set _ZN9rocsparseL42csr2bsr_wavefront_per_row_multipass_kernelILj256ELj64ELj16EiiiEEv20rocsparse_direction_T4_S2_S2_S2_S2_21rocsparse_index_base_PKT2_PKT3_PKS2_S3_PS4_PS7_PS2_.has_recursion, 0
	.set _ZN9rocsparseL42csr2bsr_wavefront_per_row_multipass_kernelILj256ELj64ELj16EiiiEEv20rocsparse_direction_T4_S2_S2_S2_S2_21rocsparse_index_base_PKT2_PKT3_PKS2_S3_PS4_PS7_PS2_.has_indirect_call, 0
	.section	.AMDGPU.csdata,"",@progbits
; Kernel info:
; codeLenInByte = 1860
; TotalNumSgprs: 28
; NumVgprs: 40
; ScratchSize: 0
; MemoryBound: 0
; FloatMode: 240
; IeeeMode: 1
; LDSByteSize: 4100 bytes/workgroup (compile time only)
; SGPRBlocks: 0
; VGPRBlocks: 2
; NumSGPRsForWavesPerEU: 28
; NumVGPRsForWavesPerEU: 40
; NamedBarCnt: 0
; Occupancy: 16
; WaveLimiterHint : 0
; COMPUTE_PGM_RSRC2:SCRATCH_EN: 0
; COMPUTE_PGM_RSRC2:USER_SGPR: 2
; COMPUTE_PGM_RSRC2:TRAP_HANDLER: 0
; COMPUTE_PGM_RSRC2:TGID_X_EN: 1
; COMPUTE_PGM_RSRC2:TGID_Y_EN: 0
; COMPUTE_PGM_RSRC2:TGID_Z_EN: 0
; COMPUTE_PGM_RSRC2:TIDIG_COMP_CNT: 0
	.section	.text._ZN9rocsparseL42csr2bsr_wavefront_per_row_multipass_kernelILj256ELj32ELj16EiiiEEv20rocsparse_direction_T4_S2_S2_S2_S2_21rocsparse_index_base_PKT2_PKT3_PKS2_S3_PS4_PS7_PS2_,"axG",@progbits,_ZN9rocsparseL42csr2bsr_wavefront_per_row_multipass_kernelILj256ELj32ELj16EiiiEEv20rocsparse_direction_T4_S2_S2_S2_S2_21rocsparse_index_base_PKT2_PKT3_PKS2_S3_PS4_PS7_PS2_,comdat
	.globl	_ZN9rocsparseL42csr2bsr_wavefront_per_row_multipass_kernelILj256ELj32ELj16EiiiEEv20rocsparse_direction_T4_S2_S2_S2_S2_21rocsparse_index_base_PKT2_PKT3_PKS2_S3_PS4_PS7_PS2_ ; -- Begin function _ZN9rocsparseL42csr2bsr_wavefront_per_row_multipass_kernelILj256ELj32ELj16EiiiEEv20rocsparse_direction_T4_S2_S2_S2_S2_21rocsparse_index_base_PKT2_PKT3_PKS2_S3_PS4_PS7_PS2_
	.p2align	8
	.type	_ZN9rocsparseL42csr2bsr_wavefront_per_row_multipass_kernelILj256ELj32ELj16EiiiEEv20rocsparse_direction_T4_S2_S2_S2_S2_21rocsparse_index_base_PKT2_PKT3_PKS2_S3_PS4_PS7_PS2_,@function
_ZN9rocsparseL42csr2bsr_wavefront_per_row_multipass_kernelILj256ELj32ELj16EiiiEEv20rocsparse_direction_T4_S2_S2_S2_S2_21rocsparse_index_base_PKT2_PKT3_PKS2_S3_PS4_PS7_PS2_: ; @_ZN9rocsparseL42csr2bsr_wavefront_per_row_multipass_kernelILj256ELj32ELj16EiiiEEv20rocsparse_direction_T4_S2_S2_S2_S2_21rocsparse_index_base_PKT2_PKT3_PKS2_S3_PS4_PS7_PS2_
; %bb.0:
	s_clause 0x1
	s_load_b128 s[8:11], s[0:1], 0xc
	s_load_b64 s[4:5], s[0:1], 0x0
	s_bfe_u32 s2, ttmp6, 0x4000c
	s_and_b32 s3, ttmp6, 15
	s_add_co_i32 s2, s2, 1
	s_getreg_b32 s6, hwreg(HW_REG_IB_STS2, 6, 4)
	s_mul_i32 s2, ttmp9, s2
	v_dual_mov_b32 v2, 0 :: v_dual_lshrrev_b32 v1, 5, v0
	s_add_co_i32 s3, s3, s2
	s_cmp_eq_u32 s6, 0
	v_bfe_u32 v3, v0, 1, 4
	s_cselect_b32 s2, ttmp9, s3
	s_load_b64 s[6:7], s[0:1], 0x28
	v_lshl_or_b32 v4, s2, 3, v1
	v_mov_b32_e32 v42, 0
	s_wait_kmcnt 0x0
	s_delay_alu instid0(VALU_DEP_2) | instskip(SKIP_1) | instid1(VALU_DEP_2)
	v_mad_u32 v5, v4, s10, v3
	v_cmp_gt_i32_e32 vcc_lo, s10, v3
	v_cmp_gt_i32_e64 s2, s5, v5
	s_and_b32 s2, vcc_lo, s2
	s_delay_alu instid0(SALU_CYCLE_1)
	s_and_saveexec_b32 s3, s2
	s_cbranch_execz .LBB5_2
; %bb.1:
	global_load_b32 v6, v5, s[6:7] scale_offset
	s_wait_loadcnt 0x0
	v_subrev_nc_u32_e32 v42, s11, v6
.LBB5_2:
	s_or_b32 exec_lo, exec_lo, s3
	v_mov_b32_e32 v32, 0
	s_and_saveexec_b32 s3, s2
	s_cbranch_execz .LBB5_4
; %bb.3:
	global_load_b32 v5, v5, s[6:7] offset:4 scale_offset
	s_wait_loadcnt 0x0
	v_subrev_nc_u32_e32 v32, s11, v5
.LBB5_4:
	s_or_b32 exec_lo, exec_lo, s3
	s_load_b32 s22, s[0:1], 0x38
	s_mov_b32 s3, exec_lo
	v_cmpx_gt_i32_e64 s8, v4
	s_cbranch_execz .LBB5_6
; %bb.5:
	s_load_b64 s[6:7], s[0:1], 0x48
	s_wait_kmcnt 0x0
	global_load_b32 v2, v4, s[6:7] scale_offset
	s_wait_loadcnt 0x0
	v_subrev_nc_u32_e32 v2, s22, v2
.LBB5_6:
	s_or_b32 exec_lo, exec_lo, s3
	s_cmp_lt_i32 s9, 1
	s_cbranch_scc1 .LBB5_59
; %bb.7:
	v_mbcnt_lo_u32_b32 v9, -1, 0
	s_load_b64 s[2:3], s[0:1], 0x40
	v_lshlrev_b32_e32 v4, 6, v3
	s_clause 0x2
	s_load_b64 s[12:13], s[0:1], 0x50
	s_load_b64 s[14:15], s[0:1], 0x30
	;; [unrolled: 1-line block ×3, first 2 shown]
	s_mov_b32 s19, 0
	v_xor_b32_e32 v5, 1, v9
	s_cmp_lg_u32 s4, 0
	v_lshl_or_b32 v33, v1, 10, v4
	s_mov_b32 s18, s10
	s_cselect_b32 s8, -1, 0
	s_wait_xcnt 0x0
	v_cmp_gt_i32_e64 s0, 32, v5
	v_and_b32_e32 v0, 1, v0
	s_mul_u64 s[20:21], s[18:19], s[18:19]
	s_lshl_b32 s18, s10, 1
	v_lshl_or_b32 v34, v9, 2, 4
	v_dual_cndmask_b32 v4, v9, v5, s0 :: v_dual_mov_b32 v5, 0
	v_xor_b32_e32 v8, 16, v9
	s_abs_i32 s23, s10
	v_or_b32_e32 v24, 14, v0
	s_delay_alu instid0(VALU_DEP_3) | instskip(NEXT) | instid1(VALU_DEP_3)
	v_dual_lshlrev_b32 v36, 2, v4 :: v_dual_lshlrev_b32 v4, 2, v3
	v_cmp_gt_i32_e64 s0, 32, v8
	s_cvt_f32_u32 s6, s23
	v_mov_b32_e32 v25, v5
	v_cmp_gt_u32_e64 s7, s10, v24
	s_wait_kmcnt 0x0
	v_add_nc_u64_e32 v[6:7], s[2:3], v[4:5]
	v_mul_lo_u32 v4, s10, v3
	v_dual_cndmask_b32 v12, v9, v8, s0 :: v_dual_bitop2_b32 v3, 8, v9 bitop3:0x14
	v_mul_lo_u32 v8, v0, s10
	v_lshl_or_b32 v35, v0, 2, v33
	v_mov_b32_e32 v27, 0
	s_delay_alu instid0(VALU_DEP_4) | instskip(SKIP_4) | instid1(VALU_DEP_2)
	v_cmp_gt_i32_e64 s0, 32, v3
	v_xor_b32_e32 v10, 4, v9
	s_and_b32 s7, vcc_lo, s7
	s_mov_b32 s26, s19
	v_dual_lshlrev_b32 v37, 2, v12 :: v_dual_cndmask_b32 v3, v9, v3, s0
	v_cmp_gt_i32_e64 s0, 32, v10
	v_dual_add_nc_u32 v12, s18, v8 :: v_dual_bitop2_b32 v11, 2, v9 bitop3:0x14
	v_dual_mov_b32 v15, v5 :: v_dual_mov_b32 v17, v5
	s_delay_alu instid0(VALU_DEP_3) | instskip(NEXT) | instid1(VALU_DEP_3)
	v_cndmask_b32_e64 v13, v9, v10, s0
	v_cmp_gt_i32_e64 s0, 32, v11
	v_dual_lshlrev_b32 v38, 2, v3 :: v_dual_bitop2_b32 v3, 2, v0 bitop3:0x54
	s_delay_alu instid0(VALU_DEP_3) | instskip(NEXT) | instid1(VALU_DEP_3)
	v_dual_mov_b32 v19, v5 :: v_dual_lshlrev_b32 v39, 2, v13
	v_cndmask_b32_e64 v9, v9, v11, s0
	v_lshl_add_u64 v[10:11], v[4:5], 2, s[2:3]
	v_dual_mov_b32 v13, v5 :: v_dual_bitop2_b32 v4, 4, v0 bitop3:0x54
	s_delay_alu instid0(VALU_DEP_3) | instskip(SKIP_1) | instid1(VALU_DEP_3)
	v_dual_add_nc_u32 v14, s18, v12 :: v_dual_lshlrev_b32 v40, 2, v9
	v_mov_b32_e32 v41, 0x7c
	v_cmp_gt_u32_e64 s2, s10, v4
	v_dual_mov_b32 v9, v5 :: v_dual_bitop2_b32 v4, 8, v0 bitop3:0x54
	v_cmp_gt_u32_e64 s1, s10, v3
	v_dual_add_nc_u32 v16, s18, v14 :: v_dual_bitop2_b32 v3, 6, v0 bitop3:0x54
	s_delay_alu instid0(VALU_DEP_3) | instskip(SKIP_2) | instid1(VALU_DEP_3)
	v_cmp_gt_u32_e64 s4, s10, v4
	v_rcp_iflag_f32_e32 v4, s6
	v_cmp_gt_u32_e64 s0, s10, v0
	v_cmp_gt_u32_e64 s3, s10, v3
	v_dual_mov_b32 v21, v5 :: v_dual_add_nc_u32 v18, s18, v16
	v_or_b32_e32 v3, 10, v0
	s_and_b32 s24, s0, vcc_lo
	s_delay_alu instid0(TRANS32_DEP_1) | instskip(NEXT) | instid1(VALU_DEP_3)
	v_readfirstlane_b32 s25, v4
	v_dual_mov_b32 v43, 1 :: v_dual_add_nc_u32 v20, s18, v18
	s_delay_alu instid0(VALU_DEP_3) | instskip(SKIP_4) | instid1(VALU_DEP_3)
	v_cmp_gt_u32_e64 s5, s10, v3
	v_dual_mov_b32 v23, v5 :: v_dual_bitop2_b32 v3, 12, v0 bitop3:0x54
	s_mul_f32 s0, s25, 0x4f7ffffe
	v_add_nc_u32_e32 v22, s18, v20
	v_lshlrev_b32_e32 v26, 2, v0
	v_cmp_gt_u32_e64 s6, s10, v3
	s_cvt_u32_f32 s0, s0
	s_and_b32 s1, vcc_lo, s1
	v_add_nc_u32_e32 v24, s18, v22
	s_sub_co_i32 s18, 0, s23
	s_and_b32 s2, vcc_lo, s2
	s_mul_i32 s18, s18, s0
	s_and_b32 s3, vcc_lo, s3
	s_mul_hi_u32 s18, s0, s18
	s_and_b32 s4, vcc_lo, s4
	s_and_b32 s5, vcc_lo, s5
	;; [unrolled: 1-line block ×3, first 2 shown]
	s_ashr_i32 s25, s10, 31
	s_add_co_i32 s18, s0, s18
	s_branch .LBB5_10
.LBB5_8:                                ;   in Loop: Header=BB5_10 Depth=1
	s_wait_xcnt 0x0
	s_or_b32 exec_lo, exec_lo, s27
	s_wait_dscnt 0x0
	v_mov_b32_e32 v3, 1
.LBB5_9:                                ;   in Loop: Header=BB5_10 Depth=1
	s_or_b32 exec_lo, exec_lo, s0
	ds_bpermute_b32 v4, v37, v44
	s_wait_storecnt_dscnt 0x0
	v_dual_add_nc_u32 v2, v3, v2 :: v_dual_min_i32 v4, v4, v44
	ds_bpermute_b32 v27, v38, v4
	s_wait_dscnt 0x0
	v_min_i32_e32 v4, v27, v4
	ds_bpermute_b32 v27, v39, v4
	s_wait_dscnt 0x0
	v_min_i32_e32 v4, v27, v4
	;; [unrolled: 3-line block ×4, first 2 shown]
	ds_bpermute_b32 v27, v41, v4
	s_wait_dscnt 0x0
	v_cmp_le_i32_e32 vcc_lo, s9, v27
	s_or_b32 s26, vcc_lo, s26
	s_delay_alu instid0(SALU_CYCLE_1)
	s_and_not1_b32 exec_lo, exec_lo, s26
	s_cbranch_execz .LBB5_59
.LBB5_10:                               ; =>This Loop Header: Depth=1
                                        ;     Child Loop BB5_13 Depth 2
	v_dual_add_nc_u32 v28, v42, v0 :: v_dual_mov_b32 v44, s9
	v_mov_b32_e32 v29, v32
	s_mov_b32 s27, exec_lo
	ds_store_b8 v1, v5 offset:8192
	ds_store_2addr_b32 v35, v5, v5 offset1:2
	ds_store_2addr_b32 v35, v5, v5 offset0:4 offset1:6
	ds_store_2addr_b32 v35, v5, v5 offset0:8 offset1:10
	;; [unrolled: 1-line block ×3, first 2 shown]
	s_wait_dscnt 0x0
	v_cmpx_lt_i32_e64 v28, v32
	s_cbranch_execz .LBB5_18
; %bb.11:                               ;   in Loop: Header=BB5_10 Depth=1
	v_mul_lo_u32 v3, v27, s10
	v_dual_mov_b32 v44, s9 :: v_dual_mov_b32 v29, v32
	s_mov_b32 s28, 0
	s_branch .LBB5_13
.LBB5_12:                               ;   in Loop: Header=BB5_13 Depth=2
	s_wait_xcnt 0x0
	s_or_b32 exec_lo, exec_lo, s0
	v_add_nc_u32_e32 v28, 2, v28
	s_xor_b32 s29, vcc_lo, -1
	s_delay_alu instid0(VALU_DEP_1) | instskip(SKIP_1) | instid1(SALU_CYCLE_1)
	v_cmp_ge_i32_e64 s0, v28, v32
	s_or_b32 s0, s29, s0
	s_and_b32 s0, exec_lo, s0
	s_delay_alu instid0(SALU_CYCLE_1) | instskip(NEXT) | instid1(SALU_CYCLE_1)
	s_or_b32 s28, s0, s28
	s_and_not1_b32 exec_lo, exec_lo, s28
	s_cbranch_execz .LBB5_17
.LBB5_13:                               ;   Parent Loop BB5_10 Depth=1
                                        ; =>  This Inner Loop Header: Depth=2
	global_load_b32 v4, v28, s[14:15] scale_offset
	s_wait_loadcnt 0x0
	v_subrev_nc_u32_e32 v30, s11, v4
	s_delay_alu instid0(VALU_DEP_1) | instskip(NEXT) | instid1(VALU_DEP_1)
	v_dual_sub_nc_u32 v4, 0, v30 :: v_dual_ashrrev_i32 v45, 31, v30
	v_max_i32_e32 v4, v30, v4
	s_delay_alu instid0(VALU_DEP_1) | instskip(NEXT) | instid1(VALU_DEP_1)
	v_mul_u64_e32 v[46:47], s[18:19], v[4:5]
	v_mul_lo_u32 v31, v47, s23
	s_delay_alu instid0(VALU_DEP_1) | instskip(SKIP_1) | instid1(VALU_DEP_2)
	v_sub_nc_u32_e32 v4, v4, v31
	v_add_nc_u32_e32 v31, 1, v47
	v_subrev_nc_u32_e32 v42, s23, v4
	v_cmp_le_u32_e32 vcc_lo, s23, v4
	s_delay_alu instid0(VALU_DEP_2) | instskip(NEXT) | instid1(VALU_DEP_1)
	v_dual_cndmask_b32 v31, v47, v31 :: v_dual_cndmask_b32 v4, v4, v42
	v_add_nc_u32_e32 v42, 1, v31
	s_delay_alu instid0(VALU_DEP_2) | instskip(NEXT) | instid1(VALU_DEP_2)
	v_cmp_le_u32_e32 vcc_lo, s23, v4
	v_dual_cndmask_b32 v4, v31, v42, vcc_lo :: v_dual_bitop2_b32 v45, s25, v45 bitop3:0x14
	s_delay_alu instid0(VALU_DEP_1) | instskip(NEXT) | instid1(VALU_DEP_1)
	v_xor_b32_e32 v4, v4, v45
	v_dual_mov_b32 v4, v29 :: v_dual_sub_nc_u32 v31, v4, v45
	s_delay_alu instid0(VALU_DEP_1) | instskip(SKIP_3) | instid1(SALU_CYCLE_1)
	v_cmp_ne_u32_e64 s0, v31, v27
	v_cmp_eq_u32_e32 vcc_lo, v31, v27
	s_wait_xcnt 0x0
	s_and_saveexec_b32 s29, s0
	s_xor_b32 s0, exec_lo, s29
; %bb.14:                               ;   in Loop: Header=BB5_13 Depth=2
	v_min_i32_e32 v44, v31, v44
                                        ; implicit-def: $vgpr30
                                        ; implicit-def: $vgpr4
; %bb.15:                               ;   in Loop: Header=BB5_13 Depth=2
	s_or_saveexec_b32 s0, s0
	v_mov_b32_e32 v29, v28
	s_xor_b32 exec_lo, exec_lo, s0
	s_cbranch_execz .LBB5_12
; %bb.16:                               ;   in Loop: Header=BB5_13 Depth=2
	v_ashrrev_i32_e32 v29, 31, v28
	s_delay_alu instid0(VALU_DEP_1)
	v_lshl_add_u64 v[46:47], v[28:29], 2, s[16:17]
	v_sub_nc_u32_e32 v29, v30, v3
	global_load_b32 v31, v[46:47], off
	v_lshl_add_u32 v30, v29, 2, v33
	v_mov_b32_e32 v29, v4
	ds_store_b8 v1, v43 offset:8192
	s_wait_loadcnt 0x0
	ds_store_b32 v30, v31
	s_branch .LBB5_12
.LBB5_17:                               ;   in Loop: Header=BB5_10 Depth=1
	s_or_b32 exec_lo, exec_lo, s28
.LBB5_18:                               ;   in Loop: Header=BB5_10 Depth=1
	s_delay_alu instid0(SALU_CYCLE_1)
	s_or_b32 exec_lo, exec_lo, s27
	ds_bpermute_b32 v3, v36, v29
	s_wait_dscnt 0x0
	ds_load_u8 v4, v1 offset:8192
	v_min_i32_e32 v3, v3, v29
	ds_bpermute_b32 v42, v34, v3
	s_wait_dscnt 0x1
	v_and_b32_e32 v3, 1, v4
	s_delay_alu instid0(VALU_DEP_1)
	v_cmp_eq_u32_e32 vcc_lo, 1, v3
	v_mov_b32_e32 v3, 0
	s_and_saveexec_b32 s0, vcc_lo
	s_cbranch_execz .LBB5_9
; %bb.19:                               ;   in Loop: Header=BB5_10 Depth=1
	v_ashrrev_i32_e32 v3, 31, v2
	s_delay_alu instid0(VALU_DEP_1) | instskip(SKIP_3) | instid1(VALU_DEP_1)
	v_mul_u64_e32 v[28:29], s[20:21], v[2:3]
	v_add_nc_u32_e32 v3, s22, v27
	global_store_b32 v2, v3, s[12:13] scale_offset
	v_lshlrev_b64_e32 v[28:29], 2, v[28:29]
	v_add_nc_u64_e32 v[30:31], v[6:7], v[28:29]
	v_add_nc_u64_e32 v[28:29], v[10:11], v[28:29]
	s_wait_xcnt 0x0
	s_and_saveexec_b32 s27, s24
	s_cbranch_execz .LBB5_23
; %bb.20:                               ;   in Loop: Header=BB5_10 Depth=1
	ds_load_b32 v3, v35
	s_and_b32 vcc_lo, exec_lo, s8
	s_cbranch_vccz .LBB5_50
; %bb.21:                               ;   in Loop: Header=BB5_10 Depth=1
	v_lshl_add_u64 v[46:47], v[8:9], 2, v[30:31]
	s_wait_dscnt 0x0
	global_store_b32 v[46:47], v3, off
	s_cbranch_execnz .LBB5_23
.LBB5_22:                               ;   in Loop: Header=BB5_10 Depth=1
	v_mov_b32_e32 v27, v5
	s_wait_xcnt 0x0
	s_delay_alu instid0(VALU_DEP_1)
	v_add_nc_u64_e32 v[46:47], v[28:29], v[26:27]
	s_wait_dscnt 0x0
	global_store_b32 v[46:47], v3, off
.LBB5_23:                               ;   in Loop: Header=BB5_10 Depth=1
	s_wait_xcnt 0x0
	s_or_b32 exec_lo, exec_lo, s27
	s_and_saveexec_b32 s27, s1
	s_cbranch_execz .LBB5_27
; %bb.24:                               ;   in Loop: Header=BB5_10 Depth=1
	s_and_not1_b32 vcc_lo, exec_lo, s8
	s_cbranch_vccnz .LBB5_51
; %bb.25:                               ;   in Loop: Header=BB5_10 Depth=1
	s_wait_dscnt 0x0
	ds_load_b32 v3, v35 offset:8
	v_lshl_add_u64 v[46:47], v[12:13], 2, v[30:31]
	s_wait_dscnt 0x0
	global_store_b32 v[46:47], v3, off
	s_cbranch_execnz .LBB5_27
.LBB5_26:                               ;   in Loop: Header=BB5_10 Depth=1
	s_wait_dscnt 0x0
	s_wait_xcnt 0x0
	ds_load_b32 v3, v35 offset:8
	v_mov_b32_e32 v27, v5
	s_delay_alu instid0(VALU_DEP_1)
	v_add_nc_u64_e32 v[46:47], v[28:29], v[26:27]
	s_wait_dscnt 0x0
	global_store_b32 v[46:47], v3, off offset:8
.LBB5_27:                               ;   in Loop: Header=BB5_10 Depth=1
	s_wait_xcnt 0x0
	s_or_b32 exec_lo, exec_lo, s27
	s_and_saveexec_b32 s27, s2
	s_cbranch_execz .LBB5_31
; %bb.28:                               ;   in Loop: Header=BB5_10 Depth=1
	s_and_not1_b32 vcc_lo, exec_lo, s8
	s_cbranch_vccnz .LBB5_52
; %bb.29:                               ;   in Loop: Header=BB5_10 Depth=1
	s_wait_dscnt 0x0
	ds_load_b32 v3, v35 offset:16
	v_lshl_add_u64 v[46:47], v[14:15], 2, v[30:31]
	s_wait_dscnt 0x0
	global_store_b32 v[46:47], v3, off
	s_cbranch_execnz .LBB5_31
.LBB5_30:                               ;   in Loop: Header=BB5_10 Depth=1
	s_wait_dscnt 0x0
	s_wait_xcnt 0x0
	ds_load_b32 v3, v35 offset:16
	v_mov_b32_e32 v27, v5
	s_delay_alu instid0(VALU_DEP_1)
	v_add_nc_u64_e32 v[46:47], v[28:29], v[26:27]
	s_wait_dscnt 0x0
	global_store_b32 v[46:47], v3, off offset:16
.LBB5_31:                               ;   in Loop: Header=BB5_10 Depth=1
	s_wait_xcnt 0x0
	s_or_b32 exec_lo, exec_lo, s27
	s_and_saveexec_b32 s27, s3
	s_cbranch_execz .LBB5_35
; %bb.32:                               ;   in Loop: Header=BB5_10 Depth=1
	s_and_not1_b32 vcc_lo, exec_lo, s8
	s_cbranch_vccnz .LBB5_53
; %bb.33:                               ;   in Loop: Header=BB5_10 Depth=1
	s_wait_dscnt 0x0
	ds_load_b32 v3, v35 offset:24
	v_lshl_add_u64 v[46:47], v[16:17], 2, v[30:31]
	s_wait_dscnt 0x0
	global_store_b32 v[46:47], v3, off
	s_cbranch_execnz .LBB5_35
.LBB5_34:                               ;   in Loop: Header=BB5_10 Depth=1
	s_wait_dscnt 0x0
	s_wait_xcnt 0x0
	ds_load_b32 v3, v35 offset:24
	v_mov_b32_e32 v27, v5
	s_delay_alu instid0(VALU_DEP_1)
	v_add_nc_u64_e32 v[46:47], v[28:29], v[26:27]
	s_wait_dscnt 0x0
	global_store_b32 v[46:47], v3, off offset:24
.LBB5_35:                               ;   in Loop: Header=BB5_10 Depth=1
	s_wait_xcnt 0x0
	s_or_b32 exec_lo, exec_lo, s27
	s_and_saveexec_b32 s27, s4
	s_cbranch_execz .LBB5_39
; %bb.36:                               ;   in Loop: Header=BB5_10 Depth=1
	s_and_not1_b32 vcc_lo, exec_lo, s8
	s_cbranch_vccnz .LBB5_54
; %bb.37:                               ;   in Loop: Header=BB5_10 Depth=1
	s_wait_dscnt 0x0
	ds_load_b32 v3, v35 offset:32
	v_lshl_add_u64 v[46:47], v[18:19], 2, v[30:31]
	s_wait_dscnt 0x0
	global_store_b32 v[46:47], v3, off
	s_cbranch_execnz .LBB5_39
.LBB5_38:                               ;   in Loop: Header=BB5_10 Depth=1
	s_wait_dscnt 0x0
	s_wait_xcnt 0x0
	ds_load_b32 v3, v35 offset:32
	v_mov_b32_e32 v27, v5
	s_delay_alu instid0(VALU_DEP_1)
	v_add_nc_u64_e32 v[46:47], v[28:29], v[26:27]
	s_wait_dscnt 0x0
	global_store_b32 v[46:47], v3, off offset:32
.LBB5_39:                               ;   in Loop: Header=BB5_10 Depth=1
	s_wait_xcnt 0x0
	s_or_b32 exec_lo, exec_lo, s27
	s_and_saveexec_b32 s27, s5
	s_cbranch_execz .LBB5_43
; %bb.40:                               ;   in Loop: Header=BB5_10 Depth=1
	s_and_not1_b32 vcc_lo, exec_lo, s8
	s_cbranch_vccnz .LBB5_55
; %bb.41:                               ;   in Loop: Header=BB5_10 Depth=1
	s_wait_dscnt 0x0
	ds_load_b32 v3, v35 offset:40
	v_lshl_add_u64 v[46:47], v[20:21], 2, v[30:31]
	s_wait_dscnt 0x0
	global_store_b32 v[46:47], v3, off
	s_cbranch_execnz .LBB5_43
.LBB5_42:                               ;   in Loop: Header=BB5_10 Depth=1
	s_wait_dscnt 0x0
	s_wait_xcnt 0x0
	ds_load_b32 v3, v35 offset:40
	v_mov_b32_e32 v27, v5
	s_delay_alu instid0(VALU_DEP_1)
	v_add_nc_u64_e32 v[46:47], v[28:29], v[26:27]
	s_wait_dscnt 0x0
	global_store_b32 v[46:47], v3, off offset:40
.LBB5_43:                               ;   in Loop: Header=BB5_10 Depth=1
	s_wait_xcnt 0x0
	s_or_b32 exec_lo, exec_lo, s27
	s_and_saveexec_b32 s27, s6
	s_cbranch_execz .LBB5_47
; %bb.44:                               ;   in Loop: Header=BB5_10 Depth=1
	s_and_not1_b32 vcc_lo, exec_lo, s8
	s_cbranch_vccnz .LBB5_56
; %bb.45:                               ;   in Loop: Header=BB5_10 Depth=1
	s_wait_dscnt 0x0
	ds_load_b32 v3, v35 offset:48
	v_lshl_add_u64 v[46:47], v[22:23], 2, v[30:31]
	s_wait_dscnt 0x0
	global_store_b32 v[46:47], v3, off
	s_cbranch_execnz .LBB5_47
.LBB5_46:                               ;   in Loop: Header=BB5_10 Depth=1
	s_wait_dscnt 0x0
	s_wait_xcnt 0x0
	ds_load_b32 v3, v35 offset:48
	v_mov_b32_e32 v27, v5
	s_delay_alu instid0(VALU_DEP_1)
	v_add_nc_u64_e32 v[46:47], v[28:29], v[26:27]
	s_wait_dscnt 0x0
	global_store_b32 v[46:47], v3, off offset:48
.LBB5_47:                               ;   in Loop: Header=BB5_10 Depth=1
	s_wait_xcnt 0x0
	s_or_b32 exec_lo, exec_lo, s27
	s_and_saveexec_b32 s27, s7
	s_cbranch_execz .LBB5_8
; %bb.48:                               ;   in Loop: Header=BB5_10 Depth=1
	s_and_not1_b32 vcc_lo, exec_lo, s8
	s_cbranch_vccnz .LBB5_57
; %bb.49:                               ;   in Loop: Header=BB5_10 Depth=1
	s_wait_dscnt 0x0
	ds_load_b32 v3, v35 offset:56
	v_lshl_add_u64 v[30:31], v[24:25], 2, v[30:31]
	s_wait_dscnt 0x0
	global_store_b32 v[30:31], v3, off
	s_cbranch_execnz .LBB5_8
	s_branch .LBB5_58
.LBB5_50:                               ;   in Loop: Header=BB5_10 Depth=1
	s_branch .LBB5_22
.LBB5_51:                               ;   in Loop: Header=BB5_10 Depth=1
	s_branch .LBB5_26
.LBB5_52:                               ;   in Loop: Header=BB5_10 Depth=1
	s_branch .LBB5_30
.LBB5_53:                               ;   in Loop: Header=BB5_10 Depth=1
	s_branch .LBB5_34
.LBB5_54:                               ;   in Loop: Header=BB5_10 Depth=1
	s_branch .LBB5_38
.LBB5_55:                               ;   in Loop: Header=BB5_10 Depth=1
	s_branch .LBB5_42
.LBB5_56:                               ;   in Loop: Header=BB5_10 Depth=1
	s_branch .LBB5_46
.LBB5_57:                               ;   in Loop: Header=BB5_10 Depth=1
.LBB5_58:                               ;   in Loop: Header=BB5_10 Depth=1
	s_wait_dscnt 0x0
	s_wait_xcnt 0x0
	ds_load_b32 v3, v35 offset:56
	v_mov_b32_e32 v27, v5
	s_delay_alu instid0(VALU_DEP_1)
	v_add_nc_u64_e32 v[28:29], v[28:29], v[26:27]
	s_wait_dscnt 0x0
	global_store_b32 v[28:29], v3, off offset:56
	s_branch .LBB5_8
.LBB5_59:
	s_endpgm
	.section	.rodata,"a",@progbits
	.p2align	6, 0x0
	.amdhsa_kernel _ZN9rocsparseL42csr2bsr_wavefront_per_row_multipass_kernelILj256ELj32ELj16EiiiEEv20rocsparse_direction_T4_S2_S2_S2_S2_21rocsparse_index_base_PKT2_PKT3_PKS2_S3_PS4_PS7_PS2_
		.amdhsa_group_segment_fixed_size 8200
		.amdhsa_private_segment_fixed_size 0
		.amdhsa_kernarg_size 88
		.amdhsa_user_sgpr_count 2
		.amdhsa_user_sgpr_dispatch_ptr 0
		.amdhsa_user_sgpr_queue_ptr 0
		.amdhsa_user_sgpr_kernarg_segment_ptr 1
		.amdhsa_user_sgpr_dispatch_id 0
		.amdhsa_user_sgpr_kernarg_preload_length 0
		.amdhsa_user_sgpr_kernarg_preload_offset 0
		.amdhsa_user_sgpr_private_segment_size 0
		.amdhsa_wavefront_size32 1
		.amdhsa_uses_dynamic_stack 0
		.amdhsa_enable_private_segment 0
		.amdhsa_system_sgpr_workgroup_id_x 1
		.amdhsa_system_sgpr_workgroup_id_y 0
		.amdhsa_system_sgpr_workgroup_id_z 0
		.amdhsa_system_sgpr_workgroup_info 0
		.amdhsa_system_vgpr_workitem_id 0
		.amdhsa_next_free_vgpr 48
		.amdhsa_next_free_sgpr 30
		.amdhsa_named_barrier_count 0
		.amdhsa_reserve_vcc 1
		.amdhsa_float_round_mode_32 0
		.amdhsa_float_round_mode_16_64 0
		.amdhsa_float_denorm_mode_32 3
		.amdhsa_float_denorm_mode_16_64 3
		.amdhsa_fp16_overflow 0
		.amdhsa_memory_ordered 1
		.amdhsa_forward_progress 1
		.amdhsa_inst_pref_size 19
		.amdhsa_round_robin_scheduling 0
		.amdhsa_exception_fp_ieee_invalid_op 0
		.amdhsa_exception_fp_denorm_src 0
		.amdhsa_exception_fp_ieee_div_zero 0
		.amdhsa_exception_fp_ieee_overflow 0
		.amdhsa_exception_fp_ieee_underflow 0
		.amdhsa_exception_fp_ieee_inexact 0
		.amdhsa_exception_int_div_zero 0
	.end_amdhsa_kernel
	.section	.text._ZN9rocsparseL42csr2bsr_wavefront_per_row_multipass_kernelILj256ELj32ELj16EiiiEEv20rocsparse_direction_T4_S2_S2_S2_S2_21rocsparse_index_base_PKT2_PKT3_PKS2_S3_PS4_PS7_PS2_,"axG",@progbits,_ZN9rocsparseL42csr2bsr_wavefront_per_row_multipass_kernelILj256ELj32ELj16EiiiEEv20rocsparse_direction_T4_S2_S2_S2_S2_21rocsparse_index_base_PKT2_PKT3_PKS2_S3_PS4_PS7_PS2_,comdat
.Lfunc_end5:
	.size	_ZN9rocsparseL42csr2bsr_wavefront_per_row_multipass_kernelILj256ELj32ELj16EiiiEEv20rocsparse_direction_T4_S2_S2_S2_S2_21rocsparse_index_base_PKT2_PKT3_PKS2_S3_PS4_PS7_PS2_, .Lfunc_end5-_ZN9rocsparseL42csr2bsr_wavefront_per_row_multipass_kernelILj256ELj32ELj16EiiiEEv20rocsparse_direction_T4_S2_S2_S2_S2_21rocsparse_index_base_PKT2_PKT3_PKS2_S3_PS4_PS7_PS2_
                                        ; -- End function
	.set _ZN9rocsparseL42csr2bsr_wavefront_per_row_multipass_kernelILj256ELj32ELj16EiiiEEv20rocsparse_direction_T4_S2_S2_S2_S2_21rocsparse_index_base_PKT2_PKT3_PKS2_S3_PS4_PS7_PS2_.num_vgpr, 48
	.set _ZN9rocsparseL42csr2bsr_wavefront_per_row_multipass_kernelILj256ELj32ELj16EiiiEEv20rocsparse_direction_T4_S2_S2_S2_S2_21rocsparse_index_base_PKT2_PKT3_PKS2_S3_PS4_PS7_PS2_.num_agpr, 0
	.set _ZN9rocsparseL42csr2bsr_wavefront_per_row_multipass_kernelILj256ELj32ELj16EiiiEEv20rocsparse_direction_T4_S2_S2_S2_S2_21rocsparse_index_base_PKT2_PKT3_PKS2_S3_PS4_PS7_PS2_.numbered_sgpr, 30
	.set _ZN9rocsparseL42csr2bsr_wavefront_per_row_multipass_kernelILj256ELj32ELj16EiiiEEv20rocsparse_direction_T4_S2_S2_S2_S2_21rocsparse_index_base_PKT2_PKT3_PKS2_S3_PS4_PS7_PS2_.num_named_barrier, 0
	.set _ZN9rocsparseL42csr2bsr_wavefront_per_row_multipass_kernelILj256ELj32ELj16EiiiEEv20rocsparse_direction_T4_S2_S2_S2_S2_21rocsparse_index_base_PKT2_PKT3_PKS2_S3_PS4_PS7_PS2_.private_seg_size, 0
	.set _ZN9rocsparseL42csr2bsr_wavefront_per_row_multipass_kernelILj256ELj32ELj16EiiiEEv20rocsparse_direction_T4_S2_S2_S2_S2_21rocsparse_index_base_PKT2_PKT3_PKS2_S3_PS4_PS7_PS2_.uses_vcc, 1
	.set _ZN9rocsparseL42csr2bsr_wavefront_per_row_multipass_kernelILj256ELj32ELj16EiiiEEv20rocsparse_direction_T4_S2_S2_S2_S2_21rocsparse_index_base_PKT2_PKT3_PKS2_S3_PS4_PS7_PS2_.uses_flat_scratch, 0
	.set _ZN9rocsparseL42csr2bsr_wavefront_per_row_multipass_kernelILj256ELj32ELj16EiiiEEv20rocsparse_direction_T4_S2_S2_S2_S2_21rocsparse_index_base_PKT2_PKT3_PKS2_S3_PS4_PS7_PS2_.has_dyn_sized_stack, 0
	.set _ZN9rocsparseL42csr2bsr_wavefront_per_row_multipass_kernelILj256ELj32ELj16EiiiEEv20rocsparse_direction_T4_S2_S2_S2_S2_21rocsparse_index_base_PKT2_PKT3_PKS2_S3_PS4_PS7_PS2_.has_recursion, 0
	.set _ZN9rocsparseL42csr2bsr_wavefront_per_row_multipass_kernelILj256ELj32ELj16EiiiEEv20rocsparse_direction_T4_S2_S2_S2_S2_21rocsparse_index_base_PKT2_PKT3_PKS2_S3_PS4_PS7_PS2_.has_indirect_call, 0
	.section	.AMDGPU.csdata,"",@progbits
; Kernel info:
; codeLenInByte = 2392
; TotalNumSgprs: 32
; NumVgprs: 48
; ScratchSize: 0
; MemoryBound: 0
; FloatMode: 240
; IeeeMode: 1
; LDSByteSize: 8200 bytes/workgroup (compile time only)
; SGPRBlocks: 0
; VGPRBlocks: 2
; NumSGPRsForWavesPerEU: 32
; NumVGPRsForWavesPerEU: 48
; NamedBarCnt: 0
; Occupancy: 16
; WaveLimiterHint : 0
; COMPUTE_PGM_RSRC2:SCRATCH_EN: 0
; COMPUTE_PGM_RSRC2:USER_SGPR: 2
; COMPUTE_PGM_RSRC2:TRAP_HANDLER: 0
; COMPUTE_PGM_RSRC2:TGID_X_EN: 1
; COMPUTE_PGM_RSRC2:TGID_Y_EN: 0
; COMPUTE_PGM_RSRC2:TGID_Z_EN: 0
; COMPUTE_PGM_RSRC2:TIDIG_COMP_CNT: 0
	.section	.text._ZN9rocsparseL38csr2bsr_block_per_row_multipass_kernelILj256ELj32EiiiEEv20rocsparse_direction_T3_S2_S2_S2_S2_21rocsparse_index_base_PKT1_PKT2_PKS2_S3_PS4_PS7_PS2_,"axG",@progbits,_ZN9rocsparseL38csr2bsr_block_per_row_multipass_kernelILj256ELj32EiiiEEv20rocsparse_direction_T3_S2_S2_S2_S2_21rocsparse_index_base_PKT1_PKT2_PKS2_S3_PS4_PS7_PS2_,comdat
	.globl	_ZN9rocsparseL38csr2bsr_block_per_row_multipass_kernelILj256ELj32EiiiEEv20rocsparse_direction_T3_S2_S2_S2_S2_21rocsparse_index_base_PKT1_PKT2_PKS2_S3_PS4_PS7_PS2_ ; -- Begin function _ZN9rocsparseL38csr2bsr_block_per_row_multipass_kernelILj256ELj32EiiiEEv20rocsparse_direction_T3_S2_S2_S2_S2_21rocsparse_index_base_PKT1_PKT2_PKS2_S3_PS4_PS7_PS2_
	.p2align	8
	.type	_ZN9rocsparseL38csr2bsr_block_per_row_multipass_kernelILj256ELj32EiiiEEv20rocsparse_direction_T3_S2_S2_S2_S2_21rocsparse_index_base_PKT1_PKT2_PKS2_S3_PS4_PS7_PS2_,@function
_ZN9rocsparseL38csr2bsr_block_per_row_multipass_kernelILj256ELj32EiiiEEv20rocsparse_direction_T3_S2_S2_S2_S2_21rocsparse_index_base_PKT1_PKT2_PKS2_S3_PS4_PS7_PS2_: ; @_ZN9rocsparseL38csr2bsr_block_per_row_multipass_kernelILj256ELj32EiiiEEv20rocsparse_direction_T3_S2_S2_S2_S2_21rocsparse_index_base_PKT1_PKT2_PKS2_S3_PS4_PS7_PS2_
; %bb.0:
	s_clause 0x1
	s_load_b96 s[12:14], s[0:1], 0x10
	s_load_b64 s[28:29], s[0:1], 0x0
	s_bfe_u32 s2, ttmp6, 0x4000c
	s_and_b32 s3, ttmp6, 15
	s_add_co_i32 s2, s2, 1
	s_getreg_b32 s4, hwreg(HW_REG_IB_STS2, 6, 4)
	s_mul_i32 s2, ttmp9, s2
	v_dual_mov_b32 v18, 0 :: v_dual_lshrrev_b32 v1, 3, v0
	s_add_co_i32 s3, s3, s2
	s_cmp_eq_u32 s4, 0
	s_load_b64 s[4:5], s[0:1], 0x28
	s_cselect_b32 s6, ttmp9, s3
	v_mov_b32_e32 v26, 0
	s_wait_kmcnt 0x0
	v_mad_u32 v2, s13, s6, v1
	v_cmp_gt_i32_e32 vcc_lo, s13, v1
	s_delay_alu instid0(VALU_DEP_2) | instskip(SKIP_1) | instid1(SALU_CYCLE_1)
	v_cmp_gt_i32_e64 s2, s29, v2
	s_and_b32 s2, vcc_lo, s2
	s_and_saveexec_b32 s3, s2
	s_cbranch_execnz .LBB6_3
; %bb.1:
	s_or_b32 exec_lo, exec_lo, s3
	s_and_saveexec_b32 s3, s2
	s_cbranch_execnz .LBB6_4
.LBB6_2:
	s_or_b32 exec_lo, exec_lo, s3
	s_cmp_lt_i32 s12, 1
	s_cbranch_scc0 .LBB6_5
	s_branch .LBB6_53
.LBB6_3:
	global_load_b32 v3, v2, s[4:5] scale_offset
	s_wait_loadcnt 0x0
	v_subrev_nc_u32_e32 v26, s14, v3
	s_or_b32 exec_lo, exec_lo, s3
	s_and_saveexec_b32 s3, s2
	s_cbranch_execz .LBB6_2
.LBB6_4:
	global_load_b32 v2, v2, s[4:5] offset:4 scale_offset
	s_wait_loadcnt 0x0
	v_subrev_nc_u32_e32 v18, s14, v2
	s_or_b32 exec_lo, exec_lo, s3
	s_cmp_lt_i32 s12, 1
	s_cbranch_scc1 .LBB6_53
.LBB6_5:
	s_clause 0x3
	s_load_b128 s[8:11], s[0:1], 0x40
	s_load_b64 s[20:21], s[0:1], 0x50
	s_load_b96 s[16:18], s[0:1], 0x30
	s_load_b64 s[22:23], s[0:1], 0x20
	s_ashr_i32 s7, s6, 31
	v_mbcnt_lo_u32_b32 v6, -1, 0
	s_lshl_b64 s[6:7], s[6:7], 2
	v_dual_mov_b32 v3, 0 :: v_dual_lshlrev_b32 v2, 2, v1
	v_dual_lshlrev_b32 v20, 7, v1 :: v_dual_bitop2_b32 v19, 7, v0 bitop3:0x40
	s_delay_alu instid0(VALU_DEP_3)
	v_xor_b32_e32 v8, 2, v6
	v_xor_b32_e32 v7, 4, v6
	s_mov_b32 s25, 0
	s_mov_b32 s24, s13
	v_lshl_or_b32 v22, v6, 2, 28
	v_dual_lshlrev_b32 v21, 2, v0 :: v_dual_lshlrev_b32 v14, 2, v19
	s_wait_xcnt 0x0
	v_cmp_gt_u32_e64 s0, 0x80, v0
	v_cmp_gt_u32_e64 s1, 64, v0
	s_wait_kmcnt 0x0
	s_add_nc_u64 s[10:11], s[10:11], s[6:7]
	v_cmp_gt_i32_e64 s7, 32, v7
	s_load_b32 s15, s[10:11], 0x0
	v_add_nc_u64_e32 v[4:5], s[8:9], v[2:3]
	v_mul_lo_u32 v2, s13, v1
	v_dual_mov_b32 v15, v3 :: v_dual_bitop2_b32 v1, 1, v6 bitop3:0x14
	v_cndmask_b32_e64 v7, v6, v7, s7
	v_cmp_gt_i32_e64 s7, 32, v8
	s_wait_xcnt 0x0
	s_mul_u64 s[10:11], s[24:25], s[24:25]
	v_cmp_gt_u32_e64 s2, 32, v0
	v_cmp_gt_u32_e64 s3, 16, v0
	;; [unrolled: 1-line block ×3, first 2 shown]
	v_cndmask_b32_e64 v8, v6, v8, s7
	v_cmp_gt_i32_e64 s7, 32, v1
	v_lshlrev_b32_e32 v23, 2, v7
	v_cmp_gt_u32_e64 s5, 4, v0
	v_cmp_gt_u32_e64 s6, 2, v0
	s_delay_alu instid0(VALU_DEP_4)
	v_dual_cndmask_b32 v1, v6, v1, s7 :: v_dual_bitop2_b32 v10, 24, v19 bitop3:0x54
	v_lshlrev_b32_e32 v24, 2, v8
	v_mul_lo_u32 v8, v19, s13
	s_wait_kmcnt 0x0
	s_sub_co_i32 s26, s15, s18
	s_cmp_lg_u32 s28, 0
	v_lshlrev_b32_e32 v25, 2, v1
	s_cselect_b32 s15, -1, 0
	s_abs_i32 s19, s13
	v_dual_mov_b32 v9, v3 :: v_dual_bitop2_b32 v1, 8, v19 bitop3:0x54
	s_cvt_f32_u32 s24, s19
	v_lshl_add_u64 v[6:7], v[2:3], 2, s[8:9]
	v_cmp_gt_u32_e64 s8, s13, v19
	s_delay_alu instid0(VALU_DEP_3)
	v_cmp_gt_u32_e64 s9, s13, v1
	v_rcp_iflag_f32_e32 v1, s24
	s_lshl_b32 s24, s13, 3
	v_or_b32_e32 v2, 16, v19
	v_cmp_eq_u32_e64 s7, 0, v0
	v_add_nc_u32_e32 v0, s24, v8
	s_and_b32 s28, vcc_lo, s8
	s_and_b32 s29, vcc_lo, s9
	v_readfirstlane_b32 s27, v1
	v_cmp_gt_u32_e64 s8, s13, v2
	v_mov_b32_e32 v1, v3
	v_cmp_gt_u32_e64 s9, s13, v10
	v_dual_mov_b32 v11, v3 :: v_dual_add_nc_u32 v10, s24, v0
	s_mul_f32 s27, s27, 0x4f7ffffe
	s_and_b32 s30, vcc_lo, s8
	v_add_nc_u64_e32 v[6:7], v[6:7], v[14:15]
	s_delay_alu instid0(VALU_DEP_2) | instskip(SKIP_3) | instid1(SALU_CYCLE_1)
	v_dual_mov_b32 v13, v3 :: v_dual_add_nc_u32 v12, s24, v10
	s_cvt_u32_f32 s8, s27
	s_sub_co_i32 s24, 0, s19
	v_dual_mov_b32 v28, 1 :: v_dual_add_nc_u32 v27, v14, v20
	s_mul_i32 s24, s24, s8
	v_mov_b32_e32 v16, 0
	s_mul_hi_u32 s24, s8, s24
	s_and_b32 s9, vcc_lo, s9
	s_ashr_i32 s31, s13, 31
	s_add_co_i32 s24, s8, s24
	s_branch .LBB6_7
.LBB6_6:                                ;   in Loop: Header=BB6_7 Depth=1
	s_or_b32 exec_lo, exec_lo, s27
	s_wait_dscnt 0x0
	s_barrier_signal -1
	s_barrier_wait -1
	ds_load_b32 v16, v3
	s_add_co_i32 s26, s8, s26
	s_wait_dscnt 0x0
	s_barrier_signal -1
	s_barrier_wait -1
	v_cmp_gt_i32_e32 vcc_lo, s12, v16
	s_cbranch_vccz .LBB6_53
.LBB6_7:                                ; =>This Loop Header: Depth=1
                                        ;     Child Loop BB6_10 Depth 2
	v_dual_mov_b32 v29, s12 :: v_dual_add_nc_u32 v14, v26, v19
	v_mov_b32_e32 v15, v18
	s_mov_b32 s27, exec_lo
	ds_store_b8 v3, v3 offset:4096
	ds_store_2addr_b32 v27, v3, v3 offset1:8
	ds_store_2addr_b32 v27, v3, v3 offset0:16 offset1:24
	s_wait_dscnt 0x0
	s_barrier_signal -1
	s_barrier_wait -1
	v_cmpx_lt_i32_e64 v14, v18
	s_cbranch_execz .LBB6_15
; %bb.8:                                ;   in Loop: Header=BB6_7 Depth=1
	v_mul_lo_u32 v17, v16, s13
	v_dual_mov_b32 v29, s12 :: v_dual_mov_b32 v15, v18
	s_mov_b32 s33, 0
	s_branch .LBB6_10
.LBB6_9:                                ;   in Loop: Header=BB6_10 Depth=2
	s_wait_xcnt 0x0
	s_or_b32 exec_lo, exec_lo, s8
	v_add_nc_u32_e32 v14, 8, v14
	s_xor_b32 s34, vcc_lo, -1
	s_delay_alu instid0(VALU_DEP_1) | instskip(SKIP_1) | instid1(SALU_CYCLE_1)
	v_cmp_ge_i32_e64 s8, v14, v18
	s_or_b32 s8, s34, s8
	s_and_b32 s8, exec_lo, s8
	s_delay_alu instid0(SALU_CYCLE_1) | instskip(NEXT) | instid1(SALU_CYCLE_1)
	s_or_b32 s33, s8, s33
	s_and_not1_b32 exec_lo, exec_lo, s33
	s_cbranch_execz .LBB6_14
.LBB6_10:                               ;   Parent Loop BB6_7 Depth=1
                                        ; =>  This Inner Loop Header: Depth=2
	global_load_b32 v2, v14, s[16:17] scale_offset
	s_wait_loadcnt 0x0
	v_subrev_nc_u32_e32 v26, s14, v2
	s_delay_alu instid0(VALU_DEP_1) | instskip(NEXT) | instid1(VALU_DEP_1)
	v_sub_nc_u32_e32 v2, 0, v26
	v_max_i32_e32 v2, v26, v2
	s_delay_alu instid0(VALU_DEP_1) | instskip(NEXT) | instid1(VALU_DEP_1)
	v_mul_u64_e32 v[30:31], s[24:25], v[2:3]
	v_mul_lo_u32 v30, v31, s19
	s_delay_alu instid0(VALU_DEP_1) | instskip(NEXT) | instid1(VALU_DEP_1)
	v_dual_sub_nc_u32 v2, v2, v30 :: v_dual_add_nc_u32 v30, 1, v31
	v_cmp_le_u32_e32 vcc_lo, s19, v2
	s_delay_alu instid0(VALU_DEP_2) | instskip(SKIP_1) | instid1(VALU_DEP_1)
	v_cndmask_b32_e32 v30, v31, v30, vcc_lo
	v_subrev_nc_u32_e32 v32, s19, v2
	v_dual_cndmask_b32 v2, v2, v32 :: v_dual_ashrrev_i32 v31, 31, v26
	s_delay_alu instid0(VALU_DEP_1) | instskip(NEXT) | instid1(VALU_DEP_2)
	v_dual_add_nc_u32 v32, 1, v30 :: v_dual_bitop2_b32 v31, s31, v31 bitop3:0x14
	v_cmp_le_u32_e32 vcc_lo, s19, v2
	s_delay_alu instid0(VALU_DEP_2) | instskip(NEXT) | instid1(VALU_DEP_1)
	v_cndmask_b32_e32 v2, v30, v32, vcc_lo
	v_xor_b32_e32 v2, v2, v31
	s_delay_alu instid0(VALU_DEP_1) | instskip(NEXT) | instid1(VALU_DEP_1)
	v_dual_sub_nc_u32 v30, v2, v31 :: v_dual_mov_b32 v2, v15
	v_cmp_ne_u32_e64 s8, v30, v16
	v_cmp_eq_u32_e32 vcc_lo, v30, v16
	s_wait_xcnt 0x0
	s_and_saveexec_b32 s34, s8
	s_delay_alu instid0(SALU_CYCLE_1)
	s_xor_b32 s8, exec_lo, s34
; %bb.11:                               ;   in Loop: Header=BB6_10 Depth=2
	v_min_i32_e32 v29, v30, v29
                                        ; implicit-def: $vgpr26
                                        ; implicit-def: $vgpr2
; %bb.12:                               ;   in Loop: Header=BB6_10 Depth=2
	s_or_saveexec_b32 s8, s8
	v_mov_b32_e32 v15, v14
	s_xor_b32 exec_lo, exec_lo, s8
	s_cbranch_execz .LBB6_9
; %bb.13:                               ;   in Loop: Header=BB6_10 Depth=2
	v_ashrrev_i32_e32 v15, 31, v14
	s_delay_alu instid0(VALU_DEP_1)
	v_lshl_add_u64 v[30:31], v[14:15], 2, s[22:23]
	v_sub_nc_u32_e32 v15, v26, v17
	global_load_b32 v30, v[30:31], off
	v_lshl_add_u32 v26, v15, 2, v20
	v_mov_b32_e32 v15, v2
	ds_store_b8 v3, v28 offset:4096
	s_wait_loadcnt 0x0
	ds_store_b32 v26, v30
	s_branch .LBB6_9
.LBB6_14:                               ;   in Loop: Header=BB6_7 Depth=1
	s_or_b32 exec_lo, exec_lo, s33
.LBB6_15:                               ;   in Loop: Header=BB6_7 Depth=1
	s_delay_alu instid0(SALU_CYCLE_1)
	s_or_b32 exec_lo, exec_lo, s27
	ds_bpermute_b32 v2, v23, v15
	s_wait_dscnt 0x0
	s_barrier_signal -1
	s_barrier_wait -1
	s_mov_b32 s8, 0
	v_min_i32_e32 v2, v2, v15
	ds_load_u8 v15, v3 offset:4096
	ds_bpermute_b32 v14, v24, v2
	s_wait_dscnt 0x0
	v_min_i32_e32 v2, v14, v2
	ds_bpermute_b32 v14, v25, v2
	s_wait_dscnt 0x0
	v_min_i32_e32 v2, v14, v2
	ds_bpermute_b32 v26, v22, v2
	v_and_b32_e32 v2, 1, v15
	s_delay_alu instid0(VALU_DEP_1)
	v_cmp_eq_u32_e32 vcc_lo, 0, v2
	s_cbranch_vccnz .LBB6_33
; %bb.16:                               ;   in Loop: Header=BB6_7 Depth=1
	s_ashr_i32 s27, s26, 31
	v_dual_add_nc_u32 v2, s18, v16 :: v_dual_mov_b32 v30, s26
	s_mul_u64 s[34:35], s[10:11], s[26:27]
	s_delay_alu instid0(SALU_CYCLE_1) | instskip(NEXT) | instid1(SALU_CYCLE_1)
	s_lshl_b64 s[34:35], s[34:35], 2
	v_add_nc_u64_e32 v[16:17], s[34:35], v[4:5]
	v_add_nc_u64_e32 v[14:15], s[34:35], v[6:7]
	global_store_b32 v30, v2, s[20:21] scale_offset
	s_wait_xcnt 0x0
	s_and_saveexec_b32 s8, s28
	s_cbranch_execz .LBB6_20
; %bb.17:                               ;   in Loop: Header=BB6_7 Depth=1
	ds_load_b32 v2, v27
	s_and_b32 vcc_lo, exec_lo, s15
	s_cbranch_vccz .LBB6_49
; %bb.18:                               ;   in Loop: Header=BB6_7 Depth=1
	v_lshl_add_u64 v[30:31], v[8:9], 2, v[16:17]
	s_wait_dscnt 0x0
	global_store_b32 v[30:31], v2, off
	s_cbranch_execnz .LBB6_20
.LBB6_19:                               ;   in Loop: Header=BB6_7 Depth=1
	s_wait_dscnt 0x0
	global_store_b32 v[14:15], v2, off
.LBB6_20:                               ;   in Loop: Header=BB6_7 Depth=1
	s_wait_xcnt 0x0
	s_or_b32 exec_lo, exec_lo, s8
	s_and_saveexec_b32 s8, s29
	s_cbranch_execz .LBB6_24
; %bb.21:                               ;   in Loop: Header=BB6_7 Depth=1
	s_wait_dscnt 0x0
	ds_load_b32 v2, v27 offset:32
	s_and_not1_b32 vcc_lo, exec_lo, s15
	s_cbranch_vccnz .LBB6_50
; %bb.22:                               ;   in Loop: Header=BB6_7 Depth=1
	v_lshl_add_u64 v[30:31], v[0:1], 2, v[16:17]
	s_wait_dscnt 0x0
	global_store_b32 v[30:31], v2, off
	s_cbranch_execnz .LBB6_24
.LBB6_23:                               ;   in Loop: Header=BB6_7 Depth=1
	s_wait_dscnt 0x0
	global_store_b32 v[14:15], v2, off offset:32
.LBB6_24:                               ;   in Loop: Header=BB6_7 Depth=1
	s_wait_xcnt 0x0
	s_or_b32 exec_lo, exec_lo, s8
	s_and_saveexec_b32 s8, s30
	s_cbranch_execz .LBB6_28
; %bb.25:                               ;   in Loop: Header=BB6_7 Depth=1
	s_wait_dscnt 0x0
	ds_load_b32 v2, v27 offset:64
	s_and_not1_b32 vcc_lo, exec_lo, s15
	s_cbranch_vccnz .LBB6_51
; %bb.26:                               ;   in Loop: Header=BB6_7 Depth=1
	v_lshl_add_u64 v[30:31], v[10:11], 2, v[16:17]
	s_wait_dscnt 0x0
	global_store_b32 v[30:31], v2, off
	s_cbranch_execnz .LBB6_28
.LBB6_27:                               ;   in Loop: Header=BB6_7 Depth=1
	s_wait_dscnt 0x0
	global_store_b32 v[14:15], v2, off offset:64
.LBB6_28:                               ;   in Loop: Header=BB6_7 Depth=1
	s_wait_xcnt 0x0
	s_or_b32 exec_lo, exec_lo, s8
	s_and_saveexec_b32 s8, s9
	s_cbranch_execz .LBB6_32
; %bb.29:                               ;   in Loop: Header=BB6_7 Depth=1
	s_wait_dscnt 0x0
	ds_load_b32 v2, v27 offset:96
	s_and_not1_b32 vcc_lo, exec_lo, s15
	s_cbranch_vccnz .LBB6_52
; %bb.30:                               ;   in Loop: Header=BB6_7 Depth=1
	v_lshl_add_u64 v[16:17], v[12:13], 2, v[16:17]
	s_wait_dscnt 0x0
	global_store_b32 v[16:17], v2, off
	s_cbranch_execnz .LBB6_32
.LBB6_31:                               ;   in Loop: Header=BB6_7 Depth=1
	s_wait_dscnt 0x0
	global_store_b32 v[14:15], v2, off offset:96
.LBB6_32:                               ;   in Loop: Header=BB6_7 Depth=1
	s_wait_xcnt 0x0
	s_or_b32 exec_lo, exec_lo, s8
	s_mov_b32 s8, 1
.LBB6_33:                               ;   in Loop: Header=BB6_7 Depth=1
	s_wait_storecnt_dscnt 0x0
	s_barrier_signal -1
	s_barrier_wait -1
	ds_store_b32 v21, v29
	s_wait_dscnt 0x0
	s_barrier_signal -1
	s_barrier_wait -1
	s_and_saveexec_b32 s27, s0
	s_cbranch_execz .LBB6_35
; %bb.34:                               ;   in Loop: Header=BB6_7 Depth=1
	ds_load_2addr_stride64_b32 v[14:15], v21 offset1:2
	s_wait_dscnt 0x0
	v_min_i32_e32 v2, v15, v14
	ds_store_b32 v21, v2
.LBB6_35:                               ;   in Loop: Header=BB6_7 Depth=1
	s_or_b32 exec_lo, exec_lo, s27
	s_wait_dscnt 0x0
	s_barrier_signal -1
	s_barrier_wait -1
	s_and_saveexec_b32 s27, s1
	s_cbranch_execz .LBB6_37
; %bb.36:                               ;   in Loop: Header=BB6_7 Depth=1
	ds_load_2addr_stride64_b32 v[14:15], v21 offset1:1
	s_wait_dscnt 0x0
	v_min_i32_e32 v2, v15, v14
	ds_store_b32 v21, v2
.LBB6_37:                               ;   in Loop: Header=BB6_7 Depth=1
	s_or_b32 exec_lo, exec_lo, s27
	s_wait_dscnt 0x0
	s_barrier_signal -1
	s_barrier_wait -1
	s_and_saveexec_b32 s27, s2
	s_cbranch_execz .LBB6_39
; %bb.38:                               ;   in Loop: Header=BB6_7 Depth=1
	ds_load_2addr_b32 v[14:15], v21 offset1:32
	s_wait_dscnt 0x0
	v_min_i32_e32 v2, v15, v14
	ds_store_b32 v21, v2
.LBB6_39:                               ;   in Loop: Header=BB6_7 Depth=1
	s_or_b32 exec_lo, exec_lo, s27
	s_wait_dscnt 0x0
	s_barrier_signal -1
	s_barrier_wait -1
	s_and_saveexec_b32 s27, s3
	s_cbranch_execz .LBB6_41
; %bb.40:                               ;   in Loop: Header=BB6_7 Depth=1
	ds_load_2addr_b32 v[14:15], v21 offset1:16
	s_wait_dscnt 0x0
	v_min_i32_e32 v2, v15, v14
	ds_store_b32 v21, v2
.LBB6_41:                               ;   in Loop: Header=BB6_7 Depth=1
	;; [unrolled: 12-line block ×5, first 2 shown]
	s_or_b32 exec_lo, exec_lo, s27
	s_wait_dscnt 0x0
	s_barrier_signal -1
	s_barrier_wait -1
	s_and_saveexec_b32 s27, s7
	s_cbranch_execz .LBB6_6
; %bb.48:                               ;   in Loop: Header=BB6_7 Depth=1
	ds_load_b64 v[14:15], v3
	s_wait_dscnt 0x0
	v_min_i32_e32 v2, v15, v14
	ds_store_b32 v3, v2
	s_branch .LBB6_6
.LBB6_49:                               ;   in Loop: Header=BB6_7 Depth=1
	s_branch .LBB6_19
.LBB6_50:                               ;   in Loop: Header=BB6_7 Depth=1
	s_branch .LBB6_23
.LBB6_51:                               ;   in Loop: Header=BB6_7 Depth=1
	s_branch .LBB6_27
.LBB6_52:                               ;   in Loop: Header=BB6_7 Depth=1
	s_branch .LBB6_31
.LBB6_53:
	s_endpgm
	.section	.rodata,"a",@progbits
	.p2align	6, 0x0
	.amdhsa_kernel _ZN9rocsparseL38csr2bsr_block_per_row_multipass_kernelILj256ELj32EiiiEEv20rocsparse_direction_T3_S2_S2_S2_S2_21rocsparse_index_base_PKT1_PKT2_PKS2_S3_PS4_PS7_PS2_
		.amdhsa_group_segment_fixed_size 4100
		.amdhsa_private_segment_fixed_size 0
		.amdhsa_kernarg_size 88
		.amdhsa_user_sgpr_count 2
		.amdhsa_user_sgpr_dispatch_ptr 0
		.amdhsa_user_sgpr_queue_ptr 0
		.amdhsa_user_sgpr_kernarg_segment_ptr 1
		.amdhsa_user_sgpr_dispatch_id 0
		.amdhsa_user_sgpr_kernarg_preload_length 0
		.amdhsa_user_sgpr_kernarg_preload_offset 0
		.amdhsa_user_sgpr_private_segment_size 0
		.amdhsa_wavefront_size32 1
		.amdhsa_uses_dynamic_stack 0
		.amdhsa_enable_private_segment 0
		.amdhsa_system_sgpr_workgroup_id_x 1
		.amdhsa_system_sgpr_workgroup_id_y 0
		.amdhsa_system_sgpr_workgroup_id_z 0
		.amdhsa_system_sgpr_workgroup_info 0
		.amdhsa_system_vgpr_workitem_id 0
		.amdhsa_next_free_vgpr 33
		.amdhsa_next_free_sgpr 36
		.amdhsa_named_barrier_count 0
		.amdhsa_reserve_vcc 1
		.amdhsa_float_round_mode_32 0
		.amdhsa_float_round_mode_16_64 0
		.amdhsa_float_denorm_mode_32 3
		.amdhsa_float_denorm_mode_16_64 3
		.amdhsa_fp16_overflow 0
		.amdhsa_memory_ordered 1
		.amdhsa_forward_progress 1
		.amdhsa_inst_pref_size 17
		.amdhsa_round_robin_scheduling 0
		.amdhsa_exception_fp_ieee_invalid_op 0
		.amdhsa_exception_fp_denorm_src 0
		.amdhsa_exception_fp_ieee_div_zero 0
		.amdhsa_exception_fp_ieee_overflow 0
		.amdhsa_exception_fp_ieee_underflow 0
		.amdhsa_exception_fp_ieee_inexact 0
		.amdhsa_exception_int_div_zero 0
	.end_amdhsa_kernel
	.section	.text._ZN9rocsparseL38csr2bsr_block_per_row_multipass_kernelILj256ELj32EiiiEEv20rocsparse_direction_T3_S2_S2_S2_S2_21rocsparse_index_base_PKT1_PKT2_PKS2_S3_PS4_PS7_PS2_,"axG",@progbits,_ZN9rocsparseL38csr2bsr_block_per_row_multipass_kernelILj256ELj32EiiiEEv20rocsparse_direction_T3_S2_S2_S2_S2_21rocsparse_index_base_PKT1_PKT2_PKS2_S3_PS4_PS7_PS2_,comdat
.Lfunc_end6:
	.size	_ZN9rocsparseL38csr2bsr_block_per_row_multipass_kernelILj256ELj32EiiiEEv20rocsparse_direction_T3_S2_S2_S2_S2_21rocsparse_index_base_PKT1_PKT2_PKS2_S3_PS4_PS7_PS2_, .Lfunc_end6-_ZN9rocsparseL38csr2bsr_block_per_row_multipass_kernelILj256ELj32EiiiEEv20rocsparse_direction_T3_S2_S2_S2_S2_21rocsparse_index_base_PKT1_PKT2_PKS2_S3_PS4_PS7_PS2_
                                        ; -- End function
	.set _ZN9rocsparseL38csr2bsr_block_per_row_multipass_kernelILj256ELj32EiiiEEv20rocsparse_direction_T3_S2_S2_S2_S2_21rocsparse_index_base_PKT1_PKT2_PKS2_S3_PS4_PS7_PS2_.num_vgpr, 33
	.set _ZN9rocsparseL38csr2bsr_block_per_row_multipass_kernelILj256ELj32EiiiEEv20rocsparse_direction_T3_S2_S2_S2_S2_21rocsparse_index_base_PKT1_PKT2_PKS2_S3_PS4_PS7_PS2_.num_agpr, 0
	.set _ZN9rocsparseL38csr2bsr_block_per_row_multipass_kernelILj256ELj32EiiiEEv20rocsparse_direction_T3_S2_S2_S2_S2_21rocsparse_index_base_PKT1_PKT2_PKS2_S3_PS4_PS7_PS2_.numbered_sgpr, 36
	.set _ZN9rocsparseL38csr2bsr_block_per_row_multipass_kernelILj256ELj32EiiiEEv20rocsparse_direction_T3_S2_S2_S2_S2_21rocsparse_index_base_PKT1_PKT2_PKS2_S3_PS4_PS7_PS2_.num_named_barrier, 0
	.set _ZN9rocsparseL38csr2bsr_block_per_row_multipass_kernelILj256ELj32EiiiEEv20rocsparse_direction_T3_S2_S2_S2_S2_21rocsparse_index_base_PKT1_PKT2_PKS2_S3_PS4_PS7_PS2_.private_seg_size, 0
	.set _ZN9rocsparseL38csr2bsr_block_per_row_multipass_kernelILj256ELj32EiiiEEv20rocsparse_direction_T3_S2_S2_S2_S2_21rocsparse_index_base_PKT1_PKT2_PKS2_S3_PS4_PS7_PS2_.uses_vcc, 1
	.set _ZN9rocsparseL38csr2bsr_block_per_row_multipass_kernelILj256ELj32EiiiEEv20rocsparse_direction_T3_S2_S2_S2_S2_21rocsparse_index_base_PKT1_PKT2_PKS2_S3_PS4_PS7_PS2_.uses_flat_scratch, 0
	.set _ZN9rocsparseL38csr2bsr_block_per_row_multipass_kernelILj256ELj32EiiiEEv20rocsparse_direction_T3_S2_S2_S2_S2_21rocsparse_index_base_PKT1_PKT2_PKS2_S3_PS4_PS7_PS2_.has_dyn_sized_stack, 0
	.set _ZN9rocsparseL38csr2bsr_block_per_row_multipass_kernelILj256ELj32EiiiEEv20rocsparse_direction_T3_S2_S2_S2_S2_21rocsparse_index_base_PKT1_PKT2_PKS2_S3_PS4_PS7_PS2_.has_recursion, 0
	.set _ZN9rocsparseL38csr2bsr_block_per_row_multipass_kernelILj256ELj32EiiiEEv20rocsparse_direction_T3_S2_S2_S2_S2_21rocsparse_index_base_PKT1_PKT2_PKS2_S3_PS4_PS7_PS2_.has_indirect_call, 0
	.section	.AMDGPU.csdata,"",@progbits
; Kernel info:
; codeLenInByte = 2052
; TotalNumSgprs: 38
; NumVgprs: 33
; ScratchSize: 0
; MemoryBound: 0
; FloatMode: 240
; IeeeMode: 1
; LDSByteSize: 4100 bytes/workgroup (compile time only)
; SGPRBlocks: 0
; VGPRBlocks: 2
; NumSGPRsForWavesPerEU: 38
; NumVGPRsForWavesPerEU: 33
; NamedBarCnt: 0
; Occupancy: 16
; WaveLimiterHint : 0
; COMPUTE_PGM_RSRC2:SCRATCH_EN: 0
; COMPUTE_PGM_RSRC2:USER_SGPR: 2
; COMPUTE_PGM_RSRC2:TRAP_HANDLER: 0
; COMPUTE_PGM_RSRC2:TGID_X_EN: 1
; COMPUTE_PGM_RSRC2:TGID_Y_EN: 0
; COMPUTE_PGM_RSRC2:TGID_Z_EN: 0
; COMPUTE_PGM_RSRC2:TIDIG_COMP_CNT: 0
	.section	.text._ZN9rocsparseL38csr2bsr_block_per_row_multipass_kernelILj256ELj64EiiiEEv20rocsparse_direction_T3_S2_S2_S2_S2_21rocsparse_index_base_PKT1_PKT2_PKS2_S3_PS4_PS7_PS2_,"axG",@progbits,_ZN9rocsparseL38csr2bsr_block_per_row_multipass_kernelILj256ELj64EiiiEEv20rocsparse_direction_T3_S2_S2_S2_S2_21rocsparse_index_base_PKT1_PKT2_PKS2_S3_PS4_PS7_PS2_,comdat
	.globl	_ZN9rocsparseL38csr2bsr_block_per_row_multipass_kernelILj256ELj64EiiiEEv20rocsparse_direction_T3_S2_S2_S2_S2_21rocsparse_index_base_PKT1_PKT2_PKS2_S3_PS4_PS7_PS2_ ; -- Begin function _ZN9rocsparseL38csr2bsr_block_per_row_multipass_kernelILj256ELj64EiiiEEv20rocsparse_direction_T3_S2_S2_S2_S2_21rocsparse_index_base_PKT1_PKT2_PKS2_S3_PS4_PS7_PS2_
	.p2align	8
	.type	_ZN9rocsparseL38csr2bsr_block_per_row_multipass_kernelILj256ELj64EiiiEEv20rocsparse_direction_T3_S2_S2_S2_S2_21rocsparse_index_base_PKT1_PKT2_PKS2_S3_PS4_PS7_PS2_,@function
_ZN9rocsparseL38csr2bsr_block_per_row_multipass_kernelILj256ELj64EiiiEEv20rocsparse_direction_T3_S2_S2_S2_S2_21rocsparse_index_base_PKT1_PKT2_PKS2_S3_PS4_PS7_PS2_: ; @_ZN9rocsparseL38csr2bsr_block_per_row_multipass_kernelILj256ELj64EiiiEEv20rocsparse_direction_T3_S2_S2_S2_S2_21rocsparse_index_base_PKT1_PKT2_PKS2_S3_PS4_PS7_PS2_
; %bb.0:
	s_clause 0x1
	s_load_b96 s[16:18], s[0:1], 0x10
	s_load_b64 s[28:29], s[0:1], 0x0
	s_bfe_u32 s2, ttmp6, 0x4000c
	s_and_b32 s3, ttmp6, 15
	s_add_co_i32 s2, s2, 1
	s_getreg_b32 s4, hwreg(HW_REG_IB_STS2, 6, 4)
	s_mul_i32 s2, ttmp9, s2
	v_dual_lshrrev_b32 v4, 2, v0 :: v_dual_mov_b32 v42, 0
	s_add_co_i32 s3, s3, s2
	s_cmp_eq_u32 s4, 0
	s_load_b64 s[4:5], s[0:1], 0x28
	s_cselect_b32 s6, ttmp9, s3
	v_mov_b32_e32 v49, 0
	s_wait_kmcnt 0x0
	v_mad_u32 v1, s17, s6, v4
	v_cmp_gt_i32_e32 vcc_lo, s17, v4
	s_delay_alu instid0(VALU_DEP_2) | instskip(SKIP_1) | instid1(SALU_CYCLE_1)
	v_cmp_gt_i32_e64 s2, s29, v1
	s_and_b32 s2, vcc_lo, s2
	s_and_saveexec_b32 s3, s2
	s_cbranch_execnz .LBB7_3
; %bb.1:
	s_or_b32 exec_lo, exec_lo, s3
	s_and_saveexec_b32 s3, s2
	s_cbranch_execnz .LBB7_4
.LBB7_2:
	s_or_b32 exec_lo, exec_lo, s3
	s_cmp_lt_i32 s16, 1
	s_cbranch_scc0 .LBB7_5
	s_branch .LBB7_113
.LBB7_3:
	global_load_b32 v2, v1, s[4:5] scale_offset
	s_wait_loadcnt 0x0
	v_subrev_nc_u32_e32 v49, s18, v2
	s_or_b32 exec_lo, exec_lo, s3
	s_and_saveexec_b32 s3, s2
	s_cbranch_execz .LBB7_2
.LBB7_4:
	global_load_b32 v1, v1, s[4:5] offset:4 scale_offset
	s_wait_loadcnt 0x0
	v_subrev_nc_u32_e32 v42, s18, v1
	s_or_b32 exec_lo, exec_lo, s3
	s_cmp_lt_i32 s16, 1
	s_cbranch_scc1 .LBB7_113
.LBB7_5:
	s_clause 0x3
	s_load_b128 s[12:15], s[0:1], 0x40
	s_load_b64 s[10:11], s[0:1], 0x50
	s_load_b96 s[20:22], s[0:1], 0x30
	s_load_b64 s[24:25], s[0:1], 0x20
	s_ashr_i32 s7, s6, 31
	v_mbcnt_lo_u32_b32 v5, -1, 0
	s_lshl_b64 s[6:7], s[6:7], 2
	v_dual_mov_b32 v3, 0 :: v_dual_bitop2_b32 v43, 3, v0 bitop3:0x40
	v_dual_lshlrev_b32 v44, 8, v4 :: v_dual_lshlrev_b32 v2, 2, v4
	s_delay_alu instid0(VALU_DEP_3) | instskip(NEXT) | instid1(VALU_DEP_3)
	v_dual_lshlrev_b32 v45, 2, v0 :: v_dual_bitop2_b32 v6, 2, v5 bitop3:0x14
	v_lshlrev_b32_e32 v38, 2, v43
	s_wait_xcnt 0x0
	v_cmp_gt_u32_e64 s0, 0x80, v0
	v_cmp_gt_u32_e64 s1, 64, v0
	;; [unrolled: 1-line block ×6, first 2 shown]
	s_wait_kmcnt 0x0
	s_add_nc_u64 s[8:9], s[14:15], s[6:7]
	v_cmp_gt_u32_e64 s6, 2, v0
	s_load_b32 s19, s[8:9], 0x0
	v_cmp_eq_u32_e64 s7, 0, v0
	v_add_nc_u64_e32 v[0:1], s[12:13], v[2:3]
	v_mul_lo_u32 v2, s17, v4
	v_mov_b32_e32 v39, v3
	s_wait_xcnt 0x0
	v_cmp_gt_i32_e64 s9, 32, v6
	v_xor_b32_e32 v4, 1, v5
	v_lshl_or_b32 v46, v5, 2, 12
	v_cmp_gt_u32_e64 s8, s17, v43
	s_delay_alu instid0(VALU_DEP_4) | instskip(NEXT) | instid1(VALU_DEP_4)
	v_dual_mov_b32 v13, v3 :: v_dual_cndmask_b32 v8, v5, v6, s9
	v_cmp_gt_i32_e64 s9, 32, v4
	v_dual_mov_b32 v17, v3 :: v_dual_bitop2_b32 v9, 4, v43 bitop3:0x54
	v_or_b32_e32 v20, 32, v43
	v_lshl_add_u64 v[6:7], v[2:3], 2, s[12:13]
	s_delay_alu instid0(VALU_DEP_4)
	v_cndmask_b32_e64 v5, v5, v4, s9
	v_mul_lo_u32 v4, v43, s17
	v_dual_lshlrev_b32 v47, 2, v8 :: v_dual_bitop2_b32 v2, 8, v43 bitop3:0x54
	s_wait_kmcnt 0x0
	s_sub_co_i32 s12, s19, s22
	s_cmp_lg_u32 s28, 0
	v_lshlrev_b32_e32 v48, 2, v5
	s_cselect_b32 s19, -1, 0
	s_lshl_b32 s13, s17, 2
	v_mov_b32_e32 v5, v3
	v_cmp_gt_u32_e64 s9, s17, v2
	v_dual_add_nc_u32 v8, s13, v4 :: v_dual_bitop2_b32 v2, 12, v43 bitop3:0x54
	s_and_b32 s23, vcc_lo, s8
	v_cmp_gt_u32_e64 s8, s17, v9
	v_dual_mov_b32 v9, v3 :: v_dual_mov_b32 v11, v3
	s_delay_alu instid0(VALU_DEP_3) | instskip(SKIP_2) | instid1(VALU_DEP_2)
	v_dual_add_nc_u32 v10, s13, v8 :: v_dual_bitop2_b32 v14, 20, v43 bitop3:0x54
	s_and_b32 s28, vcc_lo, s8
	v_cmp_gt_u32_e64 s8, s17, v2
	v_dual_add_nc_u32 v12, s13, v10 :: v_dual_bitop2_b32 v2, 16, v43 bitop3:0x54
	s_and_b32 s29, vcc_lo, s9
	v_cmp_gt_u32_e64 s9, s17, v14
	s_and_b32 s30, vcc_lo, s8
	v_cmp_gt_u32_e64 s8, s17, v2
	v_dual_add_nc_u32 v14, s13, v12 :: v_dual_bitop2_b32 v2, 24, v43 bitop3:0x54
	v_mov_b32_e32 v15, v3
	s_and_b32 s33, vcc_lo, s9
	s_and_b32 s31, vcc_lo, s8
	s_delay_alu instid0(VALU_DEP_2)
	v_cmp_gt_u32_e64 s8, s17, v2
	v_dual_add_nc_u32 v16, s13, v14 :: v_dual_bitop2_b32 v2, 28, v43 bitop3:0x54
	v_mov_b32_e32 v19, v3
	v_cmp_gt_u32_e64 s9, s17, v20
	s_and_b32 s34, vcc_lo, s8
	v_cmp_gt_u32_e64 s8, s17, v2
	v_dual_add_nc_u32 v18, s13, v16 :: v_dual_bitop2_b32 v2, 36, v43 bitop3:0x54
	v_dual_mov_b32 v21, v3 :: v_dual_mov_b32 v25, v3
	s_and_b32 s35, vcc_lo, s8
	s_delay_alu instid0(VALU_DEP_2) | instskip(NEXT) | instid1(VALU_DEP_3)
	v_add_nc_u32_e32 v20, s13, v18
	v_cmp_gt_u32_e64 s8, s17, v2
	v_dual_mov_b32 v23, v3 :: v_dual_bitop2_b32 v2, 40, v43 bitop3:0x54
	s_and_b32 s36, vcc_lo, s9
	v_dual_add_nc_u32 v22, s13, v20 :: v_dual_bitop2_b32 v26, 44, v43 bitop3:0x54
	s_and_b32 s37, vcc_lo, s8
	s_delay_alu instid0(VALU_DEP_2) | instskip(NEXT) | instid1(VALU_DEP_2)
	v_cmp_gt_u32_e64 s8, s17, v2
	v_dual_add_nc_u32 v24, s13, v22 :: v_dual_bitop2_b32 v2, 48, v43 bitop3:0x54
	s_delay_alu instid0(VALU_DEP_3)
	v_cmp_gt_u32_e64 s9, s17, v26
	s_abs_i32 s40, s17
	s_and_b32 s38, vcc_lo, s8
	v_dual_mov_b32 v27, v3 :: v_dual_add_nc_u32 v26, s13, v24
	v_cmp_gt_u32_e64 s8, s17, v2
	v_or_b32_e32 v2, 52, v43
	s_and_b32 s39, vcc_lo, s9
	s_cvt_f32_u32 s9, s40
	v_add_nc_u32_e32 v28, s13, v26
	s_and_b32 s41, vcc_lo, s8
	v_cmp_gt_u32_e64 s8, s17, v2
	v_rcp_iflag_f32_e32 v2, s9
	s_delay_alu instid0(VALU_DEP_2) | instskip(SKIP_4) | instid1(TRANS32_DEP_1)
	v_dual_mov_b32 v29, v3 :: v_dual_add_nc_u32 v30, s13, v28
	s_mov_b32 s27, 0
	s_mov_b32 s26, s17
	v_dual_mov_b32 v31, v3 :: v_dual_bitop2_b32 v33, 56, v43 bitop3:0x54
	s_mul_u64 s[14:15], s[26:27], s[26:27]
	v_readfirstlane_b32 s26, v2
	v_dual_add_nc_u32 v32, s13, v30 :: v_dual_bitop2_b32 v34, 60, v43 bitop3:0x54
	s_and_b32 s42, vcc_lo, s8
	v_cmp_gt_u32_e64 s8, s17, v33
	s_mul_f32 s26, s26, 0x4f7ffffe
	v_mov_b32_e32 v33, v3
	v_cmp_gt_u32_e64 s9, s17, v34
	v_add_nc_u32_e32 v34, s13, v32
	s_and_b32 s43, vcc_lo, s8
	s_cvt_u32_f32 s8, s26
	v_mov_b32_e32 v35, v3
	v_add_nc_u64_e32 v[6:7], v[6:7], v[38:39]
	v_add_nc_u32_e32 v36, s13, v34
	s_sub_co_i32 s13, 0, s40
	v_dual_mov_b32 v37, v3 :: v_dual_add_nc_u32 v50, v38, v44
	s_mul_i32 s13, s13, s8
	v_dual_mov_b32 v51, 1 :: v_dual_mov_b32 v40, 0
	s_mul_hi_u32 s13, s8, s13
	s_and_b32 s9, vcc_lo, s9
	s_ashr_i32 s44, s17, 31
	s_add_co_i32 s26, s8, s13
	s_branch .LBB7_7
.LBB7_6:                                ;   in Loop: Header=BB7_7 Depth=1
	s_or_b32 exec_lo, exec_lo, s13
	s_wait_dscnt 0x0
	s_barrier_signal -1
	s_barrier_wait -1
	ds_load_b32 v40, v3
	s_add_co_i32 s12, s8, s12
	s_wait_dscnt 0x0
	s_barrier_signal -1
	s_barrier_wait -1
	v_cmp_gt_i32_e32 vcc_lo, s16, v40
	s_cbranch_vccz .LBB7_113
.LBB7_7:                                ; =>This Loop Header: Depth=1
                                        ;     Child Loop BB7_10 Depth 2
	v_dual_add_nc_u32 v38, v49, v43 :: v_dual_mov_b32 v52, s16
	v_mov_b32_e32 v39, v42
	s_mov_b32 s13, exec_lo
	ds_store_b8 v3, v3 offset:16384
	ds_store_2addr_b32 v50, v3, v3 offset1:4
	ds_store_2addr_b32 v50, v3, v3 offset0:8 offset1:12
	ds_store_2addr_b32 v50, v3, v3 offset0:16 offset1:20
	ds_store_2addr_b32 v50, v3, v3 offset0:24 offset1:28
	ds_store_2addr_b32 v50, v3, v3 offset0:32 offset1:36
	ds_store_2addr_b32 v50, v3, v3 offset0:40 offset1:44
	ds_store_2addr_b32 v50, v3, v3 offset0:48 offset1:52
	ds_store_2addr_b32 v50, v3, v3 offset0:56 offset1:60
	s_wait_dscnt 0x0
	s_barrier_signal -1
	s_barrier_wait -1
	v_cmpx_lt_i32_e64 v38, v42
	s_cbranch_execz .LBB7_15
; %bb.8:                                ;   in Loop: Header=BB7_7 Depth=1
	v_mul_lo_u32 v41, v40, s17
	v_dual_mov_b32 v52, s16 :: v_dual_mov_b32 v39, v42
	s_mov_b32 s45, 0
	s_branch .LBB7_10
.LBB7_9:                                ;   in Loop: Header=BB7_10 Depth=2
	s_wait_xcnt 0x0
	s_or_b32 exec_lo, exec_lo, s8
	v_add_nc_u32_e32 v38, 4, v38
	s_xor_b32 s46, vcc_lo, -1
	s_delay_alu instid0(VALU_DEP_1) | instskip(SKIP_1) | instid1(SALU_CYCLE_1)
	v_cmp_ge_i32_e64 s8, v38, v42
	s_or_b32 s8, s46, s8
	s_and_b32 s8, exec_lo, s8
	s_delay_alu instid0(SALU_CYCLE_1) | instskip(NEXT) | instid1(SALU_CYCLE_1)
	s_or_b32 s45, s8, s45
	s_and_not1_b32 exec_lo, exec_lo, s45
	s_cbranch_execz .LBB7_14
.LBB7_10:                               ;   Parent Loop BB7_7 Depth=1
                                        ; =>  This Inner Loop Header: Depth=2
	global_load_b32 v2, v38, s[20:21] scale_offset
	s_wait_loadcnt 0x0
	v_subrev_nc_u32_e32 v49, s18, v2
	s_delay_alu instid0(VALU_DEP_1) | instskip(NEXT) | instid1(VALU_DEP_1)
	v_sub_nc_u32_e32 v2, 0, v49
	v_max_i32_e32 v2, v49, v2
	s_delay_alu instid0(VALU_DEP_1) | instskip(NEXT) | instid1(VALU_DEP_1)
	v_mul_u64_e32 v[54:55], s[26:27], v[2:3]
	v_mul_lo_u32 v53, v55, s40
	s_delay_alu instid0(VALU_DEP_1) | instskip(NEXT) | instid1(VALU_DEP_1)
	v_dual_sub_nc_u32 v2, v2, v53 :: v_dual_add_nc_u32 v53, 1, v55
	v_subrev_nc_u32_e32 v54, s40, v2
	v_cmp_le_u32_e32 vcc_lo, s40, v2
	s_delay_alu instid0(VALU_DEP_3) | instskip(NEXT) | instid1(VALU_DEP_3)
	v_cndmask_b32_e32 v53, v55, v53, vcc_lo
	v_dual_cndmask_b32 v2, v2, v54 :: v_dual_ashrrev_i32 v55, 31, v49
	s_delay_alu instid0(VALU_DEP_2) | instskip(NEXT) | instid1(VALU_DEP_2)
	v_add_nc_u32_e32 v54, 1, v53
	v_cmp_le_u32_e32 vcc_lo, s40, v2
	s_delay_alu instid0(VALU_DEP_2) | instskip(NEXT) | instid1(VALU_DEP_1)
	v_dual_cndmask_b32 v2, v53, v54, vcc_lo :: v_dual_bitop2_b32 v55, s44, v55 bitop3:0x14
	v_xor_b32_e32 v2, v2, v55
	s_delay_alu instid0(VALU_DEP_1) | instskip(NEXT) | instid1(VALU_DEP_1)
	v_dual_mov_b32 v2, v39 :: v_dual_sub_nc_u32 v53, v2, v55
	v_cmp_ne_u32_e64 s8, v53, v40
	v_cmp_eq_u32_e32 vcc_lo, v53, v40
	s_wait_xcnt 0x0
	s_and_saveexec_b32 s46, s8
	s_delay_alu instid0(SALU_CYCLE_1)
	s_xor_b32 s8, exec_lo, s46
; %bb.11:                               ;   in Loop: Header=BB7_10 Depth=2
	v_min_i32_e32 v52, v53, v52
                                        ; implicit-def: $vgpr49
                                        ; implicit-def: $vgpr2
; %bb.12:                               ;   in Loop: Header=BB7_10 Depth=2
	s_or_saveexec_b32 s8, s8
	v_mov_b32_e32 v39, v38
	s_xor_b32 exec_lo, exec_lo, s8
	s_cbranch_execz .LBB7_9
; %bb.13:                               ;   in Loop: Header=BB7_10 Depth=2
	v_ashrrev_i32_e32 v39, 31, v38
	s_delay_alu instid0(VALU_DEP_1)
	v_lshl_add_u64 v[54:55], v[38:39], 2, s[24:25]
	v_sub_nc_u32_e32 v39, v49, v41
	global_load_b32 v53, v[54:55], off
	v_lshl_add_u32 v49, v39, 2, v44
	v_mov_b32_e32 v39, v2
	ds_store_b8 v3, v51 offset:16384
	s_wait_loadcnt 0x0
	ds_store_b32 v49, v53
	s_branch .LBB7_9
.LBB7_14:                               ;   in Loop: Header=BB7_7 Depth=1
	s_or_b32 exec_lo, exec_lo, s45
.LBB7_15:                               ;   in Loop: Header=BB7_7 Depth=1
	s_delay_alu instid0(SALU_CYCLE_1)
	s_or_b32 exec_lo, exec_lo, s13
	ds_bpermute_b32 v2, v47, v39
	s_wait_dscnt 0x0
	s_barrier_signal -1
	s_barrier_wait -1
	s_mov_b32 s8, 0
	v_min_i32_e32 v2, v2, v39
	ds_load_u8 v39, v3 offset:16384
	ds_bpermute_b32 v38, v48, v2
	s_wait_dscnt 0x0
	v_min_i32_e32 v2, v38, v2
	ds_bpermute_b32 v49, v46, v2
	v_and_b32_e32 v2, 1, v39
	s_delay_alu instid0(VALU_DEP_1)
	v_cmp_eq_u32_e32 vcc_lo, 0, v2
	s_cbranch_vccnz .LBB7_81
; %bb.16:                               ;   in Loop: Header=BB7_7 Depth=1
	s_ashr_i32 s13, s12, 31
	v_dual_mov_b32 v53, s12 :: v_dual_add_nc_u32 v2, s22, v40
	s_mul_u64 s[46:47], s[14:15], s[12:13]
	s_delay_alu instid0(SALU_CYCLE_1) | instskip(NEXT) | instid1(SALU_CYCLE_1)
	s_lshl_b64 s[46:47], s[46:47], 2
	v_add_nc_u64_e32 v[40:41], s[46:47], v[0:1]
	v_add_nc_u64_e32 v[38:39], s[46:47], v[6:7]
	global_store_b32 v53, v2, s[10:11] scale_offset
	s_wait_xcnt 0x0
	s_and_saveexec_b32 s8, s23
	s_cbranch_execz .LBB7_20
; %bb.17:                               ;   in Loop: Header=BB7_7 Depth=1
	ds_load_b32 v2, v50
	s_and_b32 vcc_lo, exec_lo, s19
	s_cbranch_vccz .LBB7_97
; %bb.18:                               ;   in Loop: Header=BB7_7 Depth=1
	v_lshl_add_u64 v[54:55], v[4:5], 2, v[40:41]
	s_wait_dscnt 0x0
	global_store_b32 v[54:55], v2, off
	s_cbranch_execnz .LBB7_20
.LBB7_19:                               ;   in Loop: Header=BB7_7 Depth=1
	s_wait_dscnt 0x0
	global_store_b32 v[38:39], v2, off
.LBB7_20:                               ;   in Loop: Header=BB7_7 Depth=1
	s_wait_xcnt 0x0
	s_or_b32 exec_lo, exec_lo, s8
	s_and_saveexec_b32 s8, s28
	s_cbranch_execz .LBB7_24
; %bb.21:                               ;   in Loop: Header=BB7_7 Depth=1
	s_wait_dscnt 0x0
	ds_load_b32 v2, v50 offset:16
	s_and_not1_b32 vcc_lo, exec_lo, s19
	s_cbranch_vccnz .LBB7_98
; %bb.22:                               ;   in Loop: Header=BB7_7 Depth=1
	v_lshl_add_u64 v[54:55], v[8:9], 2, v[40:41]
	s_wait_dscnt 0x0
	global_store_b32 v[54:55], v2, off
	s_cbranch_execnz .LBB7_24
.LBB7_23:                               ;   in Loop: Header=BB7_7 Depth=1
	s_wait_dscnt 0x0
	global_store_b32 v[38:39], v2, off offset:16
.LBB7_24:                               ;   in Loop: Header=BB7_7 Depth=1
	s_wait_xcnt 0x0
	s_or_b32 exec_lo, exec_lo, s8
	s_and_saveexec_b32 s8, s29
	s_cbranch_execz .LBB7_28
; %bb.25:                               ;   in Loop: Header=BB7_7 Depth=1
	s_wait_dscnt 0x0
	ds_load_b32 v2, v50 offset:32
	s_and_not1_b32 vcc_lo, exec_lo, s19
	s_cbranch_vccnz .LBB7_99
; %bb.26:                               ;   in Loop: Header=BB7_7 Depth=1
	v_lshl_add_u64 v[54:55], v[10:11], 2, v[40:41]
	s_wait_dscnt 0x0
	global_store_b32 v[54:55], v2, off
	s_cbranch_execnz .LBB7_28
.LBB7_27:                               ;   in Loop: Header=BB7_7 Depth=1
	s_wait_dscnt 0x0
	global_store_b32 v[38:39], v2, off offset:32
.LBB7_28:                               ;   in Loop: Header=BB7_7 Depth=1
	s_wait_xcnt 0x0
	s_or_b32 exec_lo, exec_lo, s8
	s_and_saveexec_b32 s8, s30
	s_cbranch_execz .LBB7_32
; %bb.29:                               ;   in Loop: Header=BB7_7 Depth=1
	s_wait_dscnt 0x0
	ds_load_b32 v2, v50 offset:48
	s_and_not1_b32 vcc_lo, exec_lo, s19
	s_cbranch_vccnz .LBB7_100
; %bb.30:                               ;   in Loop: Header=BB7_7 Depth=1
	v_lshl_add_u64 v[54:55], v[12:13], 2, v[40:41]
	s_wait_dscnt 0x0
	global_store_b32 v[54:55], v2, off
	s_cbranch_execnz .LBB7_32
.LBB7_31:                               ;   in Loop: Header=BB7_7 Depth=1
	s_wait_dscnt 0x0
	global_store_b32 v[38:39], v2, off offset:48
.LBB7_32:                               ;   in Loop: Header=BB7_7 Depth=1
	s_wait_xcnt 0x0
	s_or_b32 exec_lo, exec_lo, s8
	s_and_saveexec_b32 s8, s31
	s_cbranch_execz .LBB7_36
; %bb.33:                               ;   in Loop: Header=BB7_7 Depth=1
	s_wait_dscnt 0x0
	ds_load_b32 v2, v50 offset:64
	s_and_not1_b32 vcc_lo, exec_lo, s19
	s_cbranch_vccnz .LBB7_101
; %bb.34:                               ;   in Loop: Header=BB7_7 Depth=1
	v_lshl_add_u64 v[54:55], v[14:15], 2, v[40:41]
	s_wait_dscnt 0x0
	global_store_b32 v[54:55], v2, off
	s_cbranch_execnz .LBB7_36
.LBB7_35:                               ;   in Loop: Header=BB7_7 Depth=1
	s_wait_dscnt 0x0
	global_store_b32 v[38:39], v2, off offset:64
.LBB7_36:                               ;   in Loop: Header=BB7_7 Depth=1
	s_wait_xcnt 0x0
	s_or_b32 exec_lo, exec_lo, s8
	s_and_saveexec_b32 s8, s33
	s_cbranch_execz .LBB7_40
; %bb.37:                               ;   in Loop: Header=BB7_7 Depth=1
	s_wait_dscnt 0x0
	ds_load_b32 v2, v50 offset:80
	s_and_not1_b32 vcc_lo, exec_lo, s19
	s_cbranch_vccnz .LBB7_102
; %bb.38:                               ;   in Loop: Header=BB7_7 Depth=1
	v_lshl_add_u64 v[54:55], v[16:17], 2, v[40:41]
	s_wait_dscnt 0x0
	global_store_b32 v[54:55], v2, off
	s_cbranch_execnz .LBB7_40
.LBB7_39:                               ;   in Loop: Header=BB7_7 Depth=1
	s_wait_dscnt 0x0
	global_store_b32 v[38:39], v2, off offset:80
.LBB7_40:                               ;   in Loop: Header=BB7_7 Depth=1
	s_wait_xcnt 0x0
	s_or_b32 exec_lo, exec_lo, s8
	s_and_saveexec_b32 s8, s34
	s_cbranch_execz .LBB7_44
; %bb.41:                               ;   in Loop: Header=BB7_7 Depth=1
	s_wait_dscnt 0x0
	ds_load_b32 v2, v50 offset:96
	s_and_not1_b32 vcc_lo, exec_lo, s19
	s_cbranch_vccnz .LBB7_103
; %bb.42:                               ;   in Loop: Header=BB7_7 Depth=1
	v_lshl_add_u64 v[54:55], v[18:19], 2, v[40:41]
	s_wait_dscnt 0x0
	global_store_b32 v[54:55], v2, off
	s_cbranch_execnz .LBB7_44
.LBB7_43:                               ;   in Loop: Header=BB7_7 Depth=1
	s_wait_dscnt 0x0
	global_store_b32 v[38:39], v2, off offset:96
.LBB7_44:                               ;   in Loop: Header=BB7_7 Depth=1
	s_wait_xcnt 0x0
	s_or_b32 exec_lo, exec_lo, s8
	s_and_saveexec_b32 s8, s35
	s_cbranch_execz .LBB7_48
; %bb.45:                               ;   in Loop: Header=BB7_7 Depth=1
	s_wait_dscnt 0x0
	ds_load_b32 v2, v50 offset:112
	s_and_not1_b32 vcc_lo, exec_lo, s19
	s_cbranch_vccnz .LBB7_104
; %bb.46:                               ;   in Loop: Header=BB7_7 Depth=1
	v_lshl_add_u64 v[54:55], v[20:21], 2, v[40:41]
	s_wait_dscnt 0x0
	global_store_b32 v[54:55], v2, off
	s_cbranch_execnz .LBB7_48
.LBB7_47:                               ;   in Loop: Header=BB7_7 Depth=1
	s_wait_dscnt 0x0
	global_store_b32 v[38:39], v2, off offset:112
.LBB7_48:                               ;   in Loop: Header=BB7_7 Depth=1
	s_wait_xcnt 0x0
	s_or_b32 exec_lo, exec_lo, s8
	s_and_saveexec_b32 s8, s36
	s_cbranch_execz .LBB7_52
; %bb.49:                               ;   in Loop: Header=BB7_7 Depth=1
	s_wait_dscnt 0x0
	ds_load_b32 v2, v50 offset:128
	s_and_not1_b32 vcc_lo, exec_lo, s19
	s_cbranch_vccnz .LBB7_105
; %bb.50:                               ;   in Loop: Header=BB7_7 Depth=1
	v_lshl_add_u64 v[54:55], v[22:23], 2, v[40:41]
	s_wait_dscnt 0x0
	global_store_b32 v[54:55], v2, off
	s_cbranch_execnz .LBB7_52
.LBB7_51:                               ;   in Loop: Header=BB7_7 Depth=1
	s_wait_dscnt 0x0
	global_store_b32 v[38:39], v2, off offset:128
.LBB7_52:                               ;   in Loop: Header=BB7_7 Depth=1
	s_wait_xcnt 0x0
	s_or_b32 exec_lo, exec_lo, s8
	s_and_saveexec_b32 s8, s37
	s_cbranch_execz .LBB7_56
; %bb.53:                               ;   in Loop: Header=BB7_7 Depth=1
	s_wait_dscnt 0x0
	ds_load_b32 v2, v50 offset:144
	s_and_not1_b32 vcc_lo, exec_lo, s19
	s_cbranch_vccnz .LBB7_106
; %bb.54:                               ;   in Loop: Header=BB7_7 Depth=1
	v_lshl_add_u64 v[54:55], v[24:25], 2, v[40:41]
	s_wait_dscnt 0x0
	global_store_b32 v[54:55], v2, off
	s_cbranch_execnz .LBB7_56
.LBB7_55:                               ;   in Loop: Header=BB7_7 Depth=1
	s_wait_dscnt 0x0
	global_store_b32 v[38:39], v2, off offset:144
.LBB7_56:                               ;   in Loop: Header=BB7_7 Depth=1
	s_wait_xcnt 0x0
	s_or_b32 exec_lo, exec_lo, s8
	s_and_saveexec_b32 s8, s38
	s_cbranch_execz .LBB7_60
; %bb.57:                               ;   in Loop: Header=BB7_7 Depth=1
	s_wait_dscnt 0x0
	ds_load_b32 v2, v50 offset:160
	s_and_not1_b32 vcc_lo, exec_lo, s19
	s_cbranch_vccnz .LBB7_107
; %bb.58:                               ;   in Loop: Header=BB7_7 Depth=1
	v_lshl_add_u64 v[54:55], v[26:27], 2, v[40:41]
	s_wait_dscnt 0x0
	global_store_b32 v[54:55], v2, off
	s_cbranch_execnz .LBB7_60
.LBB7_59:                               ;   in Loop: Header=BB7_7 Depth=1
	s_wait_dscnt 0x0
	global_store_b32 v[38:39], v2, off offset:160
.LBB7_60:                               ;   in Loop: Header=BB7_7 Depth=1
	s_wait_xcnt 0x0
	s_or_b32 exec_lo, exec_lo, s8
	s_and_saveexec_b32 s8, s39
	s_cbranch_execz .LBB7_64
; %bb.61:                               ;   in Loop: Header=BB7_7 Depth=1
	s_wait_dscnt 0x0
	ds_load_b32 v2, v50 offset:176
	s_and_not1_b32 vcc_lo, exec_lo, s19
	s_cbranch_vccnz .LBB7_108
; %bb.62:                               ;   in Loop: Header=BB7_7 Depth=1
	v_lshl_add_u64 v[54:55], v[28:29], 2, v[40:41]
	s_wait_dscnt 0x0
	global_store_b32 v[54:55], v2, off
	s_cbranch_execnz .LBB7_64
.LBB7_63:                               ;   in Loop: Header=BB7_7 Depth=1
	s_wait_dscnt 0x0
	global_store_b32 v[38:39], v2, off offset:176
.LBB7_64:                               ;   in Loop: Header=BB7_7 Depth=1
	s_wait_xcnt 0x0
	s_or_b32 exec_lo, exec_lo, s8
	s_and_saveexec_b32 s8, s41
	s_cbranch_execz .LBB7_68
; %bb.65:                               ;   in Loop: Header=BB7_7 Depth=1
	s_wait_dscnt 0x0
	ds_load_b32 v2, v50 offset:192
	s_and_not1_b32 vcc_lo, exec_lo, s19
	s_cbranch_vccnz .LBB7_109
; %bb.66:                               ;   in Loop: Header=BB7_7 Depth=1
	v_lshl_add_u64 v[54:55], v[30:31], 2, v[40:41]
	s_wait_dscnt 0x0
	global_store_b32 v[54:55], v2, off
	s_cbranch_execnz .LBB7_68
.LBB7_67:                               ;   in Loop: Header=BB7_7 Depth=1
	s_wait_dscnt 0x0
	global_store_b32 v[38:39], v2, off offset:192
.LBB7_68:                               ;   in Loop: Header=BB7_7 Depth=1
	s_wait_xcnt 0x0
	s_or_b32 exec_lo, exec_lo, s8
	s_and_saveexec_b32 s8, s42
	s_cbranch_execz .LBB7_72
; %bb.69:                               ;   in Loop: Header=BB7_7 Depth=1
	s_wait_dscnt 0x0
	ds_load_b32 v2, v50 offset:208
	s_and_not1_b32 vcc_lo, exec_lo, s19
	s_cbranch_vccnz .LBB7_110
; %bb.70:                               ;   in Loop: Header=BB7_7 Depth=1
	v_lshl_add_u64 v[54:55], v[32:33], 2, v[40:41]
	s_wait_dscnt 0x0
	global_store_b32 v[54:55], v2, off
	s_cbranch_execnz .LBB7_72
.LBB7_71:                               ;   in Loop: Header=BB7_7 Depth=1
	s_wait_dscnt 0x0
	global_store_b32 v[38:39], v2, off offset:208
.LBB7_72:                               ;   in Loop: Header=BB7_7 Depth=1
	s_wait_xcnt 0x0
	s_or_b32 exec_lo, exec_lo, s8
	s_and_saveexec_b32 s8, s43
	s_cbranch_execz .LBB7_76
; %bb.73:                               ;   in Loop: Header=BB7_7 Depth=1
	s_wait_dscnt 0x0
	ds_load_b32 v2, v50 offset:224
	s_and_not1_b32 vcc_lo, exec_lo, s19
	s_cbranch_vccnz .LBB7_111
; %bb.74:                               ;   in Loop: Header=BB7_7 Depth=1
	v_lshl_add_u64 v[54:55], v[34:35], 2, v[40:41]
	s_wait_dscnt 0x0
	global_store_b32 v[54:55], v2, off
	s_cbranch_execnz .LBB7_76
.LBB7_75:                               ;   in Loop: Header=BB7_7 Depth=1
	s_wait_dscnt 0x0
	global_store_b32 v[38:39], v2, off offset:224
.LBB7_76:                               ;   in Loop: Header=BB7_7 Depth=1
	s_wait_xcnt 0x0
	s_or_b32 exec_lo, exec_lo, s8
	s_and_saveexec_b32 s8, s9
	s_cbranch_execz .LBB7_80
; %bb.77:                               ;   in Loop: Header=BB7_7 Depth=1
	s_wait_dscnt 0x0
	ds_load_b32 v2, v50 offset:240
	s_and_not1_b32 vcc_lo, exec_lo, s19
	s_cbranch_vccnz .LBB7_112
; %bb.78:                               ;   in Loop: Header=BB7_7 Depth=1
	v_lshl_add_u64 v[40:41], v[36:37], 2, v[40:41]
	s_wait_dscnt 0x0
	global_store_b32 v[40:41], v2, off
	s_cbranch_execnz .LBB7_80
.LBB7_79:                               ;   in Loop: Header=BB7_7 Depth=1
	s_wait_dscnt 0x0
	global_store_b32 v[38:39], v2, off offset:240
.LBB7_80:                               ;   in Loop: Header=BB7_7 Depth=1
	s_wait_xcnt 0x0
	s_or_b32 exec_lo, exec_lo, s8
	s_mov_b32 s8, 1
.LBB7_81:                               ;   in Loop: Header=BB7_7 Depth=1
	s_wait_storecnt_dscnt 0x0
	s_barrier_signal -1
	s_barrier_wait -1
	ds_store_b32 v45, v52
	s_wait_dscnt 0x0
	s_barrier_signal -1
	s_barrier_wait -1
	s_and_saveexec_b32 s13, s0
	s_cbranch_execz .LBB7_83
; %bb.82:                               ;   in Loop: Header=BB7_7 Depth=1
	ds_load_2addr_stride64_b32 v[38:39], v45 offset1:2
	s_wait_dscnt 0x0
	v_min_i32_e32 v2, v39, v38
	ds_store_b32 v45, v2
.LBB7_83:                               ;   in Loop: Header=BB7_7 Depth=1
	s_or_b32 exec_lo, exec_lo, s13
	s_wait_dscnt 0x0
	s_barrier_signal -1
	s_barrier_wait -1
	s_and_saveexec_b32 s13, s1
	s_cbranch_execz .LBB7_85
; %bb.84:                               ;   in Loop: Header=BB7_7 Depth=1
	ds_load_2addr_stride64_b32 v[38:39], v45 offset1:1
	s_wait_dscnt 0x0
	v_min_i32_e32 v2, v39, v38
	ds_store_b32 v45, v2
.LBB7_85:                               ;   in Loop: Header=BB7_7 Depth=1
	s_or_b32 exec_lo, exec_lo, s13
	s_wait_dscnt 0x0
	s_barrier_signal -1
	s_barrier_wait -1
	s_and_saveexec_b32 s13, s2
	s_cbranch_execz .LBB7_87
; %bb.86:                               ;   in Loop: Header=BB7_7 Depth=1
	ds_load_2addr_b32 v[38:39], v45 offset1:32
	s_wait_dscnt 0x0
	v_min_i32_e32 v2, v39, v38
	ds_store_b32 v45, v2
.LBB7_87:                               ;   in Loop: Header=BB7_7 Depth=1
	s_or_b32 exec_lo, exec_lo, s13
	s_wait_dscnt 0x0
	s_barrier_signal -1
	s_barrier_wait -1
	s_and_saveexec_b32 s13, s3
	s_cbranch_execz .LBB7_89
; %bb.88:                               ;   in Loop: Header=BB7_7 Depth=1
	ds_load_2addr_b32 v[38:39], v45 offset1:16
	s_wait_dscnt 0x0
	v_min_i32_e32 v2, v39, v38
	ds_store_b32 v45, v2
.LBB7_89:                               ;   in Loop: Header=BB7_7 Depth=1
	;; [unrolled: 12-line block ×5, first 2 shown]
	s_or_b32 exec_lo, exec_lo, s13
	s_wait_dscnt 0x0
	s_barrier_signal -1
	s_barrier_wait -1
	s_and_saveexec_b32 s13, s7
	s_cbranch_execz .LBB7_6
; %bb.96:                               ;   in Loop: Header=BB7_7 Depth=1
	ds_load_b64 v[38:39], v3
	s_wait_dscnt 0x0
	v_min_i32_e32 v2, v39, v38
	ds_store_b32 v3, v2
	s_branch .LBB7_6
.LBB7_97:                               ;   in Loop: Header=BB7_7 Depth=1
	s_branch .LBB7_19
.LBB7_98:                               ;   in Loop: Header=BB7_7 Depth=1
	s_branch .LBB7_23
.LBB7_99:                               ;   in Loop: Header=BB7_7 Depth=1
	s_branch .LBB7_27
.LBB7_100:                              ;   in Loop: Header=BB7_7 Depth=1
	s_branch .LBB7_31
.LBB7_101:                              ;   in Loop: Header=BB7_7 Depth=1
	s_branch .LBB7_35
.LBB7_102:                              ;   in Loop: Header=BB7_7 Depth=1
	s_branch .LBB7_39
.LBB7_103:                              ;   in Loop: Header=BB7_7 Depth=1
	s_branch .LBB7_43
.LBB7_104:                              ;   in Loop: Header=BB7_7 Depth=1
	s_branch .LBB7_47
.LBB7_105:                              ;   in Loop: Header=BB7_7 Depth=1
	s_branch .LBB7_51
.LBB7_106:                              ;   in Loop: Header=BB7_7 Depth=1
	s_branch .LBB7_55
.LBB7_107:                              ;   in Loop: Header=BB7_7 Depth=1
	s_branch .LBB7_59
.LBB7_108:                              ;   in Loop: Header=BB7_7 Depth=1
	s_branch .LBB7_63
.LBB7_109:                              ;   in Loop: Header=BB7_7 Depth=1
	s_branch .LBB7_67
.LBB7_110:                              ;   in Loop: Header=BB7_7 Depth=1
	s_branch .LBB7_71
.LBB7_111:                              ;   in Loop: Header=BB7_7 Depth=1
	s_branch .LBB7_75
.LBB7_112:                              ;   in Loop: Header=BB7_7 Depth=1
	s_branch .LBB7_79
.LBB7_113:
	s_endpgm
	.section	.rodata,"a",@progbits
	.p2align	6, 0x0
	.amdhsa_kernel _ZN9rocsparseL38csr2bsr_block_per_row_multipass_kernelILj256ELj64EiiiEEv20rocsparse_direction_T3_S2_S2_S2_S2_21rocsparse_index_base_PKT1_PKT2_PKS2_S3_PS4_PS7_PS2_
		.amdhsa_group_segment_fixed_size 16388
		.amdhsa_private_segment_fixed_size 0
		.amdhsa_kernarg_size 88
		.amdhsa_user_sgpr_count 2
		.amdhsa_user_sgpr_dispatch_ptr 0
		.amdhsa_user_sgpr_queue_ptr 0
		.amdhsa_user_sgpr_kernarg_segment_ptr 1
		.amdhsa_user_sgpr_dispatch_id 0
		.amdhsa_user_sgpr_kernarg_preload_length 0
		.amdhsa_user_sgpr_kernarg_preload_offset 0
		.amdhsa_user_sgpr_private_segment_size 0
		.amdhsa_wavefront_size32 1
		.amdhsa_uses_dynamic_stack 0
		.amdhsa_enable_private_segment 0
		.amdhsa_system_sgpr_workgroup_id_x 1
		.amdhsa_system_sgpr_workgroup_id_y 0
		.amdhsa_system_sgpr_workgroup_id_z 0
		.amdhsa_system_sgpr_workgroup_info 0
		.amdhsa_system_vgpr_workitem_id 0
		.amdhsa_next_free_vgpr 56
		.amdhsa_next_free_sgpr 48
		.amdhsa_named_barrier_count 0
		.amdhsa_reserve_vcc 1
		.amdhsa_float_round_mode_32 0
		.amdhsa_float_round_mode_16_64 0
		.amdhsa_float_denorm_mode_32 3
		.amdhsa_float_denorm_mode_16_64 3
		.amdhsa_fp16_overflow 0
		.amdhsa_memory_ordered 1
		.amdhsa_forward_progress 1
		.amdhsa_inst_pref_size 27
		.amdhsa_round_robin_scheduling 0
		.amdhsa_exception_fp_ieee_invalid_op 0
		.amdhsa_exception_fp_denorm_src 0
		.amdhsa_exception_fp_ieee_div_zero 0
		.amdhsa_exception_fp_ieee_overflow 0
		.amdhsa_exception_fp_ieee_underflow 0
		.amdhsa_exception_fp_ieee_inexact 0
		.amdhsa_exception_int_div_zero 0
	.end_amdhsa_kernel
	.section	.text._ZN9rocsparseL38csr2bsr_block_per_row_multipass_kernelILj256ELj64EiiiEEv20rocsparse_direction_T3_S2_S2_S2_S2_21rocsparse_index_base_PKT1_PKT2_PKS2_S3_PS4_PS7_PS2_,"axG",@progbits,_ZN9rocsparseL38csr2bsr_block_per_row_multipass_kernelILj256ELj64EiiiEEv20rocsparse_direction_T3_S2_S2_S2_S2_21rocsparse_index_base_PKT1_PKT2_PKS2_S3_PS4_PS7_PS2_,comdat
.Lfunc_end7:
	.size	_ZN9rocsparseL38csr2bsr_block_per_row_multipass_kernelILj256ELj64EiiiEEv20rocsparse_direction_T3_S2_S2_S2_S2_21rocsparse_index_base_PKT1_PKT2_PKS2_S3_PS4_PS7_PS2_, .Lfunc_end7-_ZN9rocsparseL38csr2bsr_block_per_row_multipass_kernelILj256ELj64EiiiEEv20rocsparse_direction_T3_S2_S2_S2_S2_21rocsparse_index_base_PKT1_PKT2_PKS2_S3_PS4_PS7_PS2_
                                        ; -- End function
	.set _ZN9rocsparseL38csr2bsr_block_per_row_multipass_kernelILj256ELj64EiiiEEv20rocsparse_direction_T3_S2_S2_S2_S2_21rocsparse_index_base_PKT1_PKT2_PKS2_S3_PS4_PS7_PS2_.num_vgpr, 56
	.set _ZN9rocsparseL38csr2bsr_block_per_row_multipass_kernelILj256ELj64EiiiEEv20rocsparse_direction_T3_S2_S2_S2_S2_21rocsparse_index_base_PKT1_PKT2_PKS2_S3_PS4_PS7_PS2_.num_agpr, 0
	.set _ZN9rocsparseL38csr2bsr_block_per_row_multipass_kernelILj256ELj64EiiiEEv20rocsparse_direction_T3_S2_S2_S2_S2_21rocsparse_index_base_PKT1_PKT2_PKS2_S3_PS4_PS7_PS2_.numbered_sgpr, 48
	.set _ZN9rocsparseL38csr2bsr_block_per_row_multipass_kernelILj256ELj64EiiiEEv20rocsparse_direction_T3_S2_S2_S2_S2_21rocsparse_index_base_PKT1_PKT2_PKS2_S3_PS4_PS7_PS2_.num_named_barrier, 0
	.set _ZN9rocsparseL38csr2bsr_block_per_row_multipass_kernelILj256ELj64EiiiEEv20rocsparse_direction_T3_S2_S2_S2_S2_21rocsparse_index_base_PKT1_PKT2_PKS2_S3_PS4_PS7_PS2_.private_seg_size, 0
	.set _ZN9rocsparseL38csr2bsr_block_per_row_multipass_kernelILj256ELj64EiiiEEv20rocsparse_direction_T3_S2_S2_S2_S2_21rocsparse_index_base_PKT1_PKT2_PKS2_S3_PS4_PS7_PS2_.uses_vcc, 1
	.set _ZN9rocsparseL38csr2bsr_block_per_row_multipass_kernelILj256ELj64EiiiEEv20rocsparse_direction_T3_S2_S2_S2_S2_21rocsparse_index_base_PKT1_PKT2_PKS2_S3_PS4_PS7_PS2_.uses_flat_scratch, 0
	.set _ZN9rocsparseL38csr2bsr_block_per_row_multipass_kernelILj256ELj64EiiiEEv20rocsparse_direction_T3_S2_S2_S2_S2_21rocsparse_index_base_PKT1_PKT2_PKS2_S3_PS4_PS7_PS2_.has_dyn_sized_stack, 0
	.set _ZN9rocsparseL38csr2bsr_block_per_row_multipass_kernelILj256ELj64EiiiEEv20rocsparse_direction_T3_S2_S2_S2_S2_21rocsparse_index_base_PKT1_PKT2_PKS2_S3_PS4_PS7_PS2_.has_recursion, 0
	.set _ZN9rocsparseL38csr2bsr_block_per_row_multipass_kernelILj256ELj64EiiiEEv20rocsparse_direction_T3_S2_S2_S2_S2_21rocsparse_index_base_PKT1_PKT2_PKS2_S3_PS4_PS7_PS2_.has_indirect_call, 0
	.section	.AMDGPU.csdata,"",@progbits
; Kernel info:
; codeLenInByte = 3428
; TotalNumSgprs: 50
; NumVgprs: 56
; ScratchSize: 0
; MemoryBound: 0
; FloatMode: 240
; IeeeMode: 1
; LDSByteSize: 16388 bytes/workgroup (compile time only)
; SGPRBlocks: 0
; VGPRBlocks: 3
; NumSGPRsForWavesPerEU: 50
; NumVGPRsForWavesPerEU: 56
; NamedBarCnt: 0
; Occupancy: 16
; WaveLimiterHint : 0
; COMPUTE_PGM_RSRC2:SCRATCH_EN: 0
; COMPUTE_PGM_RSRC2:USER_SGPR: 2
; COMPUTE_PGM_RSRC2:TRAP_HANDLER: 0
; COMPUTE_PGM_RSRC2:TGID_X_EN: 1
; COMPUTE_PGM_RSRC2:TGID_Y_EN: 0
; COMPUTE_PGM_RSRC2:TGID_Z_EN: 0
; COMPUTE_PGM_RSRC2:TIDIG_COMP_CNT: 0
	.section	.text._ZN9rocsparseL21csr2bsr_65_inf_kernelILj32EiiiEEv20rocsparse_direction_T2_S2_S2_S2_S2_S2_21rocsparse_index_base_PKT0_PKT1_PKS2_S3_PS4_PS7_PS2_SD_SE_SC_,"axG",@progbits,_ZN9rocsparseL21csr2bsr_65_inf_kernelILj32EiiiEEv20rocsparse_direction_T2_S2_S2_S2_S2_S2_21rocsparse_index_base_PKT0_PKT1_PKS2_S3_PS4_PS7_PS2_SD_SE_SC_,comdat
	.globl	_ZN9rocsparseL21csr2bsr_65_inf_kernelILj32EiiiEEv20rocsparse_direction_T2_S2_S2_S2_S2_S2_21rocsparse_index_base_PKT0_PKT1_PKS2_S3_PS4_PS7_PS2_SD_SE_SC_ ; -- Begin function _ZN9rocsparseL21csr2bsr_65_inf_kernelILj32EiiiEEv20rocsparse_direction_T2_S2_S2_S2_S2_S2_21rocsparse_index_base_PKT0_PKT1_PKS2_S3_PS4_PS7_PS2_SD_SE_SC_
	.p2align	8
	.type	_ZN9rocsparseL21csr2bsr_65_inf_kernelILj32EiiiEEv20rocsparse_direction_T2_S2_S2_S2_S2_S2_21rocsparse_index_base_PKT0_PKT1_PKS2_S3_PS4_PS7_PS2_SD_SE_SC_,@function
_ZN9rocsparseL21csr2bsr_65_inf_kernelILj32EiiiEEv20rocsparse_direction_T2_S2_S2_S2_S2_S2_21rocsparse_index_base_PKT0_PKT1_PKS2_S3_PS4_PS7_PS2_SD_SE_SC_: ; @_ZN9rocsparseL21csr2bsr_65_inf_kernelILj32EiiiEEv20rocsparse_direction_T2_S2_S2_S2_S2_S2_21rocsparse_index_base_PKT0_PKT1_PKS2_S3_PS4_PS7_PS2_SD_SE_SC_
; %bb.0:
	s_clause 0x2
	s_load_b128 s[4:7], s[0:1], 0x0
	s_load_b64 s[2:3], s[0:1], 0x58
	s_load_b32 s15, s[0:1], 0x38
	s_bfe_u32 s8, ttmp6, 0x4000c
	s_and_b32 s9, ttmp6, 15
	s_add_co_i32 s8, s8, 1
	s_getreg_b32 s10, hwreg(HW_REG_IB_STS2, 6, 4)
	s_mul_i32 s8, ttmp9, s8
	s_mov_b32 s25, 0
	s_add_co_i32 s9, s9, s8
	s_cmp_eq_u32 s10, 0
	s_cselect_b32 s22, ttmp9, s9
	s_wait_kmcnt 0x0
	s_cmp_ge_i32 s22, s7
	s_mov_b32 s7, 0
	s_cbranch_scc1 .LBB8_2
; %bb.1:
	s_load_b64 s[8:9], s[0:1], 0x48
	s_ashr_i32 s23, s22, 31
	s_delay_alu instid0(SALU_CYCLE_1)
	s_lshl_b64 s[10:11], s[22:23], 2
	s_wait_kmcnt 0x0
	s_add_nc_u64 s[8:9], s[8:9], s[10:11]
	s_load_b32 s7, s[8:9], 0x0
	s_wait_kmcnt 0x0
	s_sub_co_i32 s7, s7, s15
.LBB8_2:
	s_load_b96 s[12:14], s[0:1], 0x14
	s_wait_kmcnt 0x0
	v_mul_lo_u32 v4, s13, v0
	s_mul_i32 s8, s22, s13
	s_delay_alu instid0(SALU_CYCLE_1) | instskip(NEXT) | instid1(SALU_CYCLE_1)
	s_lshl_b32 s24, s8, 6
	s_lshl_b64 s[8:9], s[24:25], 2
	s_lshl_b32 s24, s13, 5
	s_add_nc_u64 s[26:27], s[2:3], s[8:9]
	s_cmp_gt_i32 s13, 0
	s_cselect_b32 s28, -1, 0
	s_delay_alu instid0(VALU_DEP_1) | instskip(SKIP_1) | instid1(VALU_DEP_1)
	v_ashrrev_i32_e32 v5, 31, v4
	s_cmp_lt_i32 s13, 1
	v_lshl_add_u64 v[2:3], v[4:5], 2, s[26:27]
	s_cbranch_scc1 .LBB8_7
; %bb.3:
	s_load_b64 s[8:9], s[0:1], 0x28
	s_delay_alu instid0(VALU_DEP_1)
	v_mov_b64_e32 v[6:7], v[2:3]
	v_dual_mov_b32 v1, 0 :: v_dual_mov_b32 v12, v0
	s_mul_i32 s3, s12, s22
	s_lshl_b64 s[10:11], s[24:25], 2
	s_mov_b32 s16, s13
	s_branch .LBB8_5
.LBB8_4:                                ;   in Loop: Header=BB8_5 Depth=1
	s_wait_xcnt 0x0
	s_or_b32 exec_lo, exec_lo, s2
	v_add_nc_u64_e32 v[6:7], 4, v[6:7]
	v_add_nc_u32_e32 v12, 32, v12
	s_add_co_i32 s16, s16, -1
	s_delay_alu instid0(SALU_CYCLE_1)
	s_cmp_eq_u32 s16, 0
	s_cbranch_scc1 .LBB8_7
.LBB8_5:                                ; =>This Inner Loop Header: Depth=1
	s_delay_alu instid0(VALU_DEP_1) | instskip(NEXT) | instid1(VALU_DEP_3)
	v_add_nc_u32_e32 v10, s3, v12
	v_add_nc_u64_e32 v[8:9], s[10:11], v[6:7]
	v_cmp_gt_u32_e64 s2, s12, v12
	global_store_b32 v[6:7], v1, off
	v_cmp_gt_i32_e32 vcc_lo, s5, v10
	global_store_b32 v[8:9], v1, off
	s_and_b32 s17, s2, vcc_lo
	s_wait_xcnt 0x0
	s_and_saveexec_b32 s2, s17
	s_cbranch_execz .LBB8_4
; %bb.6:                                ;   in Loop: Header=BB8_5 Depth=1
	v_ashrrev_i32_e32 v11, 31, v10
	s_wait_kmcnt 0x0
	s_delay_alu instid0(VALU_DEP_1)
	v_lshl_add_u64 v[10:11], v[10:11], 2, s[8:9]
	global_load_b64 v[10:11], v[10:11], off
	s_wait_loadcnt 0x0
	v_subrev_nc_u32_e32 v10, s14, v10
	v_subrev_nc_u32_e32 v11, s14, v11
	s_clause 0x1
	global_store_b32 v[6:7], v10, off
	global_store_b32 v[8:9], v11, off
	s_branch .LBB8_4
.LBB8_7:
	s_cmp_lt_i32 s6, 1
	s_cbranch_scc1 .LBB8_37
; %bb.8:
	s_wait_kmcnt 0x0
	s_load_b128 s[8:11], s[0:1], 0x60
	v_mbcnt_lo_u32_b32 v10, -1, 0
	v_lshlrev_b64_e32 v[8:9], 2, v[4:5]
	s_clause 0x3
	s_load_b64 s[2:3], s[0:1], 0x50
	s_load_b64 s[16:17], s[0:1], 0x40
	;; [unrolled: 1-line block ×4, first 2 shown]
	s_wait_xcnt 0x0
	s_lshl_b64 s[0:1], s[24:25], 2
	s_mul_i32 s22, s24, s22
	v_xor_b32_e32 v11, 8, v10
	v_xor_b32_e32 v1, 16, v10
	s_mov_b32 s23, 0
	s_add_nc_u64 s[0:1], s[26:27], s[0:1]
	s_lshl_b64 s[24:25], s[22:23], 2
	s_cmp_lg_u32 s4, 0
	v_cmp_gt_i32_e32 vcc_lo, 32, v1
	v_add_nc_u64_e32 v[4:5], s[0:1], v[8:9]
	v_mul_lo_u32 v31, v0, s12
	v_dual_mov_b32 v33, 0 :: v_dual_bitop2_b32 v12, 4, v10 bitop3:0x14
	v_cndmask_b32_e32 v1, v10, v1, vcc_lo
	s_mov_b32 s26, 0
	v_mov_b32_e32 v32, 0
	s_wait_kmcnt 0x0
	s_add_nc_u64 s[0:1], s[8:9], s[24:25]
	s_add_nc_u64 s[4:5], s[10:11], s[24:25]
	v_add_nc_u64_e32 v[6:7], s[0:1], v[8:9]
	s_cselect_b32 s1, -1, 0
	s_abs_i32 s24, s12
	v_lshlrev_b32_e32 v1, 2, v1
	s_cvt_f32_u32 s0, s24
	v_cmp_gt_i32_e32 vcc_lo, 32, v11
	v_add_nc_u64_e32 v[8:9], s[4:5], v[8:9]
	s_sub_co_i32 s8, 0, s24
	v_rcp_iflag_f32_e32 v15, s0
	s_ashr_i32 s5, s12, 31
	v_cndmask_b32_e32 v11, v10, v11, vcc_lo
	v_cmp_gt_i32_e32 vcc_lo, 32, v12
	v_xor_b32_e32 v13, 2, v10
	s_add_co_i32 s25, s7, -1
	v_mov_b32_e32 v30, 0x7c
	v_readfirstlane_b32 s0, v15
	v_cndmask_b32_e32 v12, v10, v12, vcc_lo
	v_cmp_gt_i32_e32 vcc_lo, 32, v13
	v_dual_lshlrev_b32 v26, 2, v11 :: v_dual_bitop2_b32 v14, 1, v10 bitop3:0x14
	s_mul_f32 s4, s0, 0x4f7ffffe
	v_cmp_eq_u32_e64 s0, 31, v0
	v_cndmask_b32_e32 v13, v10, v13, vcc_lo
	s_delay_alu instid0(VALU_DEP_3) | instskip(SKIP_2) | instid1(VALU_DEP_2)
	v_cmp_gt_i32_e32 vcc_lo, 32, v14
	s_cvt_u32_f32 s10, s4
	s_mov_b32 s4, s12
	v_dual_lshlrev_b32 v27, 2, v12 :: v_dual_lshlrev_b32 v28, 2, v13
	v_cndmask_b32_e32 v10, v10, v14, vcc_lo
	s_mul_i32 s11, s8, s10
	v_mov_b32_e32 v11, 0
	s_mul_u64 s[8:9], s[4:5], s[4:5]
	s_mul_hi_u32 s4, s10, s11
	v_dual_mov_b32 v10, 0 :: v_dual_lshlrev_b32 v29, 2, v10
	s_add_co_i32 s10, s10, s4
	s_mov_b32 s11, s23
	s_lshl_b32 s4, s12, 5
	s_branch .LBB8_10
.LBB8_9:                                ;   in Loop: Header=BB8_10 Depth=1
	s_wait_dscnt 0x1
	v_add_nc_u32_e32 v10, 1, v34
	s_delay_alu instid0(VALU_DEP_1) | instskip(SKIP_1) | instid1(SALU_CYCLE_1)
	v_cmp_le_i32_e32 vcc_lo, s6, v10
	s_or_b32 s26, vcc_lo, s26
	s_and_not1_b32 exec_lo, exec_lo, s26
	s_cbranch_execz .LBB8_37
.LBB8_10:                               ; =>This Loop Header: Depth=1
                                        ;     Child Loop BB8_14 Depth 2
                                        ;       Child Loop BB8_17 Depth 3
                                        ;     Child Loop BB8_31 Depth 2
	v_mov_b32_e32 v24, s6
	s_and_not1_b32 vcc_lo, exec_lo, s28
	s_cbranch_vccnz .LBB8_23
; %bb.11:                               ;   in Loop: Header=BB8_10 Depth=1
	v_mov_b32_e32 v24, s6
	s_mov_b32 s22, 0
	s_branch .LBB8_14
.LBB8_12:                               ;   in Loop: Header=BB8_14 Depth=2
	s_wait_xcnt 0x0
	s_or_b32 exec_lo, exec_lo, s29
.LBB8_13:                               ;   in Loop: Header=BB8_14 Depth=2
	s_delay_alu instid0(SALU_CYCLE_1) | instskip(SKIP_1) | instid1(SALU_CYCLE_1)
	s_or_b32 exec_lo, exec_lo, s27
	s_add_co_i32 s22, s22, 1
	s_cmp_eq_u32 s22, s13
	s_cbranch_scc1 .LBB8_23
.LBB8_14:                               ;   Parent Loop BB8_10 Depth=1
                                        ; =>  This Loop Header: Depth=2
                                        ;       Child Loop BB8_17 Depth 3
	s_lshl_b64 s[30:31], s[22:23], 2
	v_mov_b32_e32 v18, s6
	v_add_nc_u64_e32 v[12:13], s[30:31], v[2:3]
	v_add_nc_u64_e32 v[14:15], s[30:31], v[4:5]
	;; [unrolled: 1-line block ×3, first 2 shown]
	s_mov_b32 s27, exec_lo
	s_clause 0x1
	global_load_b32 v20, v[12:13], off
	global_load_b32 v34, v[14:15], off
	s_wait_xcnt 0x0
	v_add_nc_u64_e32 v[14:15], s[30:31], v[8:9]
	global_store_b32 v[14:15], v11, off
	global_store_b32 v[16:17], v18, off
	s_wait_loadcnt 0x0
	s_wait_xcnt 0x0
	v_cmpx_lt_i32_e64 v20, v34
	s_cbranch_execz .LBB8_13
; %bb.15:                               ;   in Loop: Header=BB8_14 Depth=2
	v_ashrrev_i32_e32 v21, 31, v20
	s_mov_b32 s29, 0
                                        ; implicit-def: $sgpr30
                                        ; implicit-def: $sgpr33
                                        ; implicit-def: $sgpr31
	s_delay_alu instid0(VALU_DEP_1)
	v_lshl_add_u64 v[22:23], v[20:21], 2, s[20:21]
	s_branch .LBB8_17
.LBB8_16:                               ;   in Loop: Header=BB8_17 Depth=3
	s_or_b32 exec_lo, exec_lo, s34
	s_delay_alu instid0(SALU_CYCLE_1) | instskip(NEXT) | instid1(SALU_CYCLE_1)
	s_and_b32 s34, exec_lo, s33
	s_or_b32 s29, s34, s29
	s_and_not1_b32 s30, s30, exec_lo
	s_and_b32 s34, s31, exec_lo
	s_delay_alu instid0(SALU_CYCLE_1)
	s_or_b32 s30, s30, s34
	s_and_not1_b32 exec_lo, exec_lo, s29
	s_cbranch_execz .LBB8_19
.LBB8_17:                               ;   Parent Loop BB8_10 Depth=1
                                        ;     Parent Loop BB8_14 Depth=2
                                        ; =>    This Inner Loop Header: Depth=3
	global_load_b32 v18, v[22:23], off
	s_or_b32 s31, s31, exec_lo
	s_or_b32 s33, s33, exec_lo
	s_mov_b32 s34, exec_lo
	s_wait_loadcnt 0x0
	v_subrev_nc_u32_e32 v25, s14, v18
	v_mov_b64_e32 v[18:19], v[20:21]
                                        ; implicit-def: $vgpr20_vgpr21
	s_wait_xcnt 0x0
	s_delay_alu instid0(VALU_DEP_2)
	v_cmpx_lt_i32_e64 v25, v10
	s_cbranch_execz .LBB8_16
; %bb.18:                               ;   in Loop: Header=BB8_17 Depth=3
	s_delay_alu instid0(VALU_DEP_2) | instskip(SKIP_3) | instid1(VALU_DEP_2)
	v_add_nc_u64_e32 v[20:21], 1, v[18:19]
	v_add_nc_u64_e32 v[22:23], 4, v[22:23]
	s_and_not1_b32 s33, s33, exec_lo
	s_and_not1_b32 s31, s31, exec_lo
	v_cmp_ge_i32_e32 vcc_lo, v20, v34
	s_and_b32 s35, vcc_lo, exec_lo
	s_delay_alu instid0(SALU_CYCLE_1)
	s_or_b32 s33, s33, s35
	s_branch .LBB8_16
.LBB8_19:                               ;   in Loop: Header=BB8_14 Depth=2
	s_or_b32 exec_lo, exec_lo, s29
	v_lshl_add_u64 v[20:21], v[18:19], 2, s[18:19]
	s_xor_b32 s29, s30, -1
	s_delay_alu instid0(SALU_CYCLE_1) | instskip(NEXT) | instid1(SALU_CYCLE_1)
	s_and_saveexec_b32 s30, s29
	s_xor_b32 s29, exec_lo, s30
	s_cbranch_execz .LBB8_21
; %bb.20:                               ;   in Loop: Header=BB8_14 Depth=2
	global_load_b32 v12, v[20:21], off
                                        ; implicit-def: $vgpr20_vgpr21
	s_wait_loadcnt 0x0
	global_store_b32 v[14:15], v12, off
	global_store_b32 v[16:17], v25, off
                                        ; implicit-def: $vgpr14_vgpr15
                                        ; implicit-def: $vgpr16_vgpr17
                                        ; implicit-def: $vgpr12_vgpr13
.LBB8_21:                               ;   in Loop: Header=BB8_14 Depth=2
	s_wait_xcnt 0x0
	s_and_not1_saveexec_b32 s29, s29
	s_cbranch_execz .LBB8_12
; %bb.22:                               ;   in Loop: Header=BB8_14 Depth=2
	global_load_b32 v19, v[20:21], off
	v_min_i32_e32 v24, v25, v24
	global_store_b32 v[16:17], v25, off
	s_wait_loadcnt 0x0
	global_store_b32 v[14:15], v19, off
	global_store_b32 v[12:13], v18, off
	s_branch .LBB8_12
.LBB8_23:                               ;   in Loop: Header=BB8_10 Depth=1
	ds_bpermute_b32 v10, v1, v24
	s_wait_dscnt 0x0
	v_min_i32_e32 v10, v10, v24
	ds_bpermute_b32 v12, v26, v10
	s_wait_dscnt 0x0
	v_min_i32_e32 v10, v12, v10
	;; [unrolled: 3-line block ×5, first 2 shown]
	s_delay_alu instid0(VALU_DEP_1) | instskip(SKIP_1) | instid1(SALU_CYCLE_1)
	v_cmp_gt_i32_e32 vcc_lo, s6, v12
	s_and_b32 s27, s0, vcc_lo
	s_and_saveexec_b32 s22, s27
	s_cbranch_execz .LBB8_27
; %bb.24:                               ;   in Loop: Header=BB8_10 Depth=1
	v_sub_nc_u32_e32 v10, 0, v12
	s_mov_b32 s27, exec_lo
	s_delay_alu instid0(VALU_DEP_1) | instskip(NEXT) | instid1(VALU_DEP_1)
	v_max_i32_e32 v10, v12, v10
	v_mul_u64_e32 v[14:15], s[10:11], v[10:11]
	s_delay_alu instid0(VALU_DEP_1) | instskip(NEXT) | instid1(VALU_DEP_1)
	v_mul_lo_u32 v13, v15, s24
	v_dual_sub_nc_u32 v10, v10, v13 :: v_dual_add_nc_u32 v13, 1, v15
	s_delay_alu instid0(VALU_DEP_1) | instskip(NEXT) | instid1(VALU_DEP_2)
	v_cmp_le_u32_e32 vcc_lo, s24, v10
	v_dual_cndmask_b32 v13, v15, v13, vcc_lo :: v_dual_ashrrev_i32 v15, 31, v12
	v_subrev_nc_u32_e32 v14, s24, v10
	s_delay_alu instid0(VALU_DEP_1) | instskip(NEXT) | instid1(VALU_DEP_1)
	v_dual_cndmask_b32 v10, v10, v14, vcc_lo :: v_dual_add_nc_u32 v14, 1, v13
	v_cmp_le_u32_e32 vcc_lo, s24, v10
	s_delay_alu instid0(VALU_DEP_2) | instskip(NEXT) | instid1(VALU_DEP_1)
	v_dual_cndmask_b32 v10, v13, v14, vcc_lo :: v_dual_bitop2_b32 v15, s5, v15 bitop3:0x14
	v_xor_b32_e32 v10, v10, v15
	s_delay_alu instid0(VALU_DEP_1) | instskip(NEXT) | instid1(VALU_DEP_1)
	v_sub_nc_u32_e32 v10, v10, v15
	v_cmpx_ge_i32_e64 v10, v32
	s_cbranch_execz .LBB8_26
; %bb.25:                               ;   in Loop: Header=BB8_10 Depth=1
	v_dual_add_nc_u32 v13, 1, v33 :: v_dual_add_nc_u32 v32, 1, v10
	v_dual_add_nc_u32 v14, s7, v33 :: v_dual_add_nc_u32 v10, s15, v10
	s_delay_alu instid0(VALU_DEP_2)
	v_mov_b32_e32 v33, v13
	global_store_b32 v14, v10, s[2:3] scale_offset
.LBB8_26:                               ;   in Loop: Header=BB8_10 Depth=1
	s_wait_xcnt 0x0
	s_or_b32 exec_lo, exec_lo, s27
.LBB8_27:                               ;   in Loop: Header=BB8_10 Depth=1
	s_delay_alu instid0(SALU_CYCLE_1)
	s_or_b32 exec_lo, exec_lo, s22
	ds_bpermute_b32 v34, v30, v12
	ds_bpermute_b32 v33, v30, v33
	s_and_not1_b32 vcc_lo, exec_lo, s28
	s_cbranch_vccnz .LBB8_9
; %bb.28:                               ;   in Loop: Header=BB8_10 Depth=1
	s_wait_dscnt 0x0
	v_dual_sub_nc_u32 v10, 0, v34 :: v_dual_add_nc_u32 v14, s25, v33
	s_mov_b32 s22, s13
	v_dual_mov_b32 v16, v0 :: v_dual_mov_b32 v20, v31
	s_delay_alu instid0(VALU_DEP_2) | instskip(NEXT) | instid1(VALU_DEP_1)
	v_max_i32_e32 v10, v34, v10
	v_mul_u64_e32 v[12:13], s[10:11], v[10:11]
	s_delay_alu instid0(VALU_DEP_1) | instskip(NEXT) | instid1(VALU_DEP_1)
	v_mul_lo_u32 v12, v13, s24
	v_dual_ashrrev_i32 v15, 31, v14 :: v_dual_sub_nc_u32 v10, v10, v12
	s_delay_alu instid0(VALU_DEP_1) | instskip(SKIP_1) | instid1(VALU_DEP_3)
	v_mul_u64_e32 v[18:19], s[8:9], v[14:15]
	v_add_nc_u32_e32 v12, 1, v13
	v_subrev_nc_u32_e32 v14, s24, v10
	v_cmp_le_u32_e32 vcc_lo, s24, v10
	s_delay_alu instid0(VALU_DEP_3) | instskip(NEXT) | instid1(VALU_DEP_1)
	v_dual_cndmask_b32 v12, v13, v12 :: v_dual_ashrrev_i32 v13, 31, v34
	v_dual_cndmask_b32 v10, v10, v14, vcc_lo :: v_dual_add_nc_u32 v14, 1, v12
	s_delay_alu instid0(VALU_DEP_1) | instskip(NEXT) | instid1(VALU_DEP_2)
	v_cmp_le_u32_e32 vcc_lo, s24, v10
	v_dual_cndmask_b32 v10, v12, v14, vcc_lo :: v_dual_bitop2_b32 v17, s5, v13 bitop3:0x14
	v_mov_b64_e32 v[12:13], v[8:9]
	v_mov_b64_e32 v[14:15], v[6:7]
	s_delay_alu instid0(VALU_DEP_3) | instskip(NEXT) | instid1(VALU_DEP_1)
	v_xor_b32_e32 v10, v10, v17
	v_sub_nc_u32_e32 v35, v10, v17
	v_lshl_add_u64 v[18:19], v[18:19], 2, s[16:17]
	s_branch .LBB8_31
.LBB8_29:                               ;   in Loop: Header=BB8_31 Depth=2
	s_delay_alu instid0(VALU_DEP_1) | instskip(NEXT) | instid1(VALU_DEP_1)
	v_lshl_add_u64 v[22:23], v[22:23], 2, v[18:19]
	v_lshl_add_u64 v[22:23], v[24:25], 2, v[22:23]
	s_wait_loadcnt 0x0
	global_store_b32 v[22:23], v37, off
.LBB8_30:                               ;   in Loop: Header=BB8_31 Depth=2
	s_wait_xcnt 0x0
	s_or_b32 exec_lo, exec_lo, s27
	v_add_nc_u64_e32 v[14:15], 4, v[14:15]
	v_add_nc_u64_e32 v[12:13], 4, v[12:13]
	v_add_nc_u32_e32 v20, s4, v20
	v_add_nc_u32_e32 v16, 32, v16
	s_add_co_i32 s22, s22, -1
	s_delay_alu instid0(SALU_CYCLE_1)
	s_cmp_eq_u32 s22, 0
	s_cbranch_scc1 .LBB8_9
.LBB8_31:                               ;   Parent Loop BB8_10 Depth=1
                                        ; =>  This Inner Loop Header: Depth=2
	global_load_b32 v17, v[14:15], off
	s_mov_b32 s27, exec_lo
	s_wait_loadcnt 0x0
	v_cmpx_gt_i32_e64 s6, v17
	s_cbranch_execz .LBB8_30
; %bb.32:                               ;   in Loop: Header=BB8_31 Depth=2
	v_dual_sub_nc_u32 v10, 0, v17 :: v_dual_ashrrev_i32 v36, 31, v17
	s_delay_alu instid0(VALU_DEP_1) | instskip(NEXT) | instid1(VALU_DEP_1)
	v_max_i32_e32 v10, v17, v10
	v_mul_u64_e32 v[22:23], s[10:11], v[10:11]
	s_delay_alu instid0(VALU_DEP_1) | instskip(NEXT) | instid1(VALU_DEP_1)
	v_mul_lo_u32 v21, v23, s24
	v_dual_add_nc_u32 v22, 1, v23 :: v_dual_sub_nc_u32 v21, v10, v21
	s_delay_alu instid0(VALU_DEP_1) | instskip(NEXT) | instid1(VALU_DEP_2)
	v_cmp_le_u32_e32 vcc_lo, s24, v21
	v_cndmask_b32_e32 v22, v23, v22, vcc_lo
	v_subrev_nc_u32_e32 v24, s24, v21
	s_delay_alu instid0(VALU_DEP_1) | instskip(NEXT) | instid1(VALU_DEP_1)
	v_dual_add_nc_u32 v23, 1, v22 :: v_dual_cndmask_b32 v21, v21, v24, vcc_lo
	v_cmp_le_u32_e32 vcc_lo, s24, v21
	s_delay_alu instid0(VALU_DEP_2) | instskip(NEXT) | instid1(VALU_DEP_1)
	v_dual_cndmask_b32 v21, v22, v23, vcc_lo :: v_dual_bitop2_b32 v24, s5, v36 bitop3:0x14
	v_xor_b32_e32 v21, v21, v24
	s_delay_alu instid0(VALU_DEP_1) | instskip(NEXT) | instid1(VALU_DEP_1)
	v_sub_nc_u32_e32 v21, v21, v24
	v_cmp_eq_u32_e32 vcc_lo, v21, v35
	s_and_b32 exec_lo, exec_lo, vcc_lo
	s_cbranch_execz .LBB8_30
; %bb.33:                               ;   in Loop: Header=BB8_31 Depth=2
	global_load_b32 v37, v[12:13], off
	s_and_b32 vcc_lo, exec_lo, s1
	s_cbranch_vccz .LBB8_35
; %bb.34:                               ;   in Loop: Header=BB8_31 Depth=2
	v_mul_lo_u32 v21, v35, s12
	s_delay_alu instid0(VALU_DEP_1) | instskip(NEXT) | instid1(VALU_DEP_1)
	v_sub_nc_u32_e32 v17, v17, v21
	v_mul_lo_u32 v22, v17, s12
	v_mov_b32_e32 v17, v11
	s_delay_alu instid0(VALU_DEP_1) | instskip(NEXT) | instid1(VALU_DEP_3)
	v_mov_b64_e32 v[24:25], v[16:17]
	v_ashrrev_i32_e32 v23, 31, v22
	s_cbranch_execnz .LBB8_29
	s_branch .LBB8_36
.LBB8_35:                               ;   in Loop: Header=BB8_31 Depth=2
	v_mov_b32_e32 v21, v11
                                        ; implicit-def: $vgpr24_vgpr25
	s_delay_alu instid0(VALU_DEP_1)
	v_mov_b64_e32 v[22:23], v[20:21]
.LBB8_36:                               ;   in Loop: Header=BB8_31 Depth=2
	v_mul_u64_e32 v[24:25], s[10:11], v[10:11]
	s_delay_alu instid0(VALU_DEP_1) | instskip(NEXT) | instid1(VALU_DEP_1)
	v_mul_lo_u32 v17, v25, s24
	v_sub_nc_u32_e32 v10, v10, v17
	s_delay_alu instid0(VALU_DEP_1) | instskip(SKIP_1) | instid1(VALU_DEP_2)
	v_subrev_nc_u32_e32 v17, s24, v10
	v_cmp_le_u32_e32 vcc_lo, s24, v10
	v_cndmask_b32_e32 v10, v10, v17, vcc_lo
	s_delay_alu instid0(VALU_DEP_1) | instskip(SKIP_1) | instid1(VALU_DEP_2)
	v_subrev_nc_u32_e32 v17, s24, v10
	v_cmp_le_u32_e32 vcc_lo, s24, v10
	v_cndmask_b32_e32 v10, v10, v17, vcc_lo
	s_delay_alu instid0(VALU_DEP_1) | instskip(NEXT) | instid1(VALU_DEP_1)
	v_xor_b32_e32 v10, v10, v36
	v_sub_nc_u32_e32 v24, v10, v36
	s_delay_alu instid0(VALU_DEP_1)
	v_ashrrev_i32_e32 v25, 31, v24
	s_branch .LBB8_29
.LBB8_37:
	s_endpgm
	.section	.rodata,"a",@progbits
	.p2align	6, 0x0
	.amdhsa_kernel _ZN9rocsparseL21csr2bsr_65_inf_kernelILj32EiiiEEv20rocsparse_direction_T2_S2_S2_S2_S2_S2_21rocsparse_index_base_PKT0_PKT1_PKS2_S3_PS4_PS7_PS2_SD_SE_SC_
		.amdhsa_group_segment_fixed_size 0
		.amdhsa_private_segment_fixed_size 0
		.amdhsa_kernarg_size 112
		.amdhsa_user_sgpr_count 2
		.amdhsa_user_sgpr_dispatch_ptr 0
		.amdhsa_user_sgpr_queue_ptr 0
		.amdhsa_user_sgpr_kernarg_segment_ptr 1
		.amdhsa_user_sgpr_dispatch_id 0
		.amdhsa_user_sgpr_kernarg_preload_length 0
		.amdhsa_user_sgpr_kernarg_preload_offset 0
		.amdhsa_user_sgpr_private_segment_size 0
		.amdhsa_wavefront_size32 1
		.amdhsa_uses_dynamic_stack 0
		.amdhsa_enable_private_segment 0
		.amdhsa_system_sgpr_workgroup_id_x 1
		.amdhsa_system_sgpr_workgroup_id_y 0
		.amdhsa_system_sgpr_workgroup_id_z 0
		.amdhsa_system_sgpr_workgroup_info 0
		.amdhsa_system_vgpr_workitem_id 0
		.amdhsa_next_free_vgpr 38
		.amdhsa_next_free_sgpr 36
		.amdhsa_named_barrier_count 0
		.amdhsa_reserve_vcc 1
		.amdhsa_float_round_mode_32 0
		.amdhsa_float_round_mode_16_64 0
		.amdhsa_float_denorm_mode_32 3
		.amdhsa_float_denorm_mode_16_64 3
		.amdhsa_fp16_overflow 0
		.amdhsa_memory_ordered 1
		.amdhsa_forward_progress 1
		.amdhsa_inst_pref_size 17
		.amdhsa_round_robin_scheduling 0
		.amdhsa_exception_fp_ieee_invalid_op 0
		.amdhsa_exception_fp_denorm_src 0
		.amdhsa_exception_fp_ieee_div_zero 0
		.amdhsa_exception_fp_ieee_overflow 0
		.amdhsa_exception_fp_ieee_underflow 0
		.amdhsa_exception_fp_ieee_inexact 0
		.amdhsa_exception_int_div_zero 0
	.end_amdhsa_kernel
	.section	.text._ZN9rocsparseL21csr2bsr_65_inf_kernelILj32EiiiEEv20rocsparse_direction_T2_S2_S2_S2_S2_S2_21rocsparse_index_base_PKT0_PKT1_PKS2_S3_PS4_PS7_PS2_SD_SE_SC_,"axG",@progbits,_ZN9rocsparseL21csr2bsr_65_inf_kernelILj32EiiiEEv20rocsparse_direction_T2_S2_S2_S2_S2_S2_21rocsparse_index_base_PKT0_PKT1_PKS2_S3_PS4_PS7_PS2_SD_SE_SC_,comdat
.Lfunc_end8:
	.size	_ZN9rocsparseL21csr2bsr_65_inf_kernelILj32EiiiEEv20rocsparse_direction_T2_S2_S2_S2_S2_S2_21rocsparse_index_base_PKT0_PKT1_PKS2_S3_PS4_PS7_PS2_SD_SE_SC_, .Lfunc_end8-_ZN9rocsparseL21csr2bsr_65_inf_kernelILj32EiiiEEv20rocsparse_direction_T2_S2_S2_S2_S2_S2_21rocsparse_index_base_PKT0_PKT1_PKS2_S3_PS4_PS7_PS2_SD_SE_SC_
                                        ; -- End function
	.set _ZN9rocsparseL21csr2bsr_65_inf_kernelILj32EiiiEEv20rocsparse_direction_T2_S2_S2_S2_S2_S2_21rocsparse_index_base_PKT0_PKT1_PKS2_S3_PS4_PS7_PS2_SD_SE_SC_.num_vgpr, 38
	.set _ZN9rocsparseL21csr2bsr_65_inf_kernelILj32EiiiEEv20rocsparse_direction_T2_S2_S2_S2_S2_S2_21rocsparse_index_base_PKT0_PKT1_PKS2_S3_PS4_PS7_PS2_SD_SE_SC_.num_agpr, 0
	.set _ZN9rocsparseL21csr2bsr_65_inf_kernelILj32EiiiEEv20rocsparse_direction_T2_S2_S2_S2_S2_S2_21rocsparse_index_base_PKT0_PKT1_PKS2_S3_PS4_PS7_PS2_SD_SE_SC_.numbered_sgpr, 36
	.set _ZN9rocsparseL21csr2bsr_65_inf_kernelILj32EiiiEEv20rocsparse_direction_T2_S2_S2_S2_S2_S2_21rocsparse_index_base_PKT0_PKT1_PKS2_S3_PS4_PS7_PS2_SD_SE_SC_.num_named_barrier, 0
	.set _ZN9rocsparseL21csr2bsr_65_inf_kernelILj32EiiiEEv20rocsparse_direction_T2_S2_S2_S2_S2_S2_21rocsparse_index_base_PKT0_PKT1_PKS2_S3_PS4_PS7_PS2_SD_SE_SC_.private_seg_size, 0
	.set _ZN9rocsparseL21csr2bsr_65_inf_kernelILj32EiiiEEv20rocsparse_direction_T2_S2_S2_S2_S2_S2_21rocsparse_index_base_PKT0_PKT1_PKS2_S3_PS4_PS7_PS2_SD_SE_SC_.uses_vcc, 1
	.set _ZN9rocsparseL21csr2bsr_65_inf_kernelILj32EiiiEEv20rocsparse_direction_T2_S2_S2_S2_S2_S2_21rocsparse_index_base_PKT0_PKT1_PKS2_S3_PS4_PS7_PS2_SD_SE_SC_.uses_flat_scratch, 0
	.set _ZN9rocsparseL21csr2bsr_65_inf_kernelILj32EiiiEEv20rocsparse_direction_T2_S2_S2_S2_S2_S2_21rocsparse_index_base_PKT0_PKT1_PKS2_S3_PS4_PS7_PS2_SD_SE_SC_.has_dyn_sized_stack, 0
	.set _ZN9rocsparseL21csr2bsr_65_inf_kernelILj32EiiiEEv20rocsparse_direction_T2_S2_S2_S2_S2_S2_21rocsparse_index_base_PKT0_PKT1_PKS2_S3_PS4_PS7_PS2_SD_SE_SC_.has_recursion, 0
	.set _ZN9rocsparseL21csr2bsr_65_inf_kernelILj32EiiiEEv20rocsparse_direction_T2_S2_S2_S2_S2_S2_21rocsparse_index_base_PKT0_PKT1_PKS2_S3_PS4_PS7_PS2_SD_SE_SC_.has_indirect_call, 0
	.section	.AMDGPU.csdata,"",@progbits
; Kernel info:
; codeLenInByte = 2108
; TotalNumSgprs: 38
; NumVgprs: 38
; ScratchSize: 0
; MemoryBound: 0
; FloatMode: 240
; IeeeMode: 1
; LDSByteSize: 0 bytes/workgroup (compile time only)
; SGPRBlocks: 0
; VGPRBlocks: 2
; NumSGPRsForWavesPerEU: 38
; NumVGPRsForWavesPerEU: 38
; NamedBarCnt: 0
; Occupancy: 16
; WaveLimiterHint : 0
; COMPUTE_PGM_RSRC2:SCRATCH_EN: 0
; COMPUTE_PGM_RSRC2:USER_SGPR: 2
; COMPUTE_PGM_RSRC2:TRAP_HANDLER: 0
; COMPUTE_PGM_RSRC2:TGID_X_EN: 1
; COMPUTE_PGM_RSRC2:TGID_Y_EN: 0
; COMPUTE_PGM_RSRC2:TGID_Z_EN: 0
; COMPUTE_PGM_RSRC2:TIDIG_COMP_CNT: 0
	.section	.text._ZN9rocsparseL35csr2bsr_block_dim_equals_one_kernelILj256EiliEEvT2_S1_S1_S1_21rocsparse_index_base_PKT0_PKT1_PKS1_S2_PS3_PS6_PS1_,"axG",@progbits,_ZN9rocsparseL35csr2bsr_block_dim_equals_one_kernelILj256EiliEEvT2_S1_S1_S1_21rocsparse_index_base_PKT0_PKT1_PKS1_S2_PS3_PS6_PS1_,comdat
	.globl	_ZN9rocsparseL35csr2bsr_block_dim_equals_one_kernelILj256EiliEEvT2_S1_S1_S1_21rocsparse_index_base_PKT0_PKT1_PKS1_S2_PS3_PS6_PS1_ ; -- Begin function _ZN9rocsparseL35csr2bsr_block_dim_equals_one_kernelILj256EiliEEvT2_S1_S1_S1_21rocsparse_index_base_PKT0_PKT1_PKS1_S2_PS3_PS6_PS1_
	.p2align	8
	.type	_ZN9rocsparseL35csr2bsr_block_dim_equals_one_kernelILj256EiliEEvT2_S1_S1_S1_21rocsparse_index_base_PKT0_PKT1_PKS1_S2_PS3_PS6_PS1_,@function
_ZN9rocsparseL35csr2bsr_block_dim_equals_one_kernelILj256EiliEEvT2_S1_S1_S1_21rocsparse_index_base_PKT0_PKT1_PKS1_S2_PS3_PS6_PS1_: ; @_ZN9rocsparseL35csr2bsr_block_dim_equals_one_kernelILj256EiliEEvT2_S1_S1_S1_21rocsparse_index_base_PKT0_PKT1_PKS1_S2_PS3_PS6_PS1_
; %bb.0:
	s_clause 0x1
	s_load_b32 s2, s[0:1], 0x0
	s_load_b128 s[4:7], s[0:1], 0x18
	s_bfe_u32 s3, ttmp6, 0x4000c
	s_and_b32 s8, ttmp6, 15
	s_add_co_i32 s3, s3, 1
	s_getreg_b32 s9, hwreg(HW_REG_IB_STS2, 6, 4)
	s_mul_i32 s3, ttmp9, s3
	s_delay_alu instid0(SALU_CYCLE_1)
	s_add_co_i32 s8, s8, s3
	s_wait_kmcnt 0x0
	s_ashr_i32 s3, s2, 31
	s_cmp_eq_u32 s9, 0
	s_cselect_b32 s12, ttmp9, s8
	s_lshl_b64 s[2:3], s[2:3], 3
	v_lshl_or_b32 v0, s12, 8, v0
	s_add_nc_u64 s[2:3], s[6:7], s[2:3]
	s_clause 0x1
	s_load_b64 s[8:9], s[2:3], 0x0
	s_load_b64 s[10:11], s[6:7], 0x0
	s_wait_xcnt 0x0
	s_mov_b32 s7, 0
	v_ashrrev_i32_e32 v1, 31, v0
	s_mov_b32 s6, exec_lo
	s_wait_kmcnt 0x0
	s_sub_nc_u64 s[2:3], s[8:9], s[10:11]
	s_delay_alu instid0(VALU_DEP_1) | instid1(SALU_CYCLE_1)
	v_cmpx_gt_i64_e64 s[2:3], v[0:1]
	s_cbranch_execz .LBB9_3
; %bb.1:
	s_clause 0x3
	s_load_b96 s[8:10], s[0:1], 0x48
	s_load_b96 s[12:14], s[0:1], 0x28
	s_load_b64 s[16:17], s[0:1], 0x38
	s_load_b32 s11, s[0:1], 0x10
	v_lshlrev_b64_e32 v[2:3], 2, v[0:1]
	s_wait_kmcnt 0x0
	s_lshl_b32 s6, s10, 8
	s_delay_alu instid0(SALU_CYCLE_1)
	s_lshl_b64 s[0:1], s[6:7], 2
	s_sub_co_i32 s10, s14, s11
	s_mov_b32 s11, s7
.LBB9_2:                                ; =>This Inner Loop Header: Depth=1
	s_delay_alu instid0(VALU_DEP_1)
	v_add_nc_u64_e32 v[4:5], s[12:13], v[2:3]
	v_add_nc_u64_e32 v[6:7], s[4:5], v[2:3]
	;; [unrolled: 1-line block ×3, first 2 shown]
	global_load_b32 v8, v[4:5], off
	s_wait_xcnt 0x0
	v_add_nc_u64_e32 v[4:5], s[8:9], v[2:3]
	v_cmp_le_i64_e32 vcc_lo, s[2:3], v[0:1]
	s_or_b32 s11, vcc_lo, s11
	s_wait_loadcnt 0x0
	v_add_nc_u32_e32 v8, s10, v8
	global_store_b32 v[4:5], v8, off
	global_load_b32 v6, v[6:7], off
	s_wait_xcnt 0x1
	v_add_nc_u64_e32 v[4:5], s[16:17], v[2:3]
	v_add_nc_u64_e32 v[2:3], s[0:1], v[2:3]
	s_wait_loadcnt 0x0
	global_store_b32 v[4:5], v6, off
	s_wait_xcnt 0x0
	s_and_not1_b32 exec_lo, exec_lo, s11
	s_cbranch_execnz .LBB9_2
.LBB9_3:
	s_endpgm
	.section	.rodata,"a",@progbits
	.p2align	6, 0x0
	.amdhsa_kernel _ZN9rocsparseL35csr2bsr_block_dim_equals_one_kernelILj256EiliEEvT2_S1_S1_S1_21rocsparse_index_base_PKT0_PKT1_PKS1_S2_PS3_PS6_PS1_
		.amdhsa_group_segment_fixed_size 0
		.amdhsa_private_segment_fixed_size 0
		.amdhsa_kernarg_size 336
		.amdhsa_user_sgpr_count 2
		.amdhsa_user_sgpr_dispatch_ptr 0
		.amdhsa_user_sgpr_queue_ptr 0
		.amdhsa_user_sgpr_kernarg_segment_ptr 1
		.amdhsa_user_sgpr_dispatch_id 0
		.amdhsa_user_sgpr_kernarg_preload_length 0
		.amdhsa_user_sgpr_kernarg_preload_offset 0
		.amdhsa_user_sgpr_private_segment_size 0
		.amdhsa_wavefront_size32 1
		.amdhsa_uses_dynamic_stack 0
		.amdhsa_enable_private_segment 0
		.amdhsa_system_sgpr_workgroup_id_x 1
		.amdhsa_system_sgpr_workgroup_id_y 0
		.amdhsa_system_sgpr_workgroup_id_z 0
		.amdhsa_system_sgpr_workgroup_info 0
		.amdhsa_system_vgpr_workitem_id 0
		.amdhsa_next_free_vgpr 9
		.amdhsa_next_free_sgpr 18
		.amdhsa_named_barrier_count 0
		.amdhsa_reserve_vcc 1
		.amdhsa_float_round_mode_32 0
		.amdhsa_float_round_mode_16_64 0
		.amdhsa_float_denorm_mode_32 3
		.amdhsa_float_denorm_mode_16_64 3
		.amdhsa_fp16_overflow 0
		.amdhsa_memory_ordered 1
		.amdhsa_forward_progress 1
		.amdhsa_inst_pref_size 3
		.amdhsa_round_robin_scheduling 0
		.amdhsa_exception_fp_ieee_invalid_op 0
		.amdhsa_exception_fp_denorm_src 0
		.amdhsa_exception_fp_ieee_div_zero 0
		.amdhsa_exception_fp_ieee_overflow 0
		.amdhsa_exception_fp_ieee_underflow 0
		.amdhsa_exception_fp_ieee_inexact 0
		.amdhsa_exception_int_div_zero 0
	.end_amdhsa_kernel
	.section	.text._ZN9rocsparseL35csr2bsr_block_dim_equals_one_kernelILj256EiliEEvT2_S1_S1_S1_21rocsparse_index_base_PKT0_PKT1_PKS1_S2_PS3_PS6_PS1_,"axG",@progbits,_ZN9rocsparseL35csr2bsr_block_dim_equals_one_kernelILj256EiliEEvT2_S1_S1_S1_21rocsparse_index_base_PKT0_PKT1_PKS1_S2_PS3_PS6_PS1_,comdat
.Lfunc_end9:
	.size	_ZN9rocsparseL35csr2bsr_block_dim_equals_one_kernelILj256EiliEEvT2_S1_S1_S1_21rocsparse_index_base_PKT0_PKT1_PKS1_S2_PS3_PS6_PS1_, .Lfunc_end9-_ZN9rocsparseL35csr2bsr_block_dim_equals_one_kernelILj256EiliEEvT2_S1_S1_S1_21rocsparse_index_base_PKT0_PKT1_PKS1_S2_PS3_PS6_PS1_
                                        ; -- End function
	.set _ZN9rocsparseL35csr2bsr_block_dim_equals_one_kernelILj256EiliEEvT2_S1_S1_S1_21rocsparse_index_base_PKT0_PKT1_PKS1_S2_PS3_PS6_PS1_.num_vgpr, 9
	.set _ZN9rocsparseL35csr2bsr_block_dim_equals_one_kernelILj256EiliEEvT2_S1_S1_S1_21rocsparse_index_base_PKT0_PKT1_PKS1_S2_PS3_PS6_PS1_.num_agpr, 0
	.set _ZN9rocsparseL35csr2bsr_block_dim_equals_one_kernelILj256EiliEEvT2_S1_S1_S1_21rocsparse_index_base_PKT0_PKT1_PKS1_S2_PS3_PS6_PS1_.numbered_sgpr, 18
	.set _ZN9rocsparseL35csr2bsr_block_dim_equals_one_kernelILj256EiliEEvT2_S1_S1_S1_21rocsparse_index_base_PKT0_PKT1_PKS1_S2_PS3_PS6_PS1_.num_named_barrier, 0
	.set _ZN9rocsparseL35csr2bsr_block_dim_equals_one_kernelILj256EiliEEvT2_S1_S1_S1_21rocsparse_index_base_PKT0_PKT1_PKS1_S2_PS3_PS6_PS1_.private_seg_size, 0
	.set _ZN9rocsparseL35csr2bsr_block_dim_equals_one_kernelILj256EiliEEvT2_S1_S1_S1_21rocsparse_index_base_PKT0_PKT1_PKS1_S2_PS3_PS6_PS1_.uses_vcc, 1
	.set _ZN9rocsparseL35csr2bsr_block_dim_equals_one_kernelILj256EiliEEvT2_S1_S1_S1_21rocsparse_index_base_PKT0_PKT1_PKS1_S2_PS3_PS6_PS1_.uses_flat_scratch, 0
	.set _ZN9rocsparseL35csr2bsr_block_dim_equals_one_kernelILj256EiliEEvT2_S1_S1_S1_21rocsparse_index_base_PKT0_PKT1_PKS1_S2_PS3_PS6_PS1_.has_dyn_sized_stack, 0
	.set _ZN9rocsparseL35csr2bsr_block_dim_equals_one_kernelILj256EiliEEvT2_S1_S1_S1_21rocsparse_index_base_PKT0_PKT1_PKS1_S2_PS3_PS6_PS1_.has_recursion, 0
	.set _ZN9rocsparseL35csr2bsr_block_dim_equals_one_kernelILj256EiliEEvT2_S1_S1_S1_21rocsparse_index_base_PKT0_PKT1_PKS1_S2_PS3_PS6_PS1_.has_indirect_call, 0
	.section	.AMDGPU.csdata,"",@progbits
; Kernel info:
; codeLenInByte = 328
; TotalNumSgprs: 20
; NumVgprs: 9
; ScratchSize: 0
; MemoryBound: 0
; FloatMode: 240
; IeeeMode: 1
; LDSByteSize: 0 bytes/workgroup (compile time only)
; SGPRBlocks: 0
; VGPRBlocks: 0
; NumSGPRsForWavesPerEU: 20
; NumVGPRsForWavesPerEU: 9
; NamedBarCnt: 0
; Occupancy: 16
; WaveLimiterHint : 0
; COMPUTE_PGM_RSRC2:SCRATCH_EN: 0
; COMPUTE_PGM_RSRC2:USER_SGPR: 2
; COMPUTE_PGM_RSRC2:TRAP_HANDLER: 0
; COMPUTE_PGM_RSRC2:TGID_X_EN: 1
; COMPUTE_PGM_RSRC2:TGID_Y_EN: 0
; COMPUTE_PGM_RSRC2:TGID_Z_EN: 0
; COMPUTE_PGM_RSRC2:TIDIG_COMP_CNT: 0
	.section	.text._ZN9rocsparseL42csr2bsr_wavefront_per_row_multipass_kernelILj256ELj16ELj4EiliEEv20rocsparse_direction_T4_S2_S2_S2_S2_21rocsparse_index_base_PKT2_PKT3_PKS2_S3_PS4_PS7_PS2_,"axG",@progbits,_ZN9rocsparseL42csr2bsr_wavefront_per_row_multipass_kernelILj256ELj16ELj4EiliEEv20rocsparse_direction_T4_S2_S2_S2_S2_21rocsparse_index_base_PKT2_PKT3_PKS2_S3_PS4_PS7_PS2_,comdat
	.globl	_ZN9rocsparseL42csr2bsr_wavefront_per_row_multipass_kernelILj256ELj16ELj4EiliEEv20rocsparse_direction_T4_S2_S2_S2_S2_21rocsparse_index_base_PKT2_PKT3_PKS2_S3_PS4_PS7_PS2_ ; -- Begin function _ZN9rocsparseL42csr2bsr_wavefront_per_row_multipass_kernelILj256ELj16ELj4EiliEEv20rocsparse_direction_T4_S2_S2_S2_S2_21rocsparse_index_base_PKT2_PKT3_PKS2_S3_PS4_PS7_PS2_
	.p2align	8
	.type	_ZN9rocsparseL42csr2bsr_wavefront_per_row_multipass_kernelILj256ELj16ELj4EiliEEv20rocsparse_direction_T4_S2_S2_S2_S2_21rocsparse_index_base_PKT2_PKT3_PKS2_S3_PS4_PS7_PS2_,@function
_ZN9rocsparseL42csr2bsr_wavefront_per_row_multipass_kernelILj256ELj16ELj4EiliEEv20rocsparse_direction_T4_S2_S2_S2_S2_21rocsparse_index_base_PKT2_PKT3_PKS2_S3_PS4_PS7_PS2_: ; @_ZN9rocsparseL42csr2bsr_wavefront_per_row_multipass_kernelILj256ELj16ELj4EiliEEv20rocsparse_direction_T4_S2_S2_S2_S2_21rocsparse_index_base_PKT2_PKT3_PKS2_S3_PS4_PS7_PS2_
; %bb.0:
	s_clause 0x1
	s_load_b128 s[4:7], s[0:1], 0xc
	s_load_b64 s[14:15], s[0:1], 0x0
	s_bfe_u32 s2, ttmp6, 0x4000c
	s_and_b32 s3, ttmp6, 15
	s_add_co_i32 s2, s2, 1
	s_getreg_b32 s8, hwreg(HW_REG_IB_STS2, 6, 4)
	s_mul_i32 s2, ttmp9, s2
	v_lshrrev_b32_e32 v26, 4, v0
	s_add_co_i32 s3, s3, s2
	s_cmp_eq_u32 s8, 0
	v_bfe_u32 v7, v0, 2, 2
	s_cselect_b32 s2, ttmp9, s3
	s_load_b64 s[8:9], s[0:1], 0x28
	v_lshl_or_b32 v1, s2, 4, v26
	v_mov_b64_e32 v[2:3], 0
	v_mov_b64_e32 v[12:13], 0
	s_mov_b32 s3, 0
	s_wait_kmcnt 0x0
	v_mad_u32 v4, v1, s6, v7
	v_cmp_gt_i32_e32 vcc_lo, s6, v7
	s_delay_alu instid0(VALU_DEP_2) | instskip(SKIP_1) | instid1(SALU_CYCLE_1)
	v_cmp_gt_i32_e64 s2, s15, v4
	s_and_b32 s10, vcc_lo, s2
	s_and_saveexec_b32 s11, s10
	s_cbranch_execz .LBB10_2
; %bb.1:
	global_load_b64 v[8:9], v4, s[8:9] scale_offset
	s_mov_b32 s2, s7
	s_wait_loadcnt 0x0
	v_sub_nc_u64_e64 v[12:13], v[8:9], s[2:3]
.LBB10_2:
	s_or_b32 exec_lo, exec_lo, s11
	s_and_saveexec_b32 s2, s10
	s_cbranch_execz .LBB10_4
; %bb.3:
	global_load_b64 v[2:3], v4, s[8:9] offset:8 scale_offset
	s_wait_xcnt 0x0
	s_mov_b32 s9, 0
	s_mov_b32 s8, s7
	s_wait_loadcnt 0x0
	v_sub_nc_u64_e64 v[2:3], v[2:3], s[8:9]
.LBB10_4:
	s_or_b32 exec_lo, exec_lo, s2
	s_load_b32 s8, s[0:1], 0x38
	v_mov_b64_e32 v[4:5], 0
	s_mov_b32 s3, exec_lo
	v_cmpx_gt_i32_e64 s4, v1
	s_cbranch_execz .LBB10_6
; %bb.5:
	s_load_b64 s[10:11], s[0:1], 0x48
	s_mov_b32 s9, 0
	s_wait_kmcnt 0x0
	global_load_b64 v[4:5], v1, s[10:11] scale_offset
	s_wait_loadcnt 0x0
	v_sub_nc_u64_e64 v[4:5], v[4:5], s[8:9]
.LBB10_6:
	s_or_b32 exec_lo, exec_lo, s3
	s_cmp_lt_i32 s5, 1
	s_cbranch_scc1 .LBB10_24
; %bb.7:
	s_load_b64 s[16:17], s[0:1], 0x40
	v_dual_lshlrev_b32 v8, 4, v7 :: v_dual_bitop2_b32 v6, 3, v0 bitop3:0x40
	v_and_b32_e32 v1, 0xf0, v0
	v_mbcnt_lo_u32_b32 v16, -1, 0
	s_clause 0x2
	s_load_b64 s[2:3], s[0:1], 0x50
	s_load_b64 s[10:11], s[0:1], 0x20
	;; [unrolled: 1-line block ×3, first 2 shown]
	v_mul_lo_u32 v0, s6, v6
	v_lshlrev_b32_e32 v10, 2, v6
	v_lshl_or_b32 v27, v1, 2, v8
	v_dual_mov_b32 v1, 0 :: v_dual_bitop2_b32 v8, 2, v16 bitop3:0x14
	v_xor_b32_e32 v11, 1, v16
	s_wait_xcnt 0x0
	v_cmp_gt_u32_e64 s0, s6, v6
	v_xor_b32_e32 v19, 8, v16
	v_cmp_gt_i32_e64 s1, 32, v8
	v_or_b32_e32 v28, v27, v10
	s_mov_b32 s15, 0
	v_lshlrev_b32_e32 v17, 2, v16
	s_mov_b32 s19, s15
	v_cndmask_b32_e64 v14, v16, v8, s1
	s_wait_kmcnt 0x0
	v_lshl_add_u64 v[8:9], v[0:1], 2, s[16:17]
	v_lshlrev_b32_e32 v0, 2, v7
	s_and_b32 s1, vcc_lo, s0
	s_cmp_lg_u32 s14, 0
	v_cmp_gt_i32_e32 vcc_lo, 32, v11
	s_cselect_b32 s4, -1, 0
	s_abs_i32 s9, s6
	v_add_nc_u64_e32 v[8:9], v[8:9], v[0:1]
	v_mul_lo_u32 v0, s6, v7
	s_cvt_f32_u32 s0, s9
	v_dual_cndmask_b32 v11, v16, v11, vcc_lo :: v_dual_mov_b32 v7, v1
	v_lshlrev_b32_e32 v29, 2, v14
	s_delay_alu instid0(SALU_CYCLE_1) | instskip(SKIP_1) | instid1(VALU_DEP_3)
	v_rcp_iflag_f32_e32 v18, s0
	v_cmp_gt_i32_e32 vcc_lo, 32, v19
	v_dual_lshlrev_b32 v30, 2, v11 :: v_dual_bitop2_b32 v31, 12, v17 bitop3:0x54
	v_mov_b32_e32 v11, v1
	s_mov_b32 s14, s6
	v_lshl_add_u64 v[14:15], v[0:1], 2, s[16:17]
	v_xor_b32_e32 v0, 4, v16
	v_readfirstlane_b32 s0, v18
	v_cndmask_b32_e32 v18, v16, v19, vcc_lo
	s_mul_u64 s[16:17], s[14:15], s[14:15]
	s_sub_co_i32 s14, 0, s9
	v_cmp_gt_i32_e32 vcc_lo, 32, v0
	s_mul_f32 s0, s0, 0x4f7ffffe
	v_add_nc_u64_e32 v[10:11], v[14:15], v[10:11]
	v_mov_b64_e32 v[14:15], 0
	v_dual_lshlrev_b32 v32, 2, v18 :: v_dual_cndmask_b32 v0, v16, v0, vcc_lo
	v_or_b32_e32 v34, 60, v17
	s_cvt_u32_f32 s0, s0
	v_mov_b32_e32 v35, 1
	s_ashr_i32 s18, s6, 31
	v_lshlrev_b32_e32 v33, 2, v0
	s_mul_i32 s14, s14, s0
	s_delay_alu instid0(SALU_CYCLE_1) | instskip(NEXT) | instid1(SALU_CYCLE_1)
	s_mul_hi_u32 s14, s0, s14
	s_add_co_i32 s14, s0, s14
	s_branch .LBB10_10
.LBB10_8:                               ;   in Loop: Header=BB10_10 Depth=1
	s_wait_xcnt 0x0
	s_or_b32 exec_lo, exec_lo, s20
	v_mov_b64_e32 v[16:17], 1
.LBB10_9:                               ;   in Loop: Header=BB10_10 Depth=1
	s_or_b32 exec_lo, exec_lo, s0
	s_wait_dscnt 0x0
	ds_bpermute_b32 v0, v32, v36
	v_add_nc_u64_e32 v[4:5], v[16:17], v[4:5]
	s_wait_storecnt_dscnt 0x0
	v_min_i32_e32 v0, v0, v36
	ds_bpermute_b32 v14, v33, v0
	s_wait_dscnt 0x0
	v_min_i32_e32 v0, v14, v0
	ds_bpermute_b32 v14, v29, v0
	s_wait_dscnt 0x0
	v_min_i32_e32 v0, v14, v0
	ds_bpermute_b32 v14, v30, v0
	s_wait_dscnt 0x0
	v_min_i32_e32 v0, v14, v0
	ds_bpermute_b32 v14, v34, v0
	s_wait_dscnt 0x0
	v_cmp_le_i32_e32 vcc_lo, s5, v14
	v_ashrrev_i32_e32 v15, 31, v14
	s_or_b32 s19, vcc_lo, s19
	s_delay_alu instid0(SALU_CYCLE_1)
	s_and_not1_b32 exec_lo, exec_lo, s19
	s_cbranch_execz .LBB10_24
.LBB10_10:                              ; =>This Loop Header: Depth=1
                                        ;     Child Loop BB10_13 Depth 2
	v_add_nc_u64_e32 v[12:13], v[12:13], v[6:7]
	v_mov_b64_e32 v[20:21], v[2:3]
	v_mov_b32_e32 v36, s5
	s_mov_b32 s20, exec_lo
	ds_store_b8 v26, v1 offset:1024
	ds_store_b32 v28, v1
	s_wait_dscnt 0x0
	v_cmpx_lt_i64_e64 v[12:13], v[2:3]
	s_cbranch_execz .LBB10_18
; %bb.11:                               ;   in Loop: Header=BB10_10 Depth=1
	v_lshlrev_b64_e32 v[18:19], 2, v[12:13]
	v_mov_b64_e32 v[20:21], v[2:3]
	v_mov_b32_e32 v36, s5
	s_mov_b32 s21, 0
	s_delay_alu instid0(VALU_DEP_3)
	v_add_nc_u64_e32 v[16:17], s[10:11], v[18:19]
	v_add_nc_u64_e32 v[18:19], s[12:13], v[18:19]
	s_branch .LBB10_13
.LBB10_12:                              ;   in Loop: Header=BB10_13 Depth=2
	s_wait_xcnt 0x0
	s_or_b32 exec_lo, exec_lo, s0
	v_add_nc_u64_e32 v[12:13], 4, v[12:13]
	s_xor_b32 s22, vcc_lo, -1
	v_add_nc_u64_e32 v[16:17], 16, v[16:17]
	v_add_nc_u64_e32 v[18:19], 16, v[18:19]
	s_delay_alu instid0(VALU_DEP_3) | instskip(SKIP_1) | instid1(SALU_CYCLE_1)
	v_cmp_ge_i64_e64 s0, v[12:13], v[2:3]
	s_or_b32 s0, s22, s0
	s_and_b32 s0, exec_lo, s0
	s_delay_alu instid0(SALU_CYCLE_1) | instskip(NEXT) | instid1(SALU_CYCLE_1)
	s_or_b32 s21, s0, s21
	s_and_not1_b32 exec_lo, exec_lo, s21
	s_cbranch_execz .LBB10_17
.LBB10_13:                              ;   Parent Loop BB10_10 Depth=1
                                        ; =>  This Inner Loop Header: Depth=2
	global_load_b32 v0, v[18:19], off
	s_wait_loadcnt 0x0
	v_subrev_nc_u32_e32 v37, s7, v0
	s_delay_alu instid0(VALU_DEP_1) | instskip(NEXT) | instid1(VALU_DEP_1)
	v_sub_nc_u32_e32 v0, 0, v37
	v_max_i32_e32 v0, v37, v0
	s_delay_alu instid0(VALU_DEP_1) | instskip(NEXT) | instid1(VALU_DEP_1)
	v_mul_u64_e32 v[22:23], s[14:15], v[0:1]
	v_mul_lo_u32 v22, v23, s9
	s_delay_alu instid0(VALU_DEP_1) | instskip(NEXT) | instid1(VALU_DEP_1)
	v_dual_sub_nc_u32 v0, v0, v22 :: v_dual_add_nc_u32 v22, 1, v23
	v_cmp_le_u32_e32 vcc_lo, s9, v0
	s_delay_alu instid0(VALU_DEP_2) | instskip(SKIP_1) | instid1(VALU_DEP_1)
	v_dual_cndmask_b32 v22, v23, v22 :: v_dual_ashrrev_i32 v23, 31, v37
	v_subrev_nc_u32_e32 v24, s9, v0
	v_dual_cndmask_b32 v0, v0, v24, vcc_lo :: v_dual_add_nc_u32 v24, 1, v22
	s_delay_alu instid0(VALU_DEP_1) | instskip(NEXT) | instid1(VALU_DEP_2)
	v_cmp_le_u32_e32 vcc_lo, s9, v0
	v_dual_cndmask_b32 v0, v22, v24, vcc_lo :: v_dual_bitop2_b32 v23, s18, v23 bitop3:0x14
	v_mov_b64_e32 v[24:25], v[20:21]
	s_delay_alu instid0(VALU_DEP_2) | instskip(NEXT) | instid1(VALU_DEP_1)
	v_xor_b32_e32 v0, v0, v23
	v_sub_nc_u32_e32 v22, v0, v23
	s_delay_alu instid0(VALU_DEP_1) | instskip(NEXT) | instid1(VALU_DEP_1)
	v_ashrrev_i32_e32 v23, 31, v22
	v_cmp_ne_u64_e64 s0, v[14:15], v[22:23]
	v_cmp_eq_u64_e32 vcc_lo, v[14:15], v[22:23]
	s_wait_xcnt 0x0
	s_and_saveexec_b32 s22, s0
	s_delay_alu instid0(SALU_CYCLE_1)
	s_xor_b32 s0, exec_lo, s22
; %bb.14:                               ;   in Loop: Header=BB10_13 Depth=2
	v_min_i32_e32 v36, v22, v36
                                        ; implicit-def: $vgpr22
                                        ; implicit-def: $vgpr37
                                        ; implicit-def: $vgpr24_vgpr25
; %bb.15:                               ;   in Loop: Header=BB10_13 Depth=2
	s_or_saveexec_b32 s0, s0
	v_mov_b64_e32 v[20:21], v[12:13]
	s_xor_b32 exec_lo, exec_lo, s0
	s_cbranch_execz .LBB10_12
; %bb.16:                               ;   in Loop: Header=BB10_13 Depth=2
	global_load_b32 v0, v[16:17], off
	v_mul_lo_u32 v20, v22, s6
	s_delay_alu instid0(VALU_DEP_1) | instskip(NEXT) | instid1(VALU_DEP_1)
	v_sub_nc_u32_e32 v20, v37, v20
	v_lshl_add_u32 v22, v20, 2, v27
	v_mov_b64_e32 v[20:21], v[24:25]
	ds_store_b8 v26, v35 offset:1024
	s_wait_loadcnt 0x0
	ds_store_b32 v22, v0
	s_branch .LBB10_12
.LBB10_17:                              ;   in Loop: Header=BB10_10 Depth=1
	s_or_b32 exec_lo, exec_lo, s21
.LBB10_18:                              ;   in Loop: Header=BB10_10 Depth=1
	s_delay_alu instid0(SALU_CYCLE_1)
	s_or_b32 exec_lo, exec_lo, s20
	ds_bpermute_b32 v12, v29, v20
	ds_bpermute_b32 v13, v29, v21
	s_wait_dscnt 0x0
	ds_load_u8 v0, v26 offset:1024
	s_mov_b32 s0, exec_lo
	v_min_i64 v[12:13], v[12:13], v[20:21]
	s_wait_dscnt 0x0
	v_and_b32_e32 v0, 1, v0
	ds_bpermute_b32 v16, v30, v12
	ds_bpermute_b32 v17, v30, v13
	s_wait_dscnt 0x0
	v_min_i64 v[12:13], v[16:17], v[12:13]
	v_mov_b64_e32 v[16:17], 0
	ds_bpermute_b32 v12, v31, v12
	ds_bpermute_b32 v13, v31, v13
	v_cmpx_eq_u32_e32 1, v0
	s_cbranch_execz .LBB10_9
; %bb.19:                               ;   in Loop: Header=BB10_10 Depth=1
	v_add_nc_u32_e32 v0, s8, v14
	v_lshl_add_u64 v[14:15], v[4:5], 2, s[2:3]
	global_store_b32 v[14:15], v0, off
	s_wait_xcnt 0x0
	s_and_saveexec_b32 s20, s1
	s_cbranch_execz .LBB10_8
; %bb.20:                               ;   in Loop: Header=BB10_10 Depth=1
	v_mul_u64_e32 v[14:15], s[16:17], v[4:5]
	ds_load_b32 v0, v28
	s_and_b32 vcc_lo, exec_lo, s4
	s_cbranch_vccz .LBB10_22
; %bb.21:                               ;   in Loop: Header=BB10_10 Depth=1
	v_lshl_add_u64 v[16:17], v[14:15], 2, v[8:9]
	s_wait_dscnt 0x0
	global_store_b32 v[16:17], v0, off
	s_cbranch_execnz .LBB10_8
	s_branch .LBB10_23
.LBB10_22:                              ;   in Loop: Header=BB10_10 Depth=1
.LBB10_23:                              ;   in Loop: Header=BB10_10 Depth=1
	v_lshl_add_u64 v[14:15], v[14:15], 2, v[10:11]
	s_wait_dscnt 0x0
	global_store_b32 v[14:15], v0, off
	s_branch .LBB10_8
.LBB10_24:
	s_endpgm
	.section	.rodata,"a",@progbits
	.p2align	6, 0x0
	.amdhsa_kernel _ZN9rocsparseL42csr2bsr_wavefront_per_row_multipass_kernelILj256ELj16ELj4EiliEEv20rocsparse_direction_T4_S2_S2_S2_S2_21rocsparse_index_base_PKT2_PKT3_PKS2_S3_PS4_PS7_PS2_
		.amdhsa_group_segment_fixed_size 1040
		.amdhsa_private_segment_fixed_size 0
		.amdhsa_kernarg_size 88
		.amdhsa_user_sgpr_count 2
		.amdhsa_user_sgpr_dispatch_ptr 0
		.amdhsa_user_sgpr_queue_ptr 0
		.amdhsa_user_sgpr_kernarg_segment_ptr 1
		.amdhsa_user_sgpr_dispatch_id 0
		.amdhsa_user_sgpr_kernarg_preload_length 0
		.amdhsa_user_sgpr_kernarg_preload_offset 0
		.amdhsa_user_sgpr_private_segment_size 0
		.amdhsa_wavefront_size32 1
		.amdhsa_uses_dynamic_stack 0
		.amdhsa_enable_private_segment 0
		.amdhsa_system_sgpr_workgroup_id_x 1
		.amdhsa_system_sgpr_workgroup_id_y 0
		.amdhsa_system_sgpr_workgroup_id_z 0
		.amdhsa_system_sgpr_workgroup_info 0
		.amdhsa_system_vgpr_workitem_id 0
		.amdhsa_next_free_vgpr 38
		.amdhsa_next_free_sgpr 23
		.amdhsa_named_barrier_count 0
		.amdhsa_reserve_vcc 1
		.amdhsa_float_round_mode_32 0
		.amdhsa_float_round_mode_16_64 0
		.amdhsa_float_denorm_mode_32 3
		.amdhsa_float_denorm_mode_16_64 3
		.amdhsa_fp16_overflow 0
		.amdhsa_memory_ordered 1
		.amdhsa_forward_progress 1
		.amdhsa_inst_pref_size 11
		.amdhsa_round_robin_scheduling 0
		.amdhsa_exception_fp_ieee_invalid_op 0
		.amdhsa_exception_fp_denorm_src 0
		.amdhsa_exception_fp_ieee_div_zero 0
		.amdhsa_exception_fp_ieee_overflow 0
		.amdhsa_exception_fp_ieee_underflow 0
		.amdhsa_exception_fp_ieee_inexact 0
		.amdhsa_exception_int_div_zero 0
	.end_amdhsa_kernel
	.section	.text._ZN9rocsparseL42csr2bsr_wavefront_per_row_multipass_kernelILj256ELj16ELj4EiliEEv20rocsparse_direction_T4_S2_S2_S2_S2_21rocsparse_index_base_PKT2_PKT3_PKS2_S3_PS4_PS7_PS2_,"axG",@progbits,_ZN9rocsparseL42csr2bsr_wavefront_per_row_multipass_kernelILj256ELj16ELj4EiliEEv20rocsparse_direction_T4_S2_S2_S2_S2_21rocsparse_index_base_PKT2_PKT3_PKS2_S3_PS4_PS7_PS2_,comdat
.Lfunc_end10:
	.size	_ZN9rocsparseL42csr2bsr_wavefront_per_row_multipass_kernelILj256ELj16ELj4EiliEEv20rocsparse_direction_T4_S2_S2_S2_S2_21rocsparse_index_base_PKT2_PKT3_PKS2_S3_PS4_PS7_PS2_, .Lfunc_end10-_ZN9rocsparseL42csr2bsr_wavefront_per_row_multipass_kernelILj256ELj16ELj4EiliEEv20rocsparse_direction_T4_S2_S2_S2_S2_21rocsparse_index_base_PKT2_PKT3_PKS2_S3_PS4_PS7_PS2_
                                        ; -- End function
	.set _ZN9rocsparseL42csr2bsr_wavefront_per_row_multipass_kernelILj256ELj16ELj4EiliEEv20rocsparse_direction_T4_S2_S2_S2_S2_21rocsparse_index_base_PKT2_PKT3_PKS2_S3_PS4_PS7_PS2_.num_vgpr, 38
	.set _ZN9rocsparseL42csr2bsr_wavefront_per_row_multipass_kernelILj256ELj16ELj4EiliEEv20rocsparse_direction_T4_S2_S2_S2_S2_21rocsparse_index_base_PKT2_PKT3_PKS2_S3_PS4_PS7_PS2_.num_agpr, 0
	.set _ZN9rocsparseL42csr2bsr_wavefront_per_row_multipass_kernelILj256ELj16ELj4EiliEEv20rocsparse_direction_T4_S2_S2_S2_S2_21rocsparse_index_base_PKT2_PKT3_PKS2_S3_PS4_PS7_PS2_.numbered_sgpr, 23
	.set _ZN9rocsparseL42csr2bsr_wavefront_per_row_multipass_kernelILj256ELj16ELj4EiliEEv20rocsparse_direction_T4_S2_S2_S2_S2_21rocsparse_index_base_PKT2_PKT3_PKS2_S3_PS4_PS7_PS2_.num_named_barrier, 0
	.set _ZN9rocsparseL42csr2bsr_wavefront_per_row_multipass_kernelILj256ELj16ELj4EiliEEv20rocsparse_direction_T4_S2_S2_S2_S2_21rocsparse_index_base_PKT2_PKT3_PKS2_S3_PS4_PS7_PS2_.private_seg_size, 0
	.set _ZN9rocsparseL42csr2bsr_wavefront_per_row_multipass_kernelILj256ELj16ELj4EiliEEv20rocsparse_direction_T4_S2_S2_S2_S2_21rocsparse_index_base_PKT2_PKT3_PKS2_S3_PS4_PS7_PS2_.uses_vcc, 1
	.set _ZN9rocsparseL42csr2bsr_wavefront_per_row_multipass_kernelILj256ELj16ELj4EiliEEv20rocsparse_direction_T4_S2_S2_S2_S2_21rocsparse_index_base_PKT2_PKT3_PKS2_S3_PS4_PS7_PS2_.uses_flat_scratch, 0
	.set _ZN9rocsparseL42csr2bsr_wavefront_per_row_multipass_kernelILj256ELj16ELj4EiliEEv20rocsparse_direction_T4_S2_S2_S2_S2_21rocsparse_index_base_PKT2_PKT3_PKS2_S3_PS4_PS7_PS2_.has_dyn_sized_stack, 0
	.set _ZN9rocsparseL42csr2bsr_wavefront_per_row_multipass_kernelILj256ELj16ELj4EiliEEv20rocsparse_direction_T4_S2_S2_S2_S2_21rocsparse_index_base_PKT2_PKT3_PKS2_S3_PS4_PS7_PS2_.has_recursion, 0
	.set _ZN9rocsparseL42csr2bsr_wavefront_per_row_multipass_kernelILj256ELj16ELj4EiliEEv20rocsparse_direction_T4_S2_S2_S2_S2_21rocsparse_index_base_PKT2_PKT3_PKS2_S3_PS4_PS7_PS2_.has_indirect_call, 0
	.section	.AMDGPU.csdata,"",@progbits
; Kernel info:
; codeLenInByte = 1396
; TotalNumSgprs: 25
; NumVgprs: 38
; ScratchSize: 0
; MemoryBound: 0
; FloatMode: 240
; IeeeMode: 1
; LDSByteSize: 1040 bytes/workgroup (compile time only)
; SGPRBlocks: 0
; VGPRBlocks: 2
; NumSGPRsForWavesPerEU: 25
; NumVGPRsForWavesPerEU: 38
; NamedBarCnt: 0
; Occupancy: 16
; WaveLimiterHint : 0
; COMPUTE_PGM_RSRC2:SCRATCH_EN: 0
; COMPUTE_PGM_RSRC2:USER_SGPR: 2
; COMPUTE_PGM_RSRC2:TRAP_HANDLER: 0
; COMPUTE_PGM_RSRC2:TGID_X_EN: 1
; COMPUTE_PGM_RSRC2:TGID_Y_EN: 0
; COMPUTE_PGM_RSRC2:TGID_Z_EN: 0
; COMPUTE_PGM_RSRC2:TIDIG_COMP_CNT: 0
	.section	.text._ZN9rocsparseL42csr2bsr_wavefront_per_row_multipass_kernelILj256ELj64ELj8EiliEEv20rocsparse_direction_T4_S2_S2_S2_S2_21rocsparse_index_base_PKT2_PKT3_PKS2_S3_PS4_PS7_PS2_,"axG",@progbits,_ZN9rocsparseL42csr2bsr_wavefront_per_row_multipass_kernelILj256ELj64ELj8EiliEEv20rocsparse_direction_T4_S2_S2_S2_S2_21rocsparse_index_base_PKT2_PKT3_PKS2_S3_PS4_PS7_PS2_,comdat
	.globl	_ZN9rocsparseL42csr2bsr_wavefront_per_row_multipass_kernelILj256ELj64ELj8EiliEEv20rocsparse_direction_T4_S2_S2_S2_S2_21rocsparse_index_base_PKT2_PKT3_PKS2_S3_PS4_PS7_PS2_ ; -- Begin function _ZN9rocsparseL42csr2bsr_wavefront_per_row_multipass_kernelILj256ELj64ELj8EiliEEv20rocsparse_direction_T4_S2_S2_S2_S2_21rocsparse_index_base_PKT2_PKT3_PKS2_S3_PS4_PS7_PS2_
	.p2align	8
	.type	_ZN9rocsparseL42csr2bsr_wavefront_per_row_multipass_kernelILj256ELj64ELj8EiliEEv20rocsparse_direction_T4_S2_S2_S2_S2_21rocsparse_index_base_PKT2_PKT3_PKS2_S3_PS4_PS7_PS2_,@function
_ZN9rocsparseL42csr2bsr_wavefront_per_row_multipass_kernelILj256ELj64ELj8EiliEEv20rocsparse_direction_T4_S2_S2_S2_S2_21rocsparse_index_base_PKT2_PKT3_PKS2_S3_PS4_PS7_PS2_: ; @_ZN9rocsparseL42csr2bsr_wavefront_per_row_multipass_kernelILj256ELj64ELj8EiliEEv20rocsparse_direction_T4_S2_S2_S2_S2_21rocsparse_index_base_PKT2_PKT3_PKS2_S3_PS4_PS7_PS2_
; %bb.0:
	s_clause 0x1
	s_load_b128 s[4:7], s[0:1], 0xc
	s_load_b64 s[14:15], s[0:1], 0x0
	s_bfe_u32 s2, ttmp6, 0x4000c
	s_and_b32 s3, ttmp6, 15
	s_add_co_i32 s2, s2, 1
	s_getreg_b32 s8, hwreg(HW_REG_IB_STS2, 6, 4)
	s_mul_i32 s2, ttmp9, s2
	v_lshrrev_b32_e32 v26, 6, v0
	s_add_co_i32 s3, s3, s2
	s_cmp_eq_u32 s8, 0
	v_bfe_u32 v12, v0, 3, 3
	s_cselect_b32 s2, ttmp9, s3
	s_load_b64 s[8:9], s[0:1], 0x28
	v_lshl_or_b32 v1, s2, 2, v26
	v_mov_b64_e32 v[2:3], 0
	v_mov_b64_e32 v[10:11], 0
	s_mov_b32 s3, 0
	s_wait_kmcnt 0x0
	v_mad_u32 v4, v1, s6, v12
	v_cmp_gt_i32_e32 vcc_lo, s6, v12
	s_delay_alu instid0(VALU_DEP_2) | instskip(SKIP_1) | instid1(SALU_CYCLE_1)
	v_cmp_gt_i32_e64 s2, s15, v4
	s_and_b32 s10, vcc_lo, s2
	s_and_saveexec_b32 s11, s10
	s_cbranch_execz .LBB11_2
; %bb.1:
	global_load_b64 v[6:7], v4, s[8:9] scale_offset
	s_mov_b32 s2, s7
	s_wait_loadcnt 0x0
	v_sub_nc_u64_e64 v[10:11], v[6:7], s[2:3]
.LBB11_2:
	s_or_b32 exec_lo, exec_lo, s11
	s_and_saveexec_b32 s2, s10
	s_cbranch_execz .LBB11_4
; %bb.3:
	global_load_b64 v[2:3], v4, s[8:9] offset:8 scale_offset
	s_wait_xcnt 0x0
	s_mov_b32 s9, 0
	s_mov_b32 s8, s7
	s_wait_loadcnt 0x0
	v_sub_nc_u64_e64 v[2:3], v[2:3], s[8:9]
.LBB11_4:
	s_or_b32 exec_lo, exec_lo, s2
	s_load_b32 s8, s[0:1], 0x38
	v_mov_b64_e32 v[4:5], 0
	s_mov_b32 s3, exec_lo
	v_cmpx_gt_i32_e64 s4, v1
	s_cbranch_execz .LBB11_6
; %bb.5:
	s_load_b64 s[10:11], s[0:1], 0x48
	s_mov_b32 s9, 0
	s_wait_kmcnt 0x0
	global_load_b64 v[4:5], v1, s[10:11] scale_offset
	s_wait_loadcnt 0x0
	v_sub_nc_u64_e64 v[4:5], v[4:5], s[8:9]
.LBB11_6:
	s_or_b32 exec_lo, exec_lo, s3
	s_cmp_lt_i32 s5, 1
	s_cbranch_scc1 .LBB11_24
; %bb.7:
	v_and_b32_e32 v6, 7, v0
	v_and_b32_e32 v0, 0xc0, v0
	v_lshlrev_b32_e32 v1, 5, v12
	v_mbcnt_lo_u32_b32 v16, -1, 0
	s_clause 0x3
	s_load_b64 s[18:19], s[0:1], 0x40
	s_load_b64 s[2:3], s[0:1], 0x50
	;; [unrolled: 1-line block ×4, first 2 shown]
	s_mov_b32 s15, 0
	v_bfrev_b32_e32 v36, 0.5
	v_lshl_or_b32 v27, v0, 2, v1
	v_dual_mov_b32 v1, 0 :: v_dual_bitop2_b32 v9, 2, v16 bitop3:0x14
	v_xor_b32_e32 v7, 4, v16
	v_mul_lo_u32 v0, s6, v6
	v_dual_lshlrev_b32 v14, 2, v6 :: v_dual_bitop2_b32 v15, 1, v16 bitop3:0x14
	v_or_b32_e32 v17, 32, v16
	s_wait_xcnt 0x0
	v_cmp_gt_i32_e64 s0, 32, v7
	v_lshl_or_b32 v32, v16, 2, 28
	v_or_b32_e32 v28, v27, v14
	v_cmp_gt_i32_e64 s1, 32, v15
	s_delay_alu instid0(VALU_DEP_4) | instskip(SKIP_2) | instid1(VALU_DEP_1)
	v_dual_mov_b32 v37, 1 :: v_dual_cndmask_b32 v8, v16, v7, s0
	v_mov_b32_e32 v7, v1
	v_cmp_gt_i32_e64 s0, 32, v9
	v_dual_cndmask_b32 v13, v16, v9, s0 :: v_dual_lshlrev_b32 v29, 2, v8
	s_wait_kmcnt 0x0
	v_lshl_add_u64 v[8:9], v[0:1], 2, s[18:19]
	v_lshlrev_b32_e32 v0, 2, v12
	v_cmp_gt_u32_e64 s0, s6, v6
	v_dual_lshlrev_b32 v30, 2, v13 :: v_dual_cndmask_b32 v13, v16, v15, s1
	v_mov_b32_e32 v15, v1
	s_delay_alu instid0(VALU_DEP_4)
	v_add_nc_u64_e32 v[8:9], v[8:9], v[0:1]
	v_mul_lo_u32 v0, s6, v12
	s_and_b32 s1, vcc_lo, s0
	s_cmp_lg_u32 s14, 0
	v_lshlrev_b32_e32 v31, 2, v13
	s_cselect_b32 s4, -1, 0
	s_abs_i32 s9, s6
	v_cmp_gt_i32_e32 vcc_lo, 32, v17
	s_cvt_f32_u32 s0, s9
	s_mov_b32 s14, s6
	s_delay_alu instid0(SALU_CYCLE_1) | instskip(NEXT) | instid1(SALU_CYCLE_1)
	s_mul_u64 s[16:17], s[14:15], s[14:15]
	v_rcp_iflag_f32_e32 v18, s0
	v_lshl_add_u64 v[12:13], v[0:1], 2, s[18:19]
	v_dual_cndmask_b32 v17, v16, v17, vcc_lo :: v_dual_bitop2_b32 v0, 16, v16 bitop3:0x14
	v_xor_b32_e32 v19, 8, v16
	s_sub_co_i32 s14, 0, s9
	s_delay_alu instid0(VALU_DEP_3) | instskip(NEXT) | instid1(VALU_DEP_3)
	v_add_nc_u64_e32 v[12:13], v[12:13], v[14:15]
	v_cmp_gt_i32_e32 vcc_lo, 32, v0
	v_readfirstlane_b32 s0, v18
	v_lshlrev_b32_e32 v33, 2, v17
	v_mov_b64_e32 v[14:15], 0
	s_ashr_i32 s18, s6, 31
	v_cndmask_b32_e32 v0, v16, v0, vcc_lo
	v_cmp_gt_i32_e32 vcc_lo, 32, v19
	s_mul_f32 s0, s0, 0x4f7ffffe
	s_mov_b32 s19, s15
	v_cndmask_b32_e32 v16, v16, v19, vcc_lo
	s_delay_alu instid0(SALU_CYCLE_1) | instskip(SKIP_1) | instid1(SALU_CYCLE_2)
	s_cvt_u32_f32 s0, s0
	v_lshlrev_b32_e32 v34, 2, v0
	s_mul_i32 s14, s14, s0
	s_delay_alu instid0(VALU_DEP_2) | instskip(SKIP_1) | instid1(SALU_CYCLE_1)
	v_lshlrev_b32_e32 v35, 2, v16
	s_mul_hi_u32 s14, s0, s14
	s_add_co_i32 s14, s0, s14
	s_branch .LBB11_10
.LBB11_8:                               ;   in Loop: Header=BB11_10 Depth=1
	s_wait_xcnt 0x0
	s_or_b32 exec_lo, exec_lo, s20
	v_mov_b64_e32 v[16:17], 1
.LBB11_9:                               ;   in Loop: Header=BB11_10 Depth=1
	s_or_b32 exec_lo, exec_lo, s0
	s_wait_dscnt 0x0
	ds_bpermute_b32 v0, v33, v38
	v_add_nc_u64_e32 v[4:5], v[16:17], v[4:5]
	s_wait_storecnt_dscnt 0x0
	v_min_i32_e32 v0, v0, v38
	ds_bpermute_b32 v14, v34, v0
	s_wait_dscnt 0x0
	v_min_i32_e32 v0, v14, v0
	ds_bpermute_b32 v14, v35, v0
	s_wait_dscnt 0x0
	;; [unrolled: 3-line block ×6, first 2 shown]
	v_cmp_le_i32_e32 vcc_lo, s5, v14
	v_ashrrev_i32_e32 v15, 31, v14
	s_or_b32 s19, vcc_lo, s19
	s_delay_alu instid0(SALU_CYCLE_1)
	s_and_not1_b32 exec_lo, exec_lo, s19
	s_cbranch_execz .LBB11_24
.LBB11_10:                              ; =>This Loop Header: Depth=1
                                        ;     Child Loop BB11_13 Depth 2
	v_add_nc_u64_e32 v[10:11], v[10:11], v[6:7]
	v_mov_b64_e32 v[20:21], v[2:3]
	v_mov_b32_e32 v38, s5
	s_mov_b32 s20, exec_lo
	ds_store_b8 v26, v1 offset:1024
	ds_store_b32 v28, v1
	s_wait_dscnt 0x0
	v_cmpx_lt_i64_e64 v[10:11], v[2:3]
	s_cbranch_execz .LBB11_18
; %bb.11:                               ;   in Loop: Header=BB11_10 Depth=1
	v_lshlrev_b64_e32 v[18:19], 2, v[10:11]
	v_mov_b64_e32 v[20:21], v[2:3]
	v_mov_b32_e32 v38, s5
	s_mov_b32 s21, 0
	s_delay_alu instid0(VALU_DEP_3)
	v_add_nc_u64_e32 v[16:17], s[10:11], v[18:19]
	v_add_nc_u64_e32 v[18:19], s[12:13], v[18:19]
	s_branch .LBB11_13
.LBB11_12:                              ;   in Loop: Header=BB11_13 Depth=2
	s_wait_xcnt 0x0
	s_or_b32 exec_lo, exec_lo, s0
	v_add_nc_u64_e32 v[10:11], 8, v[10:11]
	s_xor_b32 s22, vcc_lo, -1
	v_add_nc_u64_e32 v[16:17], 32, v[16:17]
	v_add_nc_u64_e32 v[18:19], 32, v[18:19]
	s_delay_alu instid0(VALU_DEP_3) | instskip(SKIP_1) | instid1(SALU_CYCLE_1)
	v_cmp_ge_i64_e64 s0, v[10:11], v[2:3]
	s_or_b32 s0, s22, s0
	s_and_b32 s0, exec_lo, s0
	s_delay_alu instid0(SALU_CYCLE_1) | instskip(NEXT) | instid1(SALU_CYCLE_1)
	s_or_b32 s21, s0, s21
	s_and_not1_b32 exec_lo, exec_lo, s21
	s_cbranch_execz .LBB11_17
.LBB11_13:                              ;   Parent Loop BB11_10 Depth=1
                                        ; =>  This Inner Loop Header: Depth=2
	global_load_b32 v0, v[18:19], off
	s_wait_loadcnt 0x0
	v_subrev_nc_u32_e32 v39, s7, v0
	s_delay_alu instid0(VALU_DEP_1) | instskip(NEXT) | instid1(VALU_DEP_1)
	v_sub_nc_u32_e32 v0, 0, v39
	v_max_i32_e32 v0, v39, v0
	s_delay_alu instid0(VALU_DEP_1) | instskip(NEXT) | instid1(VALU_DEP_1)
	v_mul_u64_e32 v[22:23], s[14:15], v[0:1]
	v_mul_lo_u32 v22, v23, s9
	s_delay_alu instid0(VALU_DEP_1) | instskip(NEXT) | instid1(VALU_DEP_1)
	v_dual_sub_nc_u32 v0, v0, v22 :: v_dual_add_nc_u32 v22, 1, v23
	v_cmp_le_u32_e32 vcc_lo, s9, v0
	s_delay_alu instid0(VALU_DEP_2) | instskip(SKIP_1) | instid1(VALU_DEP_1)
	v_dual_cndmask_b32 v22, v23, v22 :: v_dual_ashrrev_i32 v23, 31, v39
	v_subrev_nc_u32_e32 v24, s9, v0
	v_dual_cndmask_b32 v0, v0, v24, vcc_lo :: v_dual_add_nc_u32 v24, 1, v22
	s_delay_alu instid0(VALU_DEP_1) | instskip(NEXT) | instid1(VALU_DEP_2)
	v_cmp_le_u32_e32 vcc_lo, s9, v0
	v_dual_cndmask_b32 v0, v22, v24, vcc_lo :: v_dual_bitop2_b32 v23, s18, v23 bitop3:0x14
	v_mov_b64_e32 v[24:25], v[20:21]
	s_delay_alu instid0(VALU_DEP_2) | instskip(NEXT) | instid1(VALU_DEP_1)
	v_xor_b32_e32 v0, v0, v23
	v_sub_nc_u32_e32 v22, v0, v23
	s_delay_alu instid0(VALU_DEP_1) | instskip(NEXT) | instid1(VALU_DEP_1)
	v_ashrrev_i32_e32 v23, 31, v22
	v_cmp_ne_u64_e64 s0, v[14:15], v[22:23]
	v_cmp_eq_u64_e32 vcc_lo, v[14:15], v[22:23]
	s_wait_xcnt 0x0
	s_and_saveexec_b32 s22, s0
	s_delay_alu instid0(SALU_CYCLE_1)
	s_xor_b32 s0, exec_lo, s22
; %bb.14:                               ;   in Loop: Header=BB11_13 Depth=2
	v_min_i32_e32 v38, v22, v38
                                        ; implicit-def: $vgpr22
                                        ; implicit-def: $vgpr39
                                        ; implicit-def: $vgpr24_vgpr25
; %bb.15:                               ;   in Loop: Header=BB11_13 Depth=2
	s_or_saveexec_b32 s0, s0
	v_mov_b64_e32 v[20:21], v[10:11]
	s_xor_b32 exec_lo, exec_lo, s0
	s_cbranch_execz .LBB11_12
; %bb.16:                               ;   in Loop: Header=BB11_13 Depth=2
	global_load_b32 v0, v[16:17], off
	v_mul_lo_u32 v20, v22, s6
	s_delay_alu instid0(VALU_DEP_1) | instskip(NEXT) | instid1(VALU_DEP_1)
	v_sub_nc_u32_e32 v20, v39, v20
	v_lshl_add_u32 v22, v20, 2, v27
	v_mov_b64_e32 v[20:21], v[24:25]
	ds_store_b8 v26, v37 offset:1024
	s_wait_loadcnt 0x0
	ds_store_b32 v22, v0
	s_branch .LBB11_12
.LBB11_17:                              ;   in Loop: Header=BB11_10 Depth=1
	s_or_b32 exec_lo, exec_lo, s21
.LBB11_18:                              ;   in Loop: Header=BB11_10 Depth=1
	s_delay_alu instid0(SALU_CYCLE_1)
	s_or_b32 exec_lo, exec_lo, s20
	ds_bpermute_b32 v10, v29, v20
	ds_bpermute_b32 v11, v29, v21
	s_wait_dscnt 0x0
	ds_load_u8 v0, v26 offset:1024
	s_mov_b32 s0, exec_lo
	v_min_i64 v[10:11], v[10:11], v[20:21]
	s_wait_dscnt 0x0
	v_and_b32_e32 v0, 1, v0
	ds_bpermute_b32 v16, v30, v10
	ds_bpermute_b32 v17, v30, v11
	s_wait_dscnt 0x0
	v_min_i64 v[10:11], v[16:17], v[10:11]
	ds_bpermute_b32 v16, v31, v10
	ds_bpermute_b32 v17, v31, v11
	s_wait_dscnt 0x0
	v_min_i64 v[10:11], v[16:17], v[10:11]
	v_mov_b64_e32 v[16:17], 0
	ds_bpermute_b32 v10, v32, v10
	ds_bpermute_b32 v11, v32, v11
	v_cmpx_eq_u32_e32 1, v0
	s_cbranch_execz .LBB11_9
; %bb.19:                               ;   in Loop: Header=BB11_10 Depth=1
	v_add_nc_u32_e32 v0, s8, v14
	v_lshl_add_u64 v[14:15], v[4:5], 2, s[2:3]
	global_store_b32 v[14:15], v0, off
	s_wait_xcnt 0x0
	s_and_saveexec_b32 s20, s1
	s_cbranch_execz .LBB11_8
; %bb.20:                               ;   in Loop: Header=BB11_10 Depth=1
	v_mul_u64_e32 v[14:15], s[16:17], v[4:5]
	ds_load_b32 v0, v28
	s_and_b32 vcc_lo, exec_lo, s4
	s_cbranch_vccz .LBB11_22
; %bb.21:                               ;   in Loop: Header=BB11_10 Depth=1
	v_lshl_add_u64 v[16:17], v[14:15], 2, v[8:9]
	s_wait_dscnt 0x0
	global_store_b32 v[16:17], v0, off
	s_cbranch_execnz .LBB11_8
	s_branch .LBB11_23
.LBB11_22:                              ;   in Loop: Header=BB11_10 Depth=1
.LBB11_23:                              ;   in Loop: Header=BB11_10 Depth=1
	v_lshl_add_u64 v[14:15], v[14:15], 2, v[12:13]
	s_wait_dscnt 0x0
	global_store_b32 v[14:15], v0, off
	s_branch .LBB11_8
.LBB11_24:
	s_endpgm
	.section	.rodata,"a",@progbits
	.p2align	6, 0x0
	.amdhsa_kernel _ZN9rocsparseL42csr2bsr_wavefront_per_row_multipass_kernelILj256ELj64ELj8EiliEEv20rocsparse_direction_T4_S2_S2_S2_S2_21rocsparse_index_base_PKT2_PKT3_PKS2_S3_PS4_PS7_PS2_
		.amdhsa_group_segment_fixed_size 1028
		.amdhsa_private_segment_fixed_size 0
		.amdhsa_kernarg_size 88
		.amdhsa_user_sgpr_count 2
		.amdhsa_user_sgpr_dispatch_ptr 0
		.amdhsa_user_sgpr_queue_ptr 0
		.amdhsa_user_sgpr_kernarg_segment_ptr 1
		.amdhsa_user_sgpr_dispatch_id 0
		.amdhsa_user_sgpr_kernarg_preload_length 0
		.amdhsa_user_sgpr_kernarg_preload_offset 0
		.amdhsa_user_sgpr_private_segment_size 0
		.amdhsa_wavefront_size32 1
		.amdhsa_uses_dynamic_stack 0
		.amdhsa_enable_private_segment 0
		.amdhsa_system_sgpr_workgroup_id_x 1
		.amdhsa_system_sgpr_workgroup_id_y 0
		.amdhsa_system_sgpr_workgroup_id_z 0
		.amdhsa_system_sgpr_workgroup_info 0
		.amdhsa_system_vgpr_workitem_id 0
		.amdhsa_next_free_vgpr 40
		.amdhsa_next_free_sgpr 23
		.amdhsa_named_barrier_count 0
		.amdhsa_reserve_vcc 1
		.amdhsa_float_round_mode_32 0
		.amdhsa_float_round_mode_16_64 0
		.amdhsa_float_denorm_mode_32 3
		.amdhsa_float_denorm_mode_16_64 3
		.amdhsa_fp16_overflow 0
		.amdhsa_memory_ordered 1
		.amdhsa_forward_progress 1
		.amdhsa_inst_pref_size 12
		.amdhsa_round_robin_scheduling 0
		.amdhsa_exception_fp_ieee_invalid_op 0
		.amdhsa_exception_fp_denorm_src 0
		.amdhsa_exception_fp_ieee_div_zero 0
		.amdhsa_exception_fp_ieee_overflow 0
		.amdhsa_exception_fp_ieee_underflow 0
		.amdhsa_exception_fp_ieee_inexact 0
		.amdhsa_exception_int_div_zero 0
	.end_amdhsa_kernel
	.section	.text._ZN9rocsparseL42csr2bsr_wavefront_per_row_multipass_kernelILj256ELj64ELj8EiliEEv20rocsparse_direction_T4_S2_S2_S2_S2_21rocsparse_index_base_PKT2_PKT3_PKS2_S3_PS4_PS7_PS2_,"axG",@progbits,_ZN9rocsparseL42csr2bsr_wavefront_per_row_multipass_kernelILj256ELj64ELj8EiliEEv20rocsparse_direction_T4_S2_S2_S2_S2_21rocsparse_index_base_PKT2_PKT3_PKS2_S3_PS4_PS7_PS2_,comdat
.Lfunc_end11:
	.size	_ZN9rocsparseL42csr2bsr_wavefront_per_row_multipass_kernelILj256ELj64ELj8EiliEEv20rocsparse_direction_T4_S2_S2_S2_S2_21rocsparse_index_base_PKT2_PKT3_PKS2_S3_PS4_PS7_PS2_, .Lfunc_end11-_ZN9rocsparseL42csr2bsr_wavefront_per_row_multipass_kernelILj256ELj64ELj8EiliEEv20rocsparse_direction_T4_S2_S2_S2_S2_21rocsparse_index_base_PKT2_PKT3_PKS2_S3_PS4_PS7_PS2_
                                        ; -- End function
	.set _ZN9rocsparseL42csr2bsr_wavefront_per_row_multipass_kernelILj256ELj64ELj8EiliEEv20rocsparse_direction_T4_S2_S2_S2_S2_21rocsparse_index_base_PKT2_PKT3_PKS2_S3_PS4_PS7_PS2_.num_vgpr, 40
	.set _ZN9rocsparseL42csr2bsr_wavefront_per_row_multipass_kernelILj256ELj64ELj8EiliEEv20rocsparse_direction_T4_S2_S2_S2_S2_21rocsparse_index_base_PKT2_PKT3_PKS2_S3_PS4_PS7_PS2_.num_agpr, 0
	.set _ZN9rocsparseL42csr2bsr_wavefront_per_row_multipass_kernelILj256ELj64ELj8EiliEEv20rocsparse_direction_T4_S2_S2_S2_S2_21rocsparse_index_base_PKT2_PKT3_PKS2_S3_PS4_PS7_PS2_.numbered_sgpr, 23
	.set _ZN9rocsparseL42csr2bsr_wavefront_per_row_multipass_kernelILj256ELj64ELj8EiliEEv20rocsparse_direction_T4_S2_S2_S2_S2_21rocsparse_index_base_PKT2_PKT3_PKS2_S3_PS4_PS7_PS2_.num_named_barrier, 0
	.set _ZN9rocsparseL42csr2bsr_wavefront_per_row_multipass_kernelILj256ELj64ELj8EiliEEv20rocsparse_direction_T4_S2_S2_S2_S2_21rocsparse_index_base_PKT2_PKT3_PKS2_S3_PS4_PS7_PS2_.private_seg_size, 0
	.set _ZN9rocsparseL42csr2bsr_wavefront_per_row_multipass_kernelILj256ELj64ELj8EiliEEv20rocsparse_direction_T4_S2_S2_S2_S2_21rocsparse_index_base_PKT2_PKT3_PKS2_S3_PS4_PS7_PS2_.uses_vcc, 1
	.set _ZN9rocsparseL42csr2bsr_wavefront_per_row_multipass_kernelILj256ELj64ELj8EiliEEv20rocsparse_direction_T4_S2_S2_S2_S2_21rocsparse_index_base_PKT2_PKT3_PKS2_S3_PS4_PS7_PS2_.uses_flat_scratch, 0
	.set _ZN9rocsparseL42csr2bsr_wavefront_per_row_multipass_kernelILj256ELj64ELj8EiliEEv20rocsparse_direction_T4_S2_S2_S2_S2_21rocsparse_index_base_PKT2_PKT3_PKS2_S3_PS4_PS7_PS2_.has_dyn_sized_stack, 0
	.set _ZN9rocsparseL42csr2bsr_wavefront_per_row_multipass_kernelILj256ELj64ELj8EiliEEv20rocsparse_direction_T4_S2_S2_S2_S2_21rocsparse_index_base_PKT2_PKT3_PKS2_S3_PS4_PS7_PS2_.has_recursion, 0
	.set _ZN9rocsparseL42csr2bsr_wavefront_per_row_multipass_kernelILj256ELj64ELj8EiliEEv20rocsparse_direction_T4_S2_S2_S2_S2_21rocsparse_index_base_PKT2_PKT3_PKS2_S3_PS4_PS7_PS2_.has_indirect_call, 0
	.section	.AMDGPU.csdata,"",@progbits
; Kernel info:
; codeLenInByte = 1512
; TotalNumSgprs: 25
; NumVgprs: 40
; ScratchSize: 0
; MemoryBound: 0
; FloatMode: 240
; IeeeMode: 1
; LDSByteSize: 1028 bytes/workgroup (compile time only)
; SGPRBlocks: 0
; VGPRBlocks: 2
; NumSGPRsForWavesPerEU: 25
; NumVGPRsForWavesPerEU: 40
; NamedBarCnt: 0
; Occupancy: 16
; WaveLimiterHint : 0
; COMPUTE_PGM_RSRC2:SCRATCH_EN: 0
; COMPUTE_PGM_RSRC2:USER_SGPR: 2
; COMPUTE_PGM_RSRC2:TRAP_HANDLER: 0
; COMPUTE_PGM_RSRC2:TGID_X_EN: 1
; COMPUTE_PGM_RSRC2:TGID_Y_EN: 0
; COMPUTE_PGM_RSRC2:TGID_Z_EN: 0
; COMPUTE_PGM_RSRC2:TIDIG_COMP_CNT: 0
	.section	.text._ZN9rocsparseL42csr2bsr_wavefront_per_row_multipass_kernelILj256ELj32ELj8EiliEEv20rocsparse_direction_T4_S2_S2_S2_S2_21rocsparse_index_base_PKT2_PKT3_PKS2_S3_PS4_PS7_PS2_,"axG",@progbits,_ZN9rocsparseL42csr2bsr_wavefront_per_row_multipass_kernelILj256ELj32ELj8EiliEEv20rocsparse_direction_T4_S2_S2_S2_S2_21rocsparse_index_base_PKT2_PKT3_PKS2_S3_PS4_PS7_PS2_,comdat
	.globl	_ZN9rocsparseL42csr2bsr_wavefront_per_row_multipass_kernelILj256ELj32ELj8EiliEEv20rocsparse_direction_T4_S2_S2_S2_S2_21rocsparse_index_base_PKT2_PKT3_PKS2_S3_PS4_PS7_PS2_ ; -- Begin function _ZN9rocsparseL42csr2bsr_wavefront_per_row_multipass_kernelILj256ELj32ELj8EiliEEv20rocsparse_direction_T4_S2_S2_S2_S2_21rocsparse_index_base_PKT2_PKT3_PKS2_S3_PS4_PS7_PS2_
	.p2align	8
	.type	_ZN9rocsparseL42csr2bsr_wavefront_per_row_multipass_kernelILj256ELj32ELj8EiliEEv20rocsparse_direction_T4_S2_S2_S2_S2_21rocsparse_index_base_PKT2_PKT3_PKS2_S3_PS4_PS7_PS2_,@function
_ZN9rocsparseL42csr2bsr_wavefront_per_row_multipass_kernelILj256ELj32ELj8EiliEEv20rocsparse_direction_T4_S2_S2_S2_S2_21rocsparse_index_base_PKT2_PKT3_PKS2_S3_PS4_PS7_PS2_: ; @_ZN9rocsparseL42csr2bsr_wavefront_per_row_multipass_kernelILj256ELj32ELj8EiliEEv20rocsparse_direction_T4_S2_S2_S2_S2_21rocsparse_index_base_PKT2_PKT3_PKS2_S3_PS4_PS7_PS2_
; %bb.0:
	s_clause 0x1
	s_load_b128 s[4:7], s[0:1], 0xc
	s_load_b64 s[14:15], s[0:1], 0x0
	s_bfe_u32 s2, ttmp6, 0x4000c
	s_and_b32 s3, ttmp6, 15
	s_add_co_i32 s2, s2, 1
	s_getreg_b32 s8, hwreg(HW_REG_IB_STS2, 6, 4)
	s_mul_i32 s2, ttmp9, s2
	v_lshrrev_b32_e32 v30, 5, v0
	s_add_co_i32 s3, s3, s2
	s_cmp_eq_u32 s8, 0
	v_bfe_u32 v10, v0, 2, 3
	s_cselect_b32 s2, ttmp9, s3
	s_load_b64 s[8:9], s[0:1], 0x28
	v_lshl_or_b32 v1, s2, 3, v30
	v_mov_b64_e32 v[2:3], 0
	v_mov_b64_e32 v[16:17], 0
	s_mov_b32 s3, 0
	s_wait_kmcnt 0x0
	v_mad_u32 v4, v1, s6, v10
	v_cmp_gt_i32_e32 vcc_lo, s6, v10
	s_delay_alu instid0(VALU_DEP_2) | instskip(SKIP_1) | instid1(SALU_CYCLE_1)
	v_cmp_gt_i32_e64 s2, s15, v4
	s_and_b32 s10, vcc_lo, s2
	s_and_saveexec_b32 s11, s10
	s_cbranch_execz .LBB12_2
; %bb.1:
	global_load_b64 v[6:7], v4, s[8:9] scale_offset
	s_mov_b32 s2, s7
	s_wait_loadcnt 0x0
	v_sub_nc_u64_e64 v[16:17], v[6:7], s[2:3]
.LBB12_2:
	s_or_b32 exec_lo, exec_lo, s11
	s_and_saveexec_b32 s2, s10
	s_cbranch_execz .LBB12_4
; %bb.3:
	global_load_b64 v[2:3], v4, s[8:9] offset:8 scale_offset
	s_wait_xcnt 0x0
	s_mov_b32 s9, 0
	s_mov_b32 s8, s7
	s_wait_loadcnt 0x0
	v_sub_nc_u64_e64 v[2:3], v[2:3], s[8:9]
.LBB12_4:
	s_or_b32 exec_lo, exec_lo, s2
	s_load_b32 s8, s[0:1], 0x38
	v_mov_b64_e32 v[4:5], 0
	s_mov_b32 s3, exec_lo
	v_cmpx_gt_i32_e64 s4, v1
	s_cbranch_execz .LBB12_6
; %bb.5:
	s_load_b64 s[10:11], s[0:1], 0x48
	s_mov_b32 s9, 0
	s_wait_kmcnt 0x0
	global_load_b64 v[4:5], v1, s[10:11] scale_offset
	s_wait_loadcnt 0x0
	v_sub_nc_u64_e64 v[4:5], v[4:5], s[8:9]
.LBB12_6:
	s_or_b32 exec_lo, exec_lo, s3
	s_cmp_lt_i32 s5, 1
	s_cbranch_scc1 .LBB12_29
; %bb.7:
	v_mbcnt_lo_u32_b32 v11, -1, 0
	v_lshlrev_b32_e32 v1, 5, v10
	s_clause 0x3
	s_load_b64 s[18:19], s[0:1], 0x40
	s_load_b64 s[2:3], s[0:1], 0x50
	;; [unrolled: 1-line block ×4, first 2 shown]
	v_dual_mov_b32 v7, 0 :: v_dual_bitop2_b32 v0, 3, v0 bitop3:0x40
	v_xor_b32_e32 v6, 2, v11
	s_cmp_lg_u32 s14, 0
	v_lshl_or_b32 v31, v30, 8, v1
	s_cselect_b32 s4, -1, 0
	s_abs_i32 s9, s6
	s_wait_xcnt 0x0
	v_cmp_gt_i32_e64 s0, 32, v6
	v_xor_b32_e32 v8, 1, v11
	s_cvt_f32_u32 s1, s9
	s_mov_b32 s15, 0
	s_mov_b32 s14, s6
	v_cndmask_b32_e64 v6, v11, v6, s0
	v_cmp_gt_i32_e64 s0, 32, v8
	v_rcp_iflag_f32_e32 v18, s1
	s_mul_u64 s[16:17], s[14:15], s[14:15]
	v_lshl_or_b32 v35, v11, 2, 12
	v_dual_lshlrev_b32 v33, 2, v6 :: v_dual_cndmask_b32 v8, v11, v8, s0
	v_dual_mov_b32 v1, v7 :: v_dual_lshlrev_b32 v6, 2, v10
	s_delay_alu instid0(TRANS32_DEP_1) | instskip(SKIP_1) | instid1(VALU_DEP_4)
	v_readfirstlane_b32 s1, v18
	v_mov_b64_e32 v[18:19], 0
	v_lshlrev_b32_e32 v34, 2, v8
	s_wait_kmcnt 0x0
	v_add_nc_u64_e32 v[8:9], s[18:19], v[6:7]
	v_mul_lo_u32 v6, s6, v10
	v_xor_b32_e32 v10, 16, v11
	s_mul_f32 s14, s1, 0x4f7ffffe
	v_lshl_or_b32 v32, v0, 2, v31
	v_dual_mov_b32 v39, 0x7c :: v_dual_mov_b32 v40, 1
	s_delay_alu instid0(VALU_DEP_3) | instskip(SKIP_4) | instid1(VALU_DEP_2)
	v_cmp_gt_i32_e64 s0, 32, v10
	v_xor_b32_e32 v12, 8, v11
	s_cvt_u32_f32 s14, s14
	s_mov_b32 s20, s15
	v_cndmask_b32_e64 v14, v11, v10, s0
	v_cmp_gt_i32_e64 s0, 32, v12
	s_delay_alu instid0(VALU_DEP_2) | instskip(NEXT) | instid1(VALU_DEP_2)
	v_dual_lshlrev_b32 v36, 2, v14 :: v_dual_bitop2_b32 v13, 4, v11 bitop3:0x14
	v_cndmask_b32_e64 v15, v11, v12, s0
	s_delay_alu instid0(VALU_DEP_2) | instskip(SKIP_1) | instid1(VALU_DEP_2)
	v_cmp_gt_i32_e64 s0, 32, v13
	v_mul_lo_u32 v12, v0, s6
	v_cndmask_b32_e64 v13, v11, v13, s0
	v_cmp_gt_u32_e64 s0, s6, v0
	v_lshl_add_u64 v[10:11], v[6:7], 2, s[18:19]
	v_dual_lshlrev_b32 v37, 2, v15 :: v_dual_bitop2_b32 v6, 4, v0 bitop3:0x54
	s_delay_alu instid0(VALU_DEP_4)
	v_lshlrev_b32_e32 v38, 2, v13
	s_and_b32 s18, s0, vcc_lo
	s_sub_co_i32 s0, 0, s9
	v_mov_b32_e32 v13, v7
	v_cmp_gt_u32_e64 s1, s6, v6
	s_mul_i32 s0, s0, s14
	v_lshl_add_u32 v14, s6, 2, v12
	v_mov_b32_e32 v15, v7
	s_mul_hi_u32 s0, s14, s0
	s_and_b32 s1, vcc_lo, s1
	s_ashr_i32 s19, s6, 31
	s_add_co_i32 s14, s14, s0
	s_branch .LBB12_10
.LBB12_8:                               ;   in Loop: Header=BB12_10 Depth=1
	s_wait_xcnt 0x0
	s_or_b32 exec_lo, exec_lo, s21
	v_mov_b64_e32 v[20:21], 1
.LBB12_9:                               ;   in Loop: Header=BB12_10 Depth=1
	s_or_b32 exec_lo, exec_lo, s0
	ds_bpermute_b32 v6, v36, v41
	v_add_nc_u64_e32 v[4:5], v[20:21], v[4:5]
	s_wait_storecnt_dscnt 0x0
	v_min_i32_e32 v6, v6, v41
	ds_bpermute_b32 v18, v37, v6
	s_wait_dscnt 0x0
	v_min_i32_e32 v6, v18, v6
	ds_bpermute_b32 v18, v38, v6
	s_wait_dscnt 0x0
	;; [unrolled: 3-line block ×5, first 2 shown]
	v_cmp_le_i32_e32 vcc_lo, s5, v18
	v_ashrrev_i32_e32 v19, 31, v18
	s_or_b32 s20, vcc_lo, s20
	s_delay_alu instid0(SALU_CYCLE_1)
	s_and_not1_b32 exec_lo, exec_lo, s20
	s_cbranch_execz .LBB12_29
.LBB12_10:                              ; =>This Loop Header: Depth=1
                                        ;     Child Loop BB12_13 Depth 2
	v_add_nc_u64_e32 v[16:17], v[16:17], v[0:1]
	v_mov_b64_e32 v[24:25], v[2:3]
	v_mov_b32_e32 v41, s5
	s_mov_b32 s21, exec_lo
	ds_store_b8 v30, v7 offset:2048
	ds_store_2addr_b32 v32, v7, v7 offset1:4
	s_wait_dscnt 0x0
	v_cmpx_lt_i64_e64 v[16:17], v[2:3]
	s_cbranch_execz .LBB12_18
; %bb.11:                               ;   in Loop: Header=BB12_10 Depth=1
	v_lshlrev_b64_e32 v[22:23], 2, v[16:17]
	v_mov_b64_e32 v[24:25], v[2:3]
	v_mov_b32_e32 v41, s5
	s_mov_b32 s22, 0
	s_delay_alu instid0(VALU_DEP_3)
	v_add_nc_u64_e32 v[20:21], s[10:11], v[22:23]
	v_add_nc_u64_e32 v[22:23], s[12:13], v[22:23]
	s_branch .LBB12_13
.LBB12_12:                              ;   in Loop: Header=BB12_13 Depth=2
	s_wait_xcnt 0x0
	s_or_b32 exec_lo, exec_lo, s0
	v_add_nc_u64_e32 v[16:17], 4, v[16:17]
	s_xor_b32 s23, vcc_lo, -1
	v_add_nc_u64_e32 v[20:21], 16, v[20:21]
	v_add_nc_u64_e32 v[22:23], 16, v[22:23]
	s_delay_alu instid0(VALU_DEP_3) | instskip(SKIP_1) | instid1(SALU_CYCLE_1)
	v_cmp_ge_i64_e64 s0, v[16:17], v[2:3]
	s_or_b32 s0, s23, s0
	s_and_b32 s0, exec_lo, s0
	s_delay_alu instid0(SALU_CYCLE_1) | instskip(NEXT) | instid1(SALU_CYCLE_1)
	s_or_b32 s22, s0, s22
	s_and_not1_b32 exec_lo, exec_lo, s22
	s_cbranch_execz .LBB12_17
.LBB12_13:                              ;   Parent Loop BB12_10 Depth=1
                                        ; =>  This Inner Loop Header: Depth=2
	global_load_b32 v6, v[22:23], off
	s_wait_loadcnt 0x0
	v_subrev_nc_u32_e32 v42, s7, v6
	s_delay_alu instid0(VALU_DEP_1) | instskip(NEXT) | instid1(VALU_DEP_1)
	v_sub_nc_u32_e32 v6, 0, v42
	v_max_i32_e32 v6, v42, v6
	s_delay_alu instid0(VALU_DEP_1) | instskip(NEXT) | instid1(VALU_DEP_1)
	v_mul_u64_e32 v[26:27], s[14:15], v[6:7]
	v_mul_lo_u32 v26, v27, s9
	s_delay_alu instid0(VALU_DEP_1) | instskip(NEXT) | instid1(VALU_DEP_1)
	v_dual_sub_nc_u32 v6, v6, v26 :: v_dual_add_nc_u32 v26, 1, v27
	v_cmp_le_u32_e32 vcc_lo, s9, v6
	s_delay_alu instid0(VALU_DEP_2) | instskip(SKIP_1) | instid1(VALU_DEP_1)
	v_cndmask_b32_e32 v26, v27, v26, vcc_lo
	v_subrev_nc_u32_e32 v28, s9, v6
	v_dual_cndmask_b32 v6, v6, v28 :: v_dual_ashrrev_i32 v27, 31, v42
	s_delay_alu instid0(VALU_DEP_1) | instskip(NEXT) | instid1(VALU_DEP_2)
	v_dual_add_nc_u32 v28, 1, v26 :: v_dual_bitop2_b32 v27, s19, v27 bitop3:0x14
	v_cmp_le_u32_e32 vcc_lo, s9, v6
	s_delay_alu instid0(VALU_DEP_2) | instskip(SKIP_1) | instid1(VALU_DEP_2)
	v_cndmask_b32_e32 v6, v26, v28, vcc_lo
	v_mov_b64_e32 v[28:29], v[24:25]
	v_xor_b32_e32 v6, v6, v27
	s_delay_alu instid0(VALU_DEP_1) | instskip(NEXT) | instid1(VALU_DEP_1)
	v_sub_nc_u32_e32 v26, v6, v27
	v_ashrrev_i32_e32 v27, 31, v26
	s_delay_alu instid0(VALU_DEP_1) | instskip(SKIP_3) | instid1(SALU_CYCLE_1)
	v_cmp_ne_u64_e64 s0, v[18:19], v[26:27]
	v_cmp_eq_u64_e32 vcc_lo, v[18:19], v[26:27]
	s_wait_xcnt 0x0
	s_and_saveexec_b32 s23, s0
	s_xor_b32 s0, exec_lo, s23
; %bb.14:                               ;   in Loop: Header=BB12_13 Depth=2
	v_min_i32_e32 v41, v26, v41
                                        ; implicit-def: $vgpr26
                                        ; implicit-def: $vgpr42
                                        ; implicit-def: $vgpr28_vgpr29
; %bb.15:                               ;   in Loop: Header=BB12_13 Depth=2
	s_or_saveexec_b32 s0, s0
	v_mov_b64_e32 v[24:25], v[16:17]
	s_xor_b32 exec_lo, exec_lo, s0
	s_cbranch_execz .LBB12_12
; %bb.16:                               ;   in Loop: Header=BB12_13 Depth=2
	global_load_b32 v6, v[20:21], off
	v_mul_lo_u32 v24, v26, s6
	s_delay_alu instid0(VALU_DEP_1) | instskip(NEXT) | instid1(VALU_DEP_1)
	v_sub_nc_u32_e32 v24, v42, v24
	v_lshl_add_u32 v26, v24, 2, v31
	v_mov_b64_e32 v[24:25], v[28:29]
	ds_store_b8 v30, v40 offset:2048
	s_wait_loadcnt 0x0
	ds_store_b32 v26, v6
	s_branch .LBB12_12
.LBB12_17:                              ;   in Loop: Header=BB12_10 Depth=1
	s_or_b32 exec_lo, exec_lo, s22
.LBB12_18:                              ;   in Loop: Header=BB12_10 Depth=1
	s_delay_alu instid0(SALU_CYCLE_1)
	s_or_b32 exec_lo, exec_lo, s21
	ds_bpermute_b32 v16, v33, v24
	ds_bpermute_b32 v17, v33, v25
	s_wait_dscnt 0x0
	ds_load_u8 v6, v30 offset:2048
	s_mov_b32 s0, exec_lo
	v_min_i64 v[16:17], v[16:17], v[24:25]
	s_wait_dscnt 0x0
	v_and_b32_e32 v6, 1, v6
	ds_bpermute_b32 v20, v34, v16
	ds_bpermute_b32 v21, v34, v17
	s_wait_dscnt 0x0
	v_min_i64 v[16:17], v[20:21], v[16:17]
	v_mov_b64_e32 v[20:21], 0
	ds_bpermute_b32 v16, v35, v16
	ds_bpermute_b32 v17, v35, v17
	v_cmpx_eq_u32_e32 1, v6
	s_cbranch_execz .LBB12_9
; %bb.19:                               ;   in Loop: Header=BB12_10 Depth=1
	v_mul_u64_e32 v[20:21], s[16:17], v[4:5]
	v_add_nc_u32_e32 v6, s8, v18
	s_delay_alu instid0(VALU_DEP_2) | instskip(NEXT) | instid1(VALU_DEP_1)
	v_lshlrev_b64_e32 v[22:23], 2, v[20:21]
	v_add_nc_u64_e32 v[20:21], v[8:9], v[22:23]
	v_add_nc_u64_e32 v[18:19], v[10:11], v[22:23]
	v_lshl_add_u64 v[22:23], v[4:5], 2, s[2:3]
	global_store_b32 v[22:23], v6, off
	s_wait_xcnt 0x0
	s_and_saveexec_b32 s21, s18
	s_cbranch_execz .LBB12_23
; %bb.20:                               ;   in Loop: Header=BB12_10 Depth=1
	ds_load_b32 v22, v32
	s_and_b32 vcc_lo, exec_lo, s4
	s_cbranch_vccz .LBB12_26
; %bb.21:                               ;   in Loop: Header=BB12_10 Depth=1
	v_lshl_add_u64 v[24:25], v[12:13], 2, v[20:21]
	s_wait_dscnt 0x0
	global_store_b32 v[24:25], v22, off
	s_cbranch_execnz .LBB12_23
.LBB12_22:                              ;   in Loop: Header=BB12_10 Depth=1
	v_lshlrev_b32_e32 v6, 2, v0
	s_wait_xcnt 0x0
	s_delay_alu instid0(VALU_DEP_1)
	v_add_nc_u64_e32 v[24:25], v[18:19], v[6:7]
	s_wait_dscnt 0x0
	global_store_b32 v[24:25], v22, off
.LBB12_23:                              ;   in Loop: Header=BB12_10 Depth=1
	s_wait_xcnt 0x0
	s_or_b32 exec_lo, exec_lo, s21
	s_and_saveexec_b32 s21, s1
	s_cbranch_execz .LBB12_8
; %bb.24:                               ;   in Loop: Header=BB12_10 Depth=1
	s_and_not1_b32 vcc_lo, exec_lo, s4
	s_cbranch_vccnz .LBB12_27
; %bb.25:                               ;   in Loop: Header=BB12_10 Depth=1
	ds_load_b32 v6, v32 offset:16
	v_lshl_add_u64 v[20:21], v[14:15], 2, v[20:21]
	s_wait_dscnt 0x0
	global_store_b32 v[20:21], v6, off
	s_cbranch_execnz .LBB12_8
	s_branch .LBB12_28
.LBB12_26:                              ;   in Loop: Header=BB12_10 Depth=1
	s_branch .LBB12_22
.LBB12_27:                              ;   in Loop: Header=BB12_10 Depth=1
.LBB12_28:                              ;   in Loop: Header=BB12_10 Depth=1
	s_wait_xcnt 0x0
	ds_load_b32 v20, v32 offset:16
	v_lshlrev_b32_e32 v6, 2, v0
	s_delay_alu instid0(VALU_DEP_1)
	v_add_nc_u64_e32 v[18:19], v[18:19], v[6:7]
	s_wait_dscnt 0x0
	global_store_b32 v[18:19], v20, off offset:16
	s_branch .LBB12_8
.LBB12_29:
	s_endpgm
	.section	.rodata,"a",@progbits
	.p2align	6, 0x0
	.amdhsa_kernel _ZN9rocsparseL42csr2bsr_wavefront_per_row_multipass_kernelILj256ELj32ELj8EiliEEv20rocsparse_direction_T4_S2_S2_S2_S2_21rocsparse_index_base_PKT2_PKT3_PKS2_S3_PS4_PS7_PS2_
		.amdhsa_group_segment_fixed_size 2056
		.amdhsa_private_segment_fixed_size 0
		.amdhsa_kernarg_size 88
		.amdhsa_user_sgpr_count 2
		.amdhsa_user_sgpr_dispatch_ptr 0
		.amdhsa_user_sgpr_queue_ptr 0
		.amdhsa_user_sgpr_kernarg_segment_ptr 1
		.amdhsa_user_sgpr_dispatch_id 0
		.amdhsa_user_sgpr_kernarg_preload_length 0
		.amdhsa_user_sgpr_kernarg_preload_offset 0
		.amdhsa_user_sgpr_private_segment_size 0
		.amdhsa_wavefront_size32 1
		.amdhsa_uses_dynamic_stack 0
		.amdhsa_enable_private_segment 0
		.amdhsa_system_sgpr_workgroup_id_x 1
		.amdhsa_system_sgpr_workgroup_id_y 0
		.amdhsa_system_sgpr_workgroup_id_z 0
		.amdhsa_system_sgpr_workgroup_info 0
		.amdhsa_system_vgpr_workitem_id 0
		.amdhsa_next_free_vgpr 43
		.amdhsa_next_free_sgpr 24
		.amdhsa_named_barrier_count 0
		.amdhsa_reserve_vcc 1
		.amdhsa_float_round_mode_32 0
		.amdhsa_float_round_mode_16_64 0
		.amdhsa_float_denorm_mode_32 3
		.amdhsa_float_denorm_mode_16_64 3
		.amdhsa_fp16_overflow 0
		.amdhsa_memory_ordered 1
		.amdhsa_forward_progress 1
		.amdhsa_inst_pref_size 13
		.amdhsa_round_robin_scheduling 0
		.amdhsa_exception_fp_ieee_invalid_op 0
		.amdhsa_exception_fp_denorm_src 0
		.amdhsa_exception_fp_ieee_div_zero 0
		.amdhsa_exception_fp_ieee_overflow 0
		.amdhsa_exception_fp_ieee_underflow 0
		.amdhsa_exception_fp_ieee_inexact 0
		.amdhsa_exception_int_div_zero 0
	.end_amdhsa_kernel
	.section	.text._ZN9rocsparseL42csr2bsr_wavefront_per_row_multipass_kernelILj256ELj32ELj8EiliEEv20rocsparse_direction_T4_S2_S2_S2_S2_21rocsparse_index_base_PKT2_PKT3_PKS2_S3_PS4_PS7_PS2_,"axG",@progbits,_ZN9rocsparseL42csr2bsr_wavefront_per_row_multipass_kernelILj256ELj32ELj8EiliEEv20rocsparse_direction_T4_S2_S2_S2_S2_21rocsparse_index_base_PKT2_PKT3_PKS2_S3_PS4_PS7_PS2_,comdat
.Lfunc_end12:
	.size	_ZN9rocsparseL42csr2bsr_wavefront_per_row_multipass_kernelILj256ELj32ELj8EiliEEv20rocsparse_direction_T4_S2_S2_S2_S2_21rocsparse_index_base_PKT2_PKT3_PKS2_S3_PS4_PS7_PS2_, .Lfunc_end12-_ZN9rocsparseL42csr2bsr_wavefront_per_row_multipass_kernelILj256ELj32ELj8EiliEEv20rocsparse_direction_T4_S2_S2_S2_S2_21rocsparse_index_base_PKT2_PKT3_PKS2_S3_PS4_PS7_PS2_
                                        ; -- End function
	.set _ZN9rocsparseL42csr2bsr_wavefront_per_row_multipass_kernelILj256ELj32ELj8EiliEEv20rocsparse_direction_T4_S2_S2_S2_S2_21rocsparse_index_base_PKT2_PKT3_PKS2_S3_PS4_PS7_PS2_.num_vgpr, 43
	.set _ZN9rocsparseL42csr2bsr_wavefront_per_row_multipass_kernelILj256ELj32ELj8EiliEEv20rocsparse_direction_T4_S2_S2_S2_S2_21rocsparse_index_base_PKT2_PKT3_PKS2_S3_PS4_PS7_PS2_.num_agpr, 0
	.set _ZN9rocsparseL42csr2bsr_wavefront_per_row_multipass_kernelILj256ELj32ELj8EiliEEv20rocsparse_direction_T4_S2_S2_S2_S2_21rocsparse_index_base_PKT2_PKT3_PKS2_S3_PS4_PS7_PS2_.numbered_sgpr, 24
	.set _ZN9rocsparseL42csr2bsr_wavefront_per_row_multipass_kernelILj256ELj32ELj8EiliEEv20rocsparse_direction_T4_S2_S2_S2_S2_21rocsparse_index_base_PKT2_PKT3_PKS2_S3_PS4_PS7_PS2_.num_named_barrier, 0
	.set _ZN9rocsparseL42csr2bsr_wavefront_per_row_multipass_kernelILj256ELj32ELj8EiliEEv20rocsparse_direction_T4_S2_S2_S2_S2_21rocsparse_index_base_PKT2_PKT3_PKS2_S3_PS4_PS7_PS2_.private_seg_size, 0
	.set _ZN9rocsparseL42csr2bsr_wavefront_per_row_multipass_kernelILj256ELj32ELj8EiliEEv20rocsparse_direction_T4_S2_S2_S2_S2_21rocsparse_index_base_PKT2_PKT3_PKS2_S3_PS4_PS7_PS2_.uses_vcc, 1
	.set _ZN9rocsparseL42csr2bsr_wavefront_per_row_multipass_kernelILj256ELj32ELj8EiliEEv20rocsparse_direction_T4_S2_S2_S2_S2_21rocsparse_index_base_PKT2_PKT3_PKS2_S3_PS4_PS7_PS2_.uses_flat_scratch, 0
	.set _ZN9rocsparseL42csr2bsr_wavefront_per_row_multipass_kernelILj256ELj32ELj8EiliEEv20rocsparse_direction_T4_S2_S2_S2_S2_21rocsparse_index_base_PKT2_PKT3_PKS2_S3_PS4_PS7_PS2_.has_dyn_sized_stack, 0
	.set _ZN9rocsparseL42csr2bsr_wavefront_per_row_multipass_kernelILj256ELj32ELj8EiliEEv20rocsparse_direction_T4_S2_S2_S2_S2_21rocsparse_index_base_PKT2_PKT3_PKS2_S3_PS4_PS7_PS2_.has_recursion, 0
	.set _ZN9rocsparseL42csr2bsr_wavefront_per_row_multipass_kernelILj256ELj32ELj8EiliEEv20rocsparse_direction_T4_S2_S2_S2_S2_21rocsparse_index_base_PKT2_PKT3_PKS2_S3_PS4_PS7_PS2_.has_indirect_call, 0
	.section	.AMDGPU.csdata,"",@progbits
; Kernel info:
; codeLenInByte = 1596
; TotalNumSgprs: 26
; NumVgprs: 43
; ScratchSize: 0
; MemoryBound: 0
; FloatMode: 240
; IeeeMode: 1
; LDSByteSize: 2056 bytes/workgroup (compile time only)
; SGPRBlocks: 0
; VGPRBlocks: 2
; NumSGPRsForWavesPerEU: 26
; NumVGPRsForWavesPerEU: 43
; NamedBarCnt: 0
; Occupancy: 16
; WaveLimiterHint : 0
; COMPUTE_PGM_RSRC2:SCRATCH_EN: 0
; COMPUTE_PGM_RSRC2:USER_SGPR: 2
; COMPUTE_PGM_RSRC2:TRAP_HANDLER: 0
; COMPUTE_PGM_RSRC2:TGID_X_EN: 1
; COMPUTE_PGM_RSRC2:TGID_Y_EN: 0
; COMPUTE_PGM_RSRC2:TGID_Z_EN: 0
; COMPUTE_PGM_RSRC2:TIDIG_COMP_CNT: 0
	.section	.text._ZN9rocsparseL42csr2bsr_wavefront_per_row_multipass_kernelILj256ELj64ELj16EiliEEv20rocsparse_direction_T4_S2_S2_S2_S2_21rocsparse_index_base_PKT2_PKT3_PKS2_S3_PS4_PS7_PS2_,"axG",@progbits,_ZN9rocsparseL42csr2bsr_wavefront_per_row_multipass_kernelILj256ELj64ELj16EiliEEv20rocsparse_direction_T4_S2_S2_S2_S2_21rocsparse_index_base_PKT2_PKT3_PKS2_S3_PS4_PS7_PS2_,comdat
	.globl	_ZN9rocsparseL42csr2bsr_wavefront_per_row_multipass_kernelILj256ELj64ELj16EiliEEv20rocsparse_direction_T4_S2_S2_S2_S2_21rocsparse_index_base_PKT2_PKT3_PKS2_S3_PS4_PS7_PS2_ ; -- Begin function _ZN9rocsparseL42csr2bsr_wavefront_per_row_multipass_kernelILj256ELj64ELj16EiliEEv20rocsparse_direction_T4_S2_S2_S2_S2_21rocsparse_index_base_PKT2_PKT3_PKS2_S3_PS4_PS7_PS2_
	.p2align	8
	.type	_ZN9rocsparseL42csr2bsr_wavefront_per_row_multipass_kernelILj256ELj64ELj16EiliEEv20rocsparse_direction_T4_S2_S2_S2_S2_21rocsparse_index_base_PKT2_PKT3_PKS2_S3_PS4_PS7_PS2_,@function
_ZN9rocsparseL42csr2bsr_wavefront_per_row_multipass_kernelILj256ELj64ELj16EiliEEv20rocsparse_direction_T4_S2_S2_S2_S2_21rocsparse_index_base_PKT2_PKT3_PKS2_S3_PS4_PS7_PS2_: ; @_ZN9rocsparseL42csr2bsr_wavefront_per_row_multipass_kernelILj256ELj64ELj16EiliEEv20rocsparse_direction_T4_S2_S2_S2_S2_21rocsparse_index_base_PKT2_PKT3_PKS2_S3_PS4_PS7_PS2_
; %bb.0:
	s_clause 0x1
	s_load_b128 s[4:7], s[0:1], 0xc
	s_load_b64 s[16:17], s[0:1], 0x0
	s_bfe_u32 s2, ttmp6, 0x4000c
	s_and_b32 s3, ttmp6, 15
	s_add_co_i32 s2, s2, 1
	s_getreg_b32 s8, hwreg(HW_REG_IB_STS2, 6, 4)
	s_mul_i32 s2, ttmp9, s2
	v_lshrrev_b32_e32 v34, 6, v0
	s_add_co_i32 s3, s3, s2
	s_cmp_eq_u32 s8, 0
	v_bfe_u32 v10, v0, 2, 4
	s_cselect_b32 s2, ttmp9, s3
	s_load_b64 s[8:9], s[0:1], 0x28
	v_lshl_or_b32 v1, s2, 2, v34
	v_mov_b64_e32 v[2:3], 0
	v_mov_b64_e32 v[14:15], 0
	s_mov_b32 s3, 0
	s_wait_kmcnt 0x0
	v_mad_u32 v4, v1, s6, v10
	v_cmp_gt_i32_e32 vcc_lo, s6, v10
	s_delay_alu instid0(VALU_DEP_2) | instskip(SKIP_1) | instid1(SALU_CYCLE_1)
	v_cmp_gt_i32_e64 s2, s17, v4
	s_and_b32 s10, vcc_lo, s2
	s_and_saveexec_b32 s11, s10
	s_cbranch_execz .LBB13_2
; %bb.1:
	global_load_b64 v[6:7], v4, s[8:9] scale_offset
	s_mov_b32 s2, s7
	s_wait_loadcnt 0x0
	v_sub_nc_u64_e64 v[14:15], v[6:7], s[2:3]
.LBB13_2:
	s_or_b32 exec_lo, exec_lo, s11
	s_and_saveexec_b32 s2, s10
	s_cbranch_execz .LBB13_4
; %bb.3:
	global_load_b64 v[2:3], v4, s[8:9] offset:8 scale_offset
	s_wait_xcnt 0x0
	s_mov_b32 s9, 0
	s_mov_b32 s8, s7
	s_wait_loadcnt 0x0
	v_sub_nc_u64_e64 v[2:3], v[2:3], s[8:9]
.LBB13_4:
	s_or_b32 exec_lo, exec_lo, s2
	s_load_b32 s8, s[0:1], 0x38
	v_mov_b64_e32 v[4:5], 0
	s_mov_b32 s3, exec_lo
	v_cmpx_gt_i32_e64 s4, v1
	s_cbranch_execz .LBB13_6
; %bb.5:
	s_load_b64 s[10:11], s[0:1], 0x48
	s_mov_b32 s9, 0
	s_wait_kmcnt 0x0
	global_load_b64 v[4:5], v1, s[10:11] scale_offset
	s_wait_loadcnt 0x0
	v_sub_nc_u64_e64 v[4:5], v[4:5], s[8:9]
.LBB13_6:
	s_or_b32 exec_lo, exec_lo, s3
	s_cmp_lt_i32 s5, 1
	s_cbranch_scc1 .LBB13_39
; %bb.7:
	s_clause 0x3
	s_load_b64 s[2:3], s[0:1], 0x40
	s_load_b64 s[10:11], s[0:1], 0x50
	;; [unrolled: 1-line block ×4, first 2 shown]
	v_dual_lshlrev_b32 v1, 6, v10 :: v_dual_bitop2_b32 v0, 3, v0 bitop3:0x40
	v_dual_mov_b32 v7, 0 :: v_dual_lshlrev_b32 v6, 2, v10
	v_mbcnt_lo_u32_b32 v12, -1, 0
	s_cmp_lg_u32 s16, 0
	s_delay_alu instid0(VALU_DEP_3) | instskip(NEXT) | instid1(VALU_DEP_3)
	v_lshl_or_b32 v35, v34, 10, v1
	v_mov_b32_e32 v1, v7
	s_cselect_b32 s4, -1, 0
	v_xor_b32_e32 v11, 2, v12
	v_lshl_or_b32 v36, v12, 2, 12
	s_abs_i32 s9, s6
	s_mov_b32 s17, 0
	s_wait_xcnt 0x0
	s_cvt_f32_u32 s1, s9
	v_cmp_gt_i32_e64 s0, 32, v11
	v_xor_b32_e32 v13, 1, v12
	s_wait_kmcnt 0x0
	v_add_nc_u64_e32 v[8:9], s[2:3], v[6:7]
	v_mul_lo_u32 v6, s6, v10
	s_mov_b32 s16, s6
	v_cndmask_b32_e64 v10, v12, v11, s0
	v_cmp_gt_i32_e64 s0, 32, v13
	v_or_b32_e32 v16, 32, v12
	s_mul_u64 s[18:19], s[16:17], s[16:17]
	s_lshl_b32 s16, s6, 2
	v_dual_lshlrev_b32 v38, 2, v10 :: v_dual_cndmask_b32 v11, v12, v13, s0
	v_xor_b32_e32 v13, 16, v12
	v_cmp_gt_i32_e64 s0, 32, v16
	v_xor_b32_e32 v17, 8, v12
	v_rcp_iflag_f32_e32 v19, s1
	v_lshlrev_b32_e32 v39, 2, v11
	v_lshl_add_u64 v[10:11], v[6:7], 2, s[2:3]
	v_cndmask_b32_e64 v6, v12, v16, s0
	v_cmp_gt_i32_e64 s0, 32, v13
	v_or_b32_e32 v20, 12, v0
	v_mov_b64_e32 v[22:23], 0
	v_readfirstlane_b32 s20, v19
	s_delay_alu instid0(VALU_DEP_4) | instskip(SKIP_4) | instid1(VALU_DEP_4)
	v_dual_mov_b32 v19, v7 :: v_dual_cndmask_b32 v13, v12, v13, s0
	v_cmp_gt_i32_e64 s0, 32, v17
	v_xor_b32_e32 v16, 4, v12
	v_cmp_gt_u32_e64 s3, s6, v20
	v_dual_lshlrev_b32 v40, 2, v6 :: v_dual_bitop2_b32 v6, 4, v0 bitop3:0x54
	v_cndmask_b32_e64 v17, v12, v17, s0
	s_delay_alu instid0(VALU_DEP_4) | instskip(SKIP_3) | instid1(VALU_DEP_4)
	v_cmp_gt_i32_e64 s0, 32, v16
	v_lshl_or_b32 v37, v0, 2, v35
	v_bfrev_b32_e32 v44, 0.5
	v_cmp_gt_u32_e64 s1, s6, v6
	v_dual_lshlrev_b32 v42, 2, v17 :: v_dual_cndmask_b32 v16, v12, v16, s0
	v_mul_lo_u32 v12, v0, s6
	v_dual_lshlrev_b32 v41, 2, v13 :: v_dual_mov_b32 v13, v7
	v_cmp_gt_u32_e64 s0, s6, v0
	s_delay_alu instid0(VALU_DEP_4) | instskip(SKIP_4) | instid1(VALU_DEP_2)
	v_lshlrev_b32_e32 v43, 2, v16
	v_dual_mov_b32 v17, v7 :: v_dual_bitop2_b32 v6, 8, v0 bitop3:0x54
	v_mov_b32_e32 v21, v7
	s_and_b32 s1, vcc_lo, s1
	s_and_b32 s3, vcc_lo, s3
	v_cmp_gt_u32_e64 s2, s6, v6
	v_dual_mov_b32 v45, 1 :: v_dual_add_nc_u32 v16, s16, v12
	s_ashr_i32 s21, s6, 31
	s_mov_b32 s22, s17
	s_and_b32 s2, vcc_lo, s2
	s_delay_alu instid0(VALU_DEP_1) | instskip(NEXT) | instid1(VALU_DEP_1)
	v_add_nc_u32_e32 v18, s16, v16
	v_add_nc_u32_e32 v20, s16, v18
	s_mul_f32 s16, s20, 0x4f7ffffe
	s_and_b32 s20, s0, vcc_lo
	s_delay_alu instid0(SALU_CYCLE_2) | instskip(SKIP_1) | instid1(SALU_CYCLE_2)
	s_cvt_u32_f32 s0, s16
	s_sub_co_i32 s16, 0, s9
	s_mul_i32 s16, s16, s0
	s_delay_alu instid0(SALU_CYCLE_1) | instskip(NEXT) | instid1(SALU_CYCLE_1)
	s_mul_hi_u32 s16, s0, s16
	s_add_co_i32 s16, s0, s16
	s_branch .LBB13_10
.LBB13_8:                               ;   in Loop: Header=BB13_10 Depth=1
	s_wait_xcnt 0x0
	s_or_b32 exec_lo, exec_lo, s23
	v_mov_b64_e32 v[24:25], 1
.LBB13_9:                               ;   in Loop: Header=BB13_10 Depth=1
	s_or_b32 exec_lo, exec_lo, s0
	ds_bpermute_b32 v6, v40, v46
	v_add_nc_u64_e32 v[4:5], v[24:25], v[4:5]
	s_wait_storecnt_dscnt 0x0
	v_min_i32_e32 v6, v6, v46
	ds_bpermute_b32 v22, v41, v6
	s_wait_dscnt 0x0
	v_min_i32_e32 v6, v22, v6
	ds_bpermute_b32 v22, v42, v6
	s_wait_dscnt 0x0
	;; [unrolled: 3-line block ×6, first 2 shown]
	v_cmp_le_i32_e32 vcc_lo, s5, v22
	v_ashrrev_i32_e32 v23, 31, v22
	s_or_b32 s22, vcc_lo, s22
	s_delay_alu instid0(SALU_CYCLE_1)
	s_and_not1_b32 exec_lo, exec_lo, s22
	s_cbranch_execz .LBB13_39
.LBB13_10:                              ; =>This Loop Header: Depth=1
                                        ;     Child Loop BB13_13 Depth 2
	v_add_nc_u64_e32 v[14:15], v[14:15], v[0:1]
	v_mov_b64_e32 v[28:29], v[2:3]
	v_mov_b32_e32 v46, s5
	s_mov_b32 s23, exec_lo
	ds_store_b8 v34, v7 offset:4096
	ds_store_2addr_b32 v37, v7, v7 offset1:4
	ds_store_2addr_b32 v37, v7, v7 offset0:8 offset1:12
	s_wait_dscnt 0x0
	v_cmpx_lt_i64_e64 v[14:15], v[2:3]
	s_cbranch_execz .LBB13_18
; %bb.11:                               ;   in Loop: Header=BB13_10 Depth=1
	v_lshlrev_b64_e32 v[26:27], 2, v[14:15]
	v_mov_b64_e32 v[28:29], v[2:3]
	v_mov_b32_e32 v46, s5
	s_mov_b32 s24, 0
	s_delay_alu instid0(VALU_DEP_3)
	v_add_nc_u64_e32 v[24:25], s[12:13], v[26:27]
	v_add_nc_u64_e32 v[26:27], s[14:15], v[26:27]
	s_branch .LBB13_13
.LBB13_12:                              ;   in Loop: Header=BB13_13 Depth=2
	s_wait_xcnt 0x0
	s_or_b32 exec_lo, exec_lo, s0
	v_add_nc_u64_e32 v[14:15], 4, v[14:15]
	s_xor_b32 s25, vcc_lo, -1
	v_add_nc_u64_e32 v[24:25], 16, v[24:25]
	v_add_nc_u64_e32 v[26:27], 16, v[26:27]
	s_delay_alu instid0(VALU_DEP_3) | instskip(SKIP_1) | instid1(SALU_CYCLE_1)
	v_cmp_ge_i64_e64 s0, v[14:15], v[2:3]
	s_or_b32 s0, s25, s0
	s_and_b32 s0, exec_lo, s0
	s_delay_alu instid0(SALU_CYCLE_1) | instskip(NEXT) | instid1(SALU_CYCLE_1)
	s_or_b32 s24, s0, s24
	s_and_not1_b32 exec_lo, exec_lo, s24
	s_cbranch_execz .LBB13_17
.LBB13_13:                              ;   Parent Loop BB13_10 Depth=1
                                        ; =>  This Inner Loop Header: Depth=2
	global_load_b32 v6, v[26:27], off
	s_wait_loadcnt 0x0
	v_subrev_nc_u32_e32 v47, s7, v6
	s_delay_alu instid0(VALU_DEP_1) | instskip(NEXT) | instid1(VALU_DEP_1)
	v_sub_nc_u32_e32 v6, 0, v47
	v_max_i32_e32 v6, v47, v6
	s_delay_alu instid0(VALU_DEP_1) | instskip(NEXT) | instid1(VALU_DEP_1)
	v_mul_u64_e32 v[30:31], s[16:17], v[6:7]
	v_mul_lo_u32 v30, v31, s9
	s_delay_alu instid0(VALU_DEP_1) | instskip(NEXT) | instid1(VALU_DEP_1)
	v_dual_sub_nc_u32 v6, v6, v30 :: v_dual_add_nc_u32 v30, 1, v31
	v_cmp_le_u32_e32 vcc_lo, s9, v6
	s_delay_alu instid0(VALU_DEP_2) | instskip(SKIP_1) | instid1(VALU_DEP_1)
	v_dual_cndmask_b32 v30, v31, v30 :: v_dual_ashrrev_i32 v31, 31, v47
	v_subrev_nc_u32_e32 v32, s9, v6
	v_dual_cndmask_b32 v6, v6, v32, vcc_lo :: v_dual_add_nc_u32 v32, 1, v30
	s_delay_alu instid0(VALU_DEP_1) | instskip(NEXT) | instid1(VALU_DEP_2)
	v_cmp_le_u32_e32 vcc_lo, s9, v6
	v_dual_cndmask_b32 v6, v30, v32, vcc_lo :: v_dual_bitop2_b32 v31, s21, v31 bitop3:0x14
	v_mov_b64_e32 v[32:33], v[28:29]
	s_delay_alu instid0(VALU_DEP_2) | instskip(NEXT) | instid1(VALU_DEP_1)
	v_xor_b32_e32 v6, v6, v31
	v_sub_nc_u32_e32 v30, v6, v31
	s_delay_alu instid0(VALU_DEP_1) | instskip(NEXT) | instid1(VALU_DEP_1)
	v_ashrrev_i32_e32 v31, 31, v30
	v_cmp_ne_u64_e64 s0, v[22:23], v[30:31]
	v_cmp_eq_u64_e32 vcc_lo, v[22:23], v[30:31]
	s_wait_xcnt 0x0
	s_and_saveexec_b32 s25, s0
	s_delay_alu instid0(SALU_CYCLE_1)
	s_xor_b32 s0, exec_lo, s25
; %bb.14:                               ;   in Loop: Header=BB13_13 Depth=2
	v_min_i32_e32 v46, v30, v46
                                        ; implicit-def: $vgpr30
                                        ; implicit-def: $vgpr47
                                        ; implicit-def: $vgpr32_vgpr33
; %bb.15:                               ;   in Loop: Header=BB13_13 Depth=2
	s_or_saveexec_b32 s0, s0
	v_mov_b64_e32 v[28:29], v[14:15]
	s_xor_b32 exec_lo, exec_lo, s0
	s_cbranch_execz .LBB13_12
; %bb.16:                               ;   in Loop: Header=BB13_13 Depth=2
	global_load_b32 v6, v[24:25], off
	v_mul_lo_u32 v28, v30, s6
	s_delay_alu instid0(VALU_DEP_1) | instskip(NEXT) | instid1(VALU_DEP_1)
	v_sub_nc_u32_e32 v28, v47, v28
	v_lshl_add_u32 v30, v28, 2, v35
	v_mov_b64_e32 v[28:29], v[32:33]
	ds_store_b8 v34, v45 offset:4096
	s_wait_loadcnt 0x0
	ds_store_b32 v30, v6
	s_branch .LBB13_12
.LBB13_17:                              ;   in Loop: Header=BB13_10 Depth=1
	s_or_b32 exec_lo, exec_lo, s24
.LBB13_18:                              ;   in Loop: Header=BB13_10 Depth=1
	s_delay_alu instid0(SALU_CYCLE_1)
	s_or_b32 exec_lo, exec_lo, s23
	ds_bpermute_b32 v14, v38, v28
	ds_bpermute_b32 v15, v38, v29
	s_wait_dscnt 0x0
	ds_load_u8 v6, v34 offset:4096
	s_mov_b32 s0, exec_lo
	v_min_i64 v[14:15], v[14:15], v[28:29]
	s_wait_dscnt 0x0
	v_and_b32_e32 v6, 1, v6
	ds_bpermute_b32 v24, v39, v14
	ds_bpermute_b32 v25, v39, v15
	s_wait_dscnt 0x0
	v_min_i64 v[14:15], v[24:25], v[14:15]
	v_mov_b64_e32 v[24:25], 0
	ds_bpermute_b32 v14, v36, v14
	ds_bpermute_b32 v15, v36, v15
	v_cmpx_eq_u32_e32 1, v6
	s_cbranch_execz .LBB13_9
; %bb.19:                               ;   in Loop: Header=BB13_10 Depth=1
	v_mul_u64_e32 v[24:25], s[18:19], v[4:5]
	v_add_nc_u32_e32 v6, s8, v22
	s_delay_alu instid0(VALU_DEP_2) | instskip(NEXT) | instid1(VALU_DEP_1)
	v_lshlrev_b64_e32 v[26:27], 2, v[24:25]
	v_add_nc_u64_e32 v[24:25], v[8:9], v[26:27]
	v_add_nc_u64_e32 v[22:23], v[10:11], v[26:27]
	v_lshl_add_u64 v[26:27], v[4:5], 2, s[10:11]
	global_store_b32 v[26:27], v6, off
	s_wait_xcnt 0x0
	s_and_saveexec_b32 s23, s20
	s_cbranch_execz .LBB13_23
; %bb.20:                               ;   in Loop: Header=BB13_10 Depth=1
	ds_load_b32 v26, v37
	s_and_b32 vcc_lo, exec_lo, s4
	s_cbranch_vccz .LBB13_34
; %bb.21:                               ;   in Loop: Header=BB13_10 Depth=1
	v_lshl_add_u64 v[28:29], v[12:13], 2, v[24:25]
	s_wait_dscnt 0x0
	global_store_b32 v[28:29], v26, off
	s_cbranch_execnz .LBB13_23
.LBB13_22:                              ;   in Loop: Header=BB13_10 Depth=1
	v_lshlrev_b32_e32 v6, 2, v0
	s_wait_xcnt 0x0
	s_delay_alu instid0(VALU_DEP_1)
	v_add_nc_u64_e32 v[28:29], v[22:23], v[6:7]
	s_wait_dscnt 0x0
	global_store_b32 v[28:29], v26, off
.LBB13_23:                              ;   in Loop: Header=BB13_10 Depth=1
	s_wait_xcnt 0x0
	s_or_b32 exec_lo, exec_lo, s23
	s_and_saveexec_b32 s23, s1
	s_cbranch_execz .LBB13_27
; %bb.24:                               ;   in Loop: Header=BB13_10 Depth=1
	s_and_not1_b32 vcc_lo, exec_lo, s4
	s_cbranch_vccnz .LBB13_35
; %bb.25:                               ;   in Loop: Header=BB13_10 Depth=1
	ds_load_b32 v6, v37 offset:16
	s_wait_dscnt 0x1
	v_lshl_add_u64 v[26:27], v[16:17], 2, v[24:25]
	s_wait_dscnt 0x0
	global_store_b32 v[26:27], v6, off
	s_cbranch_execnz .LBB13_27
.LBB13_26:                              ;   in Loop: Header=BB13_10 Depth=1
	ds_load_b32 v28, v37 offset:16
	s_wait_xcnt 0x0
	v_lshlrev_b32_e32 v6, 2, v0
	s_wait_dscnt 0x1
	s_delay_alu instid0(VALU_DEP_1)
	v_add_nc_u64_e32 v[26:27], v[22:23], v[6:7]
	s_wait_dscnt 0x0
	global_store_b32 v[26:27], v28, off offset:16
.LBB13_27:                              ;   in Loop: Header=BB13_10 Depth=1
	s_wait_xcnt 0x0
	s_or_b32 exec_lo, exec_lo, s23
	s_and_saveexec_b32 s23, s2
	s_cbranch_execz .LBB13_31
; %bb.28:                               ;   in Loop: Header=BB13_10 Depth=1
	s_and_not1_b32 vcc_lo, exec_lo, s4
	s_cbranch_vccnz .LBB13_36
; %bb.29:                               ;   in Loop: Header=BB13_10 Depth=1
	ds_load_b32 v6, v37 offset:32
	s_wait_dscnt 0x1
	v_lshl_add_u64 v[26:27], v[18:19], 2, v[24:25]
	s_wait_dscnt 0x0
	global_store_b32 v[26:27], v6, off
	s_cbranch_execnz .LBB13_31
.LBB13_30:                              ;   in Loop: Header=BB13_10 Depth=1
	ds_load_b32 v28, v37 offset:32
	s_wait_xcnt 0x0
	v_lshlrev_b32_e32 v6, 2, v0
	s_wait_dscnt 0x1
	s_delay_alu instid0(VALU_DEP_1)
	v_add_nc_u64_e32 v[26:27], v[22:23], v[6:7]
	s_wait_dscnt 0x0
	global_store_b32 v[26:27], v28, off offset:32
.LBB13_31:                              ;   in Loop: Header=BB13_10 Depth=1
	s_wait_xcnt 0x0
	s_or_b32 exec_lo, exec_lo, s23
	s_and_saveexec_b32 s23, s3
	s_cbranch_execz .LBB13_8
; %bb.32:                               ;   in Loop: Header=BB13_10 Depth=1
	s_and_not1_b32 vcc_lo, exec_lo, s4
	s_cbranch_vccnz .LBB13_37
; %bb.33:                               ;   in Loop: Header=BB13_10 Depth=1
	ds_load_b32 v6, v37 offset:48
	v_lshl_add_u64 v[24:25], v[20:21], 2, v[24:25]
	s_wait_dscnt 0x0
	global_store_b32 v[24:25], v6, off
	s_cbranch_execnz .LBB13_8
	s_branch .LBB13_38
.LBB13_34:                              ;   in Loop: Header=BB13_10 Depth=1
	s_branch .LBB13_22
.LBB13_35:                              ;   in Loop: Header=BB13_10 Depth=1
	s_branch .LBB13_26
.LBB13_36:                              ;   in Loop: Header=BB13_10 Depth=1
	s_branch .LBB13_30
.LBB13_37:                              ;   in Loop: Header=BB13_10 Depth=1
.LBB13_38:                              ;   in Loop: Header=BB13_10 Depth=1
	s_wait_xcnt 0x0
	ds_load_b32 v24, v37 offset:48
	v_lshlrev_b32_e32 v6, 2, v0
	s_delay_alu instid0(VALU_DEP_1)
	v_add_nc_u64_e32 v[22:23], v[22:23], v[6:7]
	s_wait_dscnt 0x0
	global_store_b32 v[22:23], v24, off offset:48
	s_branch .LBB13_8
.LBB13_39:
	s_endpgm
	.section	.rodata,"a",@progbits
	.p2align	6, 0x0
	.amdhsa_kernel _ZN9rocsparseL42csr2bsr_wavefront_per_row_multipass_kernelILj256ELj64ELj16EiliEEv20rocsparse_direction_T4_S2_S2_S2_S2_21rocsparse_index_base_PKT2_PKT3_PKS2_S3_PS4_PS7_PS2_
		.amdhsa_group_segment_fixed_size 4100
		.amdhsa_private_segment_fixed_size 0
		.amdhsa_kernarg_size 88
		.amdhsa_user_sgpr_count 2
		.amdhsa_user_sgpr_dispatch_ptr 0
		.amdhsa_user_sgpr_queue_ptr 0
		.amdhsa_user_sgpr_kernarg_segment_ptr 1
		.amdhsa_user_sgpr_dispatch_id 0
		.amdhsa_user_sgpr_kernarg_preload_length 0
		.amdhsa_user_sgpr_kernarg_preload_offset 0
		.amdhsa_user_sgpr_private_segment_size 0
		.amdhsa_wavefront_size32 1
		.amdhsa_uses_dynamic_stack 0
		.amdhsa_enable_private_segment 0
		.amdhsa_system_sgpr_workgroup_id_x 1
		.amdhsa_system_sgpr_workgroup_id_y 0
		.amdhsa_system_sgpr_workgroup_id_z 0
		.amdhsa_system_sgpr_workgroup_info 0
		.amdhsa_system_vgpr_workitem_id 0
		.amdhsa_next_free_vgpr 48
		.amdhsa_next_free_sgpr 26
		.amdhsa_named_barrier_count 0
		.amdhsa_reserve_vcc 1
		.amdhsa_float_round_mode_32 0
		.amdhsa_float_round_mode_16_64 0
		.amdhsa_float_denorm_mode_32 3
		.amdhsa_float_denorm_mode_16_64 3
		.amdhsa_fp16_overflow 0
		.amdhsa_memory_ordered 1
		.amdhsa_forward_progress 1
		.amdhsa_inst_pref_size 16
		.amdhsa_round_robin_scheduling 0
		.amdhsa_exception_fp_ieee_invalid_op 0
		.amdhsa_exception_fp_denorm_src 0
		.amdhsa_exception_fp_ieee_div_zero 0
		.amdhsa_exception_fp_ieee_overflow 0
		.amdhsa_exception_fp_ieee_underflow 0
		.amdhsa_exception_fp_ieee_inexact 0
		.amdhsa_exception_int_div_zero 0
	.end_amdhsa_kernel
	.section	.text._ZN9rocsparseL42csr2bsr_wavefront_per_row_multipass_kernelILj256ELj64ELj16EiliEEv20rocsparse_direction_T4_S2_S2_S2_S2_21rocsparse_index_base_PKT2_PKT3_PKS2_S3_PS4_PS7_PS2_,"axG",@progbits,_ZN9rocsparseL42csr2bsr_wavefront_per_row_multipass_kernelILj256ELj64ELj16EiliEEv20rocsparse_direction_T4_S2_S2_S2_S2_21rocsparse_index_base_PKT2_PKT3_PKS2_S3_PS4_PS7_PS2_,comdat
.Lfunc_end13:
	.size	_ZN9rocsparseL42csr2bsr_wavefront_per_row_multipass_kernelILj256ELj64ELj16EiliEEv20rocsparse_direction_T4_S2_S2_S2_S2_21rocsparse_index_base_PKT2_PKT3_PKS2_S3_PS4_PS7_PS2_, .Lfunc_end13-_ZN9rocsparseL42csr2bsr_wavefront_per_row_multipass_kernelILj256ELj64ELj16EiliEEv20rocsparse_direction_T4_S2_S2_S2_S2_21rocsparse_index_base_PKT2_PKT3_PKS2_S3_PS4_PS7_PS2_
                                        ; -- End function
	.set _ZN9rocsparseL42csr2bsr_wavefront_per_row_multipass_kernelILj256ELj64ELj16EiliEEv20rocsparse_direction_T4_S2_S2_S2_S2_21rocsparse_index_base_PKT2_PKT3_PKS2_S3_PS4_PS7_PS2_.num_vgpr, 48
	.set _ZN9rocsparseL42csr2bsr_wavefront_per_row_multipass_kernelILj256ELj64ELj16EiliEEv20rocsparse_direction_T4_S2_S2_S2_S2_21rocsparse_index_base_PKT2_PKT3_PKS2_S3_PS4_PS7_PS2_.num_agpr, 0
	.set _ZN9rocsparseL42csr2bsr_wavefront_per_row_multipass_kernelILj256ELj64ELj16EiliEEv20rocsparse_direction_T4_S2_S2_S2_S2_21rocsparse_index_base_PKT2_PKT3_PKS2_S3_PS4_PS7_PS2_.numbered_sgpr, 26
	.set _ZN9rocsparseL42csr2bsr_wavefront_per_row_multipass_kernelILj256ELj64ELj16EiliEEv20rocsparse_direction_T4_S2_S2_S2_S2_21rocsparse_index_base_PKT2_PKT3_PKS2_S3_PS4_PS7_PS2_.num_named_barrier, 0
	.set _ZN9rocsparseL42csr2bsr_wavefront_per_row_multipass_kernelILj256ELj64ELj16EiliEEv20rocsparse_direction_T4_S2_S2_S2_S2_21rocsparse_index_base_PKT2_PKT3_PKS2_S3_PS4_PS7_PS2_.private_seg_size, 0
	.set _ZN9rocsparseL42csr2bsr_wavefront_per_row_multipass_kernelILj256ELj64ELj16EiliEEv20rocsparse_direction_T4_S2_S2_S2_S2_21rocsparse_index_base_PKT2_PKT3_PKS2_S3_PS4_PS7_PS2_.uses_vcc, 1
	.set _ZN9rocsparseL42csr2bsr_wavefront_per_row_multipass_kernelILj256ELj64ELj16EiliEEv20rocsparse_direction_T4_S2_S2_S2_S2_21rocsparse_index_base_PKT2_PKT3_PKS2_S3_PS4_PS7_PS2_.uses_flat_scratch, 0
	.set _ZN9rocsparseL42csr2bsr_wavefront_per_row_multipass_kernelILj256ELj64ELj16EiliEEv20rocsparse_direction_T4_S2_S2_S2_S2_21rocsparse_index_base_PKT2_PKT3_PKS2_S3_PS4_PS7_PS2_.has_dyn_sized_stack, 0
	.set _ZN9rocsparseL42csr2bsr_wavefront_per_row_multipass_kernelILj256ELj64ELj16EiliEEv20rocsparse_direction_T4_S2_S2_S2_S2_21rocsparse_index_base_PKT2_PKT3_PKS2_S3_PS4_PS7_PS2_.has_recursion, 0
	.set _ZN9rocsparseL42csr2bsr_wavefront_per_row_multipass_kernelILj256ELj64ELj16EiliEEv20rocsparse_direction_T4_S2_S2_S2_S2_21rocsparse_index_base_PKT2_PKT3_PKS2_S3_PS4_PS7_PS2_.has_indirect_call, 0
	.section	.AMDGPU.csdata,"",@progbits
; Kernel info:
; codeLenInByte = 1928
; TotalNumSgprs: 28
; NumVgprs: 48
; ScratchSize: 0
; MemoryBound: 0
; FloatMode: 240
; IeeeMode: 1
; LDSByteSize: 4100 bytes/workgroup (compile time only)
; SGPRBlocks: 0
; VGPRBlocks: 2
; NumSGPRsForWavesPerEU: 28
; NumVGPRsForWavesPerEU: 48
; NamedBarCnt: 0
; Occupancy: 16
; WaveLimiterHint : 0
; COMPUTE_PGM_RSRC2:SCRATCH_EN: 0
; COMPUTE_PGM_RSRC2:USER_SGPR: 2
; COMPUTE_PGM_RSRC2:TRAP_HANDLER: 0
; COMPUTE_PGM_RSRC2:TGID_X_EN: 1
; COMPUTE_PGM_RSRC2:TGID_Y_EN: 0
; COMPUTE_PGM_RSRC2:TGID_Z_EN: 0
; COMPUTE_PGM_RSRC2:TIDIG_COMP_CNT: 0
	.section	.text._ZN9rocsparseL42csr2bsr_wavefront_per_row_multipass_kernelILj256ELj32ELj16EiliEEv20rocsparse_direction_T4_S2_S2_S2_S2_21rocsparse_index_base_PKT2_PKT3_PKS2_S3_PS4_PS7_PS2_,"axG",@progbits,_ZN9rocsparseL42csr2bsr_wavefront_per_row_multipass_kernelILj256ELj32ELj16EiliEEv20rocsparse_direction_T4_S2_S2_S2_S2_21rocsparse_index_base_PKT2_PKT3_PKS2_S3_PS4_PS7_PS2_,comdat
	.globl	_ZN9rocsparseL42csr2bsr_wavefront_per_row_multipass_kernelILj256ELj32ELj16EiliEEv20rocsparse_direction_T4_S2_S2_S2_S2_21rocsparse_index_base_PKT2_PKT3_PKS2_S3_PS4_PS7_PS2_ ; -- Begin function _ZN9rocsparseL42csr2bsr_wavefront_per_row_multipass_kernelILj256ELj32ELj16EiliEEv20rocsparse_direction_T4_S2_S2_S2_S2_21rocsparse_index_base_PKT2_PKT3_PKS2_S3_PS4_PS7_PS2_
	.p2align	8
	.type	_ZN9rocsparseL42csr2bsr_wavefront_per_row_multipass_kernelILj256ELj32ELj16EiliEEv20rocsparse_direction_T4_S2_S2_S2_S2_21rocsparse_index_base_PKT2_PKT3_PKS2_S3_PS4_PS7_PS2_,@function
_ZN9rocsparseL42csr2bsr_wavefront_per_row_multipass_kernelILj256ELj32ELj16EiliEEv20rocsparse_direction_T4_S2_S2_S2_S2_21rocsparse_index_base_PKT2_PKT3_PKS2_S3_PS4_PS7_PS2_: ; @_ZN9rocsparseL42csr2bsr_wavefront_per_row_multipass_kernelILj256ELj32ELj16EiliEEv20rocsparse_direction_T4_S2_S2_S2_S2_21rocsparse_index_base_PKT2_PKT3_PKS2_S3_PS4_PS7_PS2_
; %bb.0:
	s_clause 0x1
	s_load_b128 s[8:11], s[0:1], 0xc
	s_load_b64 s[4:5], s[0:1], 0x0
	s_bfe_u32 s2, ttmp6, 0x4000c
	s_and_b32 s3, ttmp6, 15
	s_add_co_i32 s2, s2, 1
	s_getreg_b32 s6, hwreg(HW_REG_IB_STS2, 6, 4)
	s_mul_i32 s2, ttmp9, s2
	v_lshrrev_b32_e32 v42, 5, v0
	s_add_co_i32 s3, s3, s2
	s_cmp_eq_u32 s6, 0
	v_bfe_u32 v10, v0, 1, 4
	s_cselect_b32 s2, ttmp9, s3
	s_load_b64 s[6:7], s[0:1], 0x28
	v_lshl_or_b32 v1, s2, 3, v42
	v_mov_b64_e32 v[2:3], 0
	v_mov_b64_e32 v[18:19], 0
	s_mov_b32 s3, 0
	s_wait_kmcnt 0x0
	v_mad_u32 v4, v1, s10, v10
	v_cmp_gt_i32_e32 vcc_lo, s10, v10
	s_delay_alu instid0(VALU_DEP_2) | instskip(SKIP_1) | instid1(SALU_CYCLE_1)
	v_cmp_gt_i32_e64 s2, s5, v4
	s_and_b32 s5, vcc_lo, s2
	s_and_saveexec_b32 s12, s5
	s_cbranch_execz .LBB14_2
; %bb.1:
	global_load_b64 v[6:7], v4, s[6:7] scale_offset
	s_mov_b32 s2, s11
	s_wait_loadcnt 0x0
	v_sub_nc_u64_e64 v[18:19], v[6:7], s[2:3]
.LBB14_2:
	s_or_b32 exec_lo, exec_lo, s12
	s_and_saveexec_b32 s2, s5
	s_cbranch_execz .LBB14_4
; %bb.3:
	global_load_b64 v[2:3], v4, s[6:7] offset:8 scale_offset
	s_wait_xcnt 0x0
	s_mov_b32 s7, 0
	s_mov_b32 s6, s11
	s_wait_loadcnt 0x0
	v_sub_nc_u64_e64 v[2:3], v[2:3], s[6:7]
.LBB14_4:
	s_or_b32 exec_lo, exec_lo, s2
	s_load_b32 s12, s[0:1], 0x38
	v_mov_b64_e32 v[4:5], 0
	s_mov_b32 s3, exec_lo
	v_cmpx_gt_i32_e64 s8, v1
	s_cbranch_execz .LBB14_6
; %bb.5:
	s_load_b64 s[6:7], s[0:1], 0x48
	s_mov_b32 s13, 0
	s_wait_kmcnt 0x0
	global_load_b64 v[4:5], v1, s[6:7] scale_offset
	s_wait_loadcnt 0x0
	v_sub_nc_u64_e64 v[4:5], v[4:5], s[12:13]
.LBB14_6:
	s_or_b32 exec_lo, exec_lo, s3
	s_cmp_lt_i32 s9, 1
	s_cbranch_scc1 .LBB14_59
; %bb.7:
	v_mbcnt_lo_u32_b32 v11, -1, 0
	v_lshlrev_b32_e32 v1, 6, v10
	s_load_b64 s[6:7], s[0:1], 0x40
	v_dual_mov_b32 v7, 0 :: v_dual_bitop2_b32 v0, 1, v0 bitop3:0x40
	s_delay_alu instid0(VALU_DEP_3) | instskip(NEXT) | instid1(VALU_DEP_3)
	v_xor_b32_e32 v6, 1, v11
	v_lshl_or_b32 v43, v42, 10, v1
	s_clause 0x2
	s_load_b64 s[14:15], s[0:1], 0x50
	s_load_b64 s[16:17], s[0:1], 0x20
	;; [unrolled: 1-line block ×3, first 2 shown]
	s_mov_b32 s21, 0
	s_cmp_lg_u32 s4, 0
	v_cmp_gt_i32_e64 s2, 32, v6
	s_mov_b32 s20, s10
	s_cselect_b32 s8, -1, 0
	s_mul_u64 s[22:23], s[20:21], s[20:21]
	s_lshl_b32 s20, s10, 1
	v_dual_cndmask_b32 v6, v11, v6, s2 :: v_dual_bitop2_b32 v12, 16, v11 bitop3:0x14
	v_mov_b32_e32 v1, v7
	v_lshl_or_b32 v46, v11, 2, 4
	v_dual_mov_b32 v21, v7 :: v_dual_bitop2_b32 v23, 8, v0 bitop3:0x54
	s_delay_alu instid0(VALU_DEP_4)
	v_lshlrev_b32_e32 v45, 2, v6
	v_lshlrev_b32_e32 v6, 2, v10
	s_wait_xcnt 0x0
	v_cmp_gt_i32_e64 s0, 32, v12
	s_abs_i32 s13, s10
	v_cmp_gt_u32_e64 s4, s10, v23
	v_dual_mov_b32 v27, v7 :: v_dual_bitop2_b32 v28, 14, v0 bitop3:0x54
	s_wait_kmcnt 0x0
	v_add_nc_u64_e32 v[8:9], s[6:7], v[6:7]
	v_mul_lo_u32 v6, s10, v10
	v_dual_cndmask_b32 v14, v11, v12, s0 :: v_dual_bitop2_b32 v10, 8, v11 bitop3:0x14
	v_xor_b32_e32 v12, 4, v11
	v_mov_b64_e32 v[30:31], 0
	v_lshl_or_b32 v44, v0, 2, v43
	s_delay_alu instid0(VALU_DEP_4)
	v_cmp_gt_i32_e64 s0, 32, v10
	v_xor_b32_e32 v13, 2, v11
	s_and_b32 s4, vcc_lo, s4
	s_ashr_i32 s25, s10, 31
	s_mov_b32 s26, s21
	v_cndmask_b32_e64 v15, v11, v10, s0
	v_mul_lo_u32 v10, v0, s10
	v_cmp_gt_i32_e64 s0, 32, v12
	v_lshlrev_b32_e32 v47, 2, v14
	s_delay_alu instid0(VALU_DEP_4) | instskip(SKIP_1) | instid1(VALU_DEP_4)
	v_dual_mov_b32 v51, 0x7c :: v_dual_lshlrev_b32 v48, 2, v15
	v_mov_b32_e32 v15, v7
	v_cndmask_b32_e64 v16, v11, v12, s0
	v_cmp_gt_i32_e64 s0, 32, v13
	v_dual_mov_b32 v23, v7 :: v_dual_mov_b32 v25, v7
	v_dual_mov_b32 v52, 1 :: v_dual_add_nc_u32 v14, s20, v10
	s_delay_alu instid0(VALU_DEP_3) | instskip(SKIP_2) | instid1(VALU_DEP_4)
	v_dual_cndmask_b32 v11, v11, v13, s0 :: v_dual_lshlrev_b32 v49, 2, v16
	v_or_b32_e32 v17, 4, v0
	v_lshl_add_u64 v[12:13], v[6:7], 2, s[6:7]
	v_dual_add_nc_u32 v16, s20, v14 :: v_dual_bitop2_b32 v6, 2, v0 bitop3:0x54
	s_delay_alu instid0(VALU_DEP_4) | instskip(NEXT) | instid1(VALU_DEP_4)
	v_dual_mov_b32 v11, v7 :: v_dual_lshlrev_b32 v50, 2, v11
	v_cmp_gt_u32_e64 s2, s10, v17
	s_delay_alu instid0(VALU_DEP_3) | instskip(NEXT) | instid1(VALU_DEP_4)
	v_dual_mov_b32 v17, v7 :: v_dual_add_nc_u32 v20, s20, v16
	v_cmp_gt_u32_e64 s1, s10, v6
	v_or_b32_e32 v6, 6, v0
	s_cvt_f32_u32 s6, s13
	v_add_nc_u32_e32 v22, s20, v20
	v_cmp_gt_u32_e64 s0, s10, v0
	v_cmp_gt_u32_e64 s7, s10, v28
	;; [unrolled: 1-line block ×3, first 2 shown]
	s_delay_alu instid0(VALU_DEP_4) | instskip(SKIP_3) | instid1(VALU_DEP_1)
	v_dual_add_nc_u32 v24, s20, v22 :: v_dual_bitop2_b32 v6, 10, v0 bitop3:0x54
	v_rcp_iflag_f32_e32 v29, s6
	s_and_b32 s24, s0, vcc_lo
	s_and_b32 s1, vcc_lo, s1
	v_cmp_gt_u32_e64 s5, s10, v6
	v_add_nc_u32_e32 v26, s20, v24
	v_or_b32_e32 v6, 12, v0
	s_and_b32 s2, vcc_lo, s2
	s_and_b32 s3, vcc_lo, s3
	;; [unrolled: 1-line block ×3, first 2 shown]
	v_add_nc_u32_e32 v28, s20, v26
	v_readfirstlane_b32 s20, v29
	v_cmp_gt_u32_e64 s6, s10, v6
	v_mov_b32_e32 v29, v7
	s_and_b32 s7, vcc_lo, s7
	s_mul_f32 s0, s20, 0x4f7ffffe
	s_sub_co_i32 s20, 0, s13
	s_and_b32 s6, vcc_lo, s6
	s_delay_alu instid0(SALU_CYCLE_1) | instskip(NEXT) | instid1(SALU_CYCLE_3)
	s_cvt_u32_f32 s0, s0
	s_mul_i32 s20, s20, s0
	s_delay_alu instid0(SALU_CYCLE_1) | instskip(NEXT) | instid1(SALU_CYCLE_1)
	s_mul_hi_u32 s20, s0, s20
	s_add_co_i32 s20, s0, s20
	s_branch .LBB14_10
.LBB14_8:                               ;   in Loop: Header=BB14_10 Depth=1
	s_wait_xcnt 0x0
	s_or_b32 exec_lo, exec_lo, s27
	v_mov_b64_e32 v[32:33], 1
.LBB14_9:                               ;   in Loop: Header=BB14_10 Depth=1
	s_or_b32 exec_lo, exec_lo, s0
	ds_bpermute_b32 v6, v47, v53
	v_add_nc_u64_e32 v[4:5], v[32:33], v[4:5]
	s_wait_storecnt_dscnt 0x0
	v_min_i32_e32 v6, v6, v53
	ds_bpermute_b32 v30, v48, v6
	s_wait_dscnt 0x0
	v_min_i32_e32 v6, v30, v6
	ds_bpermute_b32 v30, v49, v6
	s_wait_dscnt 0x0
	;; [unrolled: 3-line block ×5, first 2 shown]
	v_cmp_le_i32_e32 vcc_lo, s9, v30
	v_ashrrev_i32_e32 v31, 31, v30
	s_or_b32 s26, vcc_lo, s26
	s_delay_alu instid0(SALU_CYCLE_1)
	s_and_not1_b32 exec_lo, exec_lo, s26
	s_cbranch_execz .LBB14_59
.LBB14_10:                              ; =>This Loop Header: Depth=1
                                        ;     Child Loop BB14_13 Depth 2
	v_add_nc_u64_e32 v[18:19], v[18:19], v[0:1]
	v_mov_b64_e32 v[36:37], v[2:3]
	v_mov_b32_e32 v53, s9
	s_mov_b32 s27, exec_lo
	ds_store_b8 v42, v7 offset:8192
	ds_store_2addr_b32 v44, v7, v7 offset1:2
	ds_store_2addr_b32 v44, v7, v7 offset0:4 offset1:6
	ds_store_2addr_b32 v44, v7, v7 offset0:8 offset1:10
	;; [unrolled: 1-line block ×3, first 2 shown]
	s_wait_dscnt 0x0
	v_cmpx_lt_i64_e64 v[18:19], v[2:3]
	s_cbranch_execz .LBB14_18
; %bb.11:                               ;   in Loop: Header=BB14_10 Depth=1
	v_lshlrev_b64_e32 v[34:35], 2, v[18:19]
	v_mov_b64_e32 v[36:37], v[2:3]
	v_mov_b32_e32 v53, s9
	s_mov_b32 s28, 0
	s_delay_alu instid0(VALU_DEP_3)
	v_add_nc_u64_e32 v[32:33], s[16:17], v[34:35]
	v_add_nc_u64_e32 v[34:35], s[18:19], v[34:35]
	s_branch .LBB14_13
.LBB14_12:                              ;   in Loop: Header=BB14_13 Depth=2
	s_wait_xcnt 0x0
	s_or_b32 exec_lo, exec_lo, s0
	v_add_nc_u64_e32 v[18:19], 2, v[18:19]
	s_xor_b32 s29, vcc_lo, -1
	v_add_nc_u64_e32 v[32:33], 8, v[32:33]
	v_add_nc_u64_e32 v[34:35], 8, v[34:35]
	s_delay_alu instid0(VALU_DEP_3) | instskip(SKIP_1) | instid1(SALU_CYCLE_1)
	v_cmp_ge_i64_e64 s0, v[18:19], v[2:3]
	s_or_b32 s0, s29, s0
	s_and_b32 s0, exec_lo, s0
	s_delay_alu instid0(SALU_CYCLE_1) | instskip(NEXT) | instid1(SALU_CYCLE_1)
	s_or_b32 s28, s0, s28
	s_and_not1_b32 exec_lo, exec_lo, s28
	s_cbranch_execz .LBB14_17
.LBB14_13:                              ;   Parent Loop BB14_10 Depth=1
                                        ; =>  This Inner Loop Header: Depth=2
	global_load_b32 v6, v[34:35], off
	s_wait_loadcnt 0x0
	v_subrev_nc_u32_e32 v54, s11, v6
	s_delay_alu instid0(VALU_DEP_1) | instskip(NEXT) | instid1(VALU_DEP_1)
	v_sub_nc_u32_e32 v6, 0, v54
	v_max_i32_e32 v6, v54, v6
	s_delay_alu instid0(VALU_DEP_1) | instskip(NEXT) | instid1(VALU_DEP_1)
	v_mul_u64_e32 v[38:39], s[20:21], v[6:7]
	v_mul_lo_u32 v38, v39, s13
	s_delay_alu instid0(VALU_DEP_1) | instskip(NEXT) | instid1(VALU_DEP_1)
	v_dual_sub_nc_u32 v6, v6, v38 :: v_dual_add_nc_u32 v38, 1, v39
	v_cmp_le_u32_e32 vcc_lo, s13, v6
	s_delay_alu instid0(VALU_DEP_2) | instskip(SKIP_1) | instid1(VALU_DEP_1)
	v_cndmask_b32_e32 v38, v39, v38, vcc_lo
	v_subrev_nc_u32_e32 v40, s13, v6
	v_dual_cndmask_b32 v6, v6, v40 :: v_dual_ashrrev_i32 v39, 31, v54
	s_delay_alu instid0(VALU_DEP_1) | instskip(NEXT) | instid1(VALU_DEP_2)
	v_dual_add_nc_u32 v40, 1, v38 :: v_dual_bitop2_b32 v39, s25, v39 bitop3:0x14
	v_cmp_le_u32_e32 vcc_lo, s13, v6
	s_delay_alu instid0(VALU_DEP_2) | instskip(SKIP_1) | instid1(VALU_DEP_2)
	v_cndmask_b32_e32 v6, v38, v40, vcc_lo
	v_mov_b64_e32 v[40:41], v[36:37]
	v_xor_b32_e32 v6, v6, v39
	s_delay_alu instid0(VALU_DEP_1) | instskip(NEXT) | instid1(VALU_DEP_1)
	v_sub_nc_u32_e32 v38, v6, v39
	v_ashrrev_i32_e32 v39, 31, v38
	s_delay_alu instid0(VALU_DEP_1) | instskip(SKIP_3) | instid1(SALU_CYCLE_1)
	v_cmp_ne_u64_e64 s0, v[30:31], v[38:39]
	v_cmp_eq_u64_e32 vcc_lo, v[30:31], v[38:39]
	s_wait_xcnt 0x0
	s_and_saveexec_b32 s29, s0
	s_xor_b32 s0, exec_lo, s29
; %bb.14:                               ;   in Loop: Header=BB14_13 Depth=2
	v_min_i32_e32 v53, v38, v53
                                        ; implicit-def: $vgpr38
                                        ; implicit-def: $vgpr54
                                        ; implicit-def: $vgpr40_vgpr41
; %bb.15:                               ;   in Loop: Header=BB14_13 Depth=2
	s_or_saveexec_b32 s0, s0
	v_mov_b64_e32 v[36:37], v[18:19]
	s_xor_b32 exec_lo, exec_lo, s0
	s_cbranch_execz .LBB14_12
; %bb.16:                               ;   in Loop: Header=BB14_13 Depth=2
	global_load_b32 v6, v[32:33], off
	v_mul_lo_u32 v36, v38, s10
	s_delay_alu instid0(VALU_DEP_1) | instskip(NEXT) | instid1(VALU_DEP_1)
	v_sub_nc_u32_e32 v36, v54, v36
	v_lshl_add_u32 v38, v36, 2, v43
	v_mov_b64_e32 v[36:37], v[40:41]
	ds_store_b8 v42, v52 offset:8192
	s_wait_loadcnt 0x0
	ds_store_b32 v38, v6
	s_branch .LBB14_12
.LBB14_17:                              ;   in Loop: Header=BB14_10 Depth=1
	s_or_b32 exec_lo, exec_lo, s28
.LBB14_18:                              ;   in Loop: Header=BB14_10 Depth=1
	s_delay_alu instid0(SALU_CYCLE_1)
	s_or_b32 exec_lo, exec_lo, s27
	ds_bpermute_b32 v18, v45, v36
	ds_bpermute_b32 v19, v45, v37
	s_wait_dscnt 0x0
	ds_load_u8 v6, v42 offset:8192
	v_mov_b64_e32 v[32:33], 0
	s_mov_b32 s0, exec_lo
	v_min_i64 v[18:19], v[18:19], v[36:37]
	s_wait_dscnt 0x0
	v_and_b32_e32 v6, 1, v6
	ds_bpermute_b32 v18, v46, v18
	ds_bpermute_b32 v19, v46, v19
	v_cmpx_eq_u32_e32 1, v6
	s_cbranch_execz .LBB14_9
; %bb.19:                               ;   in Loop: Header=BB14_10 Depth=1
	v_mul_u64_e32 v[32:33], s[22:23], v[4:5]
	v_add_nc_u32_e32 v6, s12, v30
	s_delay_alu instid0(VALU_DEP_2) | instskip(NEXT) | instid1(VALU_DEP_1)
	v_lshlrev_b64_e32 v[34:35], 2, v[32:33]
	v_add_nc_u64_e32 v[32:33], v[8:9], v[34:35]
	v_add_nc_u64_e32 v[30:31], v[12:13], v[34:35]
	v_lshl_add_u64 v[34:35], v[4:5], 2, s[14:15]
	global_store_b32 v[34:35], v6, off
	s_wait_xcnt 0x0
	s_and_saveexec_b32 s27, s24
	s_cbranch_execz .LBB14_23
; %bb.20:                               ;   in Loop: Header=BB14_10 Depth=1
	ds_load_b32 v34, v44
	s_and_b32 vcc_lo, exec_lo, s8
	s_cbranch_vccz .LBB14_50
; %bb.21:                               ;   in Loop: Header=BB14_10 Depth=1
	v_lshl_add_u64 v[36:37], v[10:11], 2, v[32:33]
	s_wait_dscnt 0x0
	global_store_b32 v[36:37], v34, off
	s_cbranch_execnz .LBB14_23
.LBB14_22:                              ;   in Loop: Header=BB14_10 Depth=1
	v_lshlrev_b32_e32 v6, 2, v0
	s_wait_xcnt 0x0
	s_delay_alu instid0(VALU_DEP_1)
	v_add_nc_u64_e32 v[36:37], v[30:31], v[6:7]
	s_wait_dscnt 0x0
	global_store_b32 v[36:37], v34, off
.LBB14_23:                              ;   in Loop: Header=BB14_10 Depth=1
	s_wait_xcnt 0x0
	s_or_b32 exec_lo, exec_lo, s27
	s_and_saveexec_b32 s27, s1
	s_cbranch_execz .LBB14_27
; %bb.24:                               ;   in Loop: Header=BB14_10 Depth=1
	s_and_not1_b32 vcc_lo, exec_lo, s8
	s_cbranch_vccnz .LBB14_51
; %bb.25:                               ;   in Loop: Header=BB14_10 Depth=1
	ds_load_b32 v6, v44 offset:8
	s_wait_dscnt 0x1
	v_lshl_add_u64 v[34:35], v[14:15], 2, v[32:33]
	s_wait_dscnt 0x0
	global_store_b32 v[34:35], v6, off
	s_cbranch_execnz .LBB14_27
.LBB14_26:                              ;   in Loop: Header=BB14_10 Depth=1
	ds_load_b32 v36, v44 offset:8
	s_wait_xcnt 0x0
	v_lshlrev_b32_e32 v6, 2, v0
	s_wait_dscnt 0x1
	s_delay_alu instid0(VALU_DEP_1)
	v_add_nc_u64_e32 v[34:35], v[30:31], v[6:7]
	s_wait_dscnt 0x0
	global_store_b32 v[34:35], v36, off offset:8
.LBB14_27:                              ;   in Loop: Header=BB14_10 Depth=1
	s_wait_xcnt 0x0
	s_or_b32 exec_lo, exec_lo, s27
	s_and_saveexec_b32 s27, s2
	s_cbranch_execz .LBB14_31
; %bb.28:                               ;   in Loop: Header=BB14_10 Depth=1
	s_and_not1_b32 vcc_lo, exec_lo, s8
	s_cbranch_vccnz .LBB14_52
; %bb.29:                               ;   in Loop: Header=BB14_10 Depth=1
	ds_load_b32 v6, v44 offset:16
	s_wait_dscnt 0x1
	v_lshl_add_u64 v[34:35], v[16:17], 2, v[32:33]
	s_wait_dscnt 0x0
	global_store_b32 v[34:35], v6, off
	s_cbranch_execnz .LBB14_31
.LBB14_30:                              ;   in Loop: Header=BB14_10 Depth=1
	ds_load_b32 v36, v44 offset:16
	s_wait_xcnt 0x0
	v_lshlrev_b32_e32 v6, 2, v0
	s_wait_dscnt 0x1
	s_delay_alu instid0(VALU_DEP_1)
	v_add_nc_u64_e32 v[34:35], v[30:31], v[6:7]
	s_wait_dscnt 0x0
	global_store_b32 v[34:35], v36, off offset:16
.LBB14_31:                              ;   in Loop: Header=BB14_10 Depth=1
	s_wait_xcnt 0x0
	s_or_b32 exec_lo, exec_lo, s27
	s_and_saveexec_b32 s27, s3
	s_cbranch_execz .LBB14_35
; %bb.32:                               ;   in Loop: Header=BB14_10 Depth=1
	s_and_not1_b32 vcc_lo, exec_lo, s8
	s_cbranch_vccnz .LBB14_53
; %bb.33:                               ;   in Loop: Header=BB14_10 Depth=1
	ds_load_b32 v6, v44 offset:24
	s_wait_dscnt 0x1
	v_lshl_add_u64 v[34:35], v[20:21], 2, v[32:33]
	s_wait_dscnt 0x0
	global_store_b32 v[34:35], v6, off
	s_cbranch_execnz .LBB14_35
.LBB14_34:                              ;   in Loop: Header=BB14_10 Depth=1
	ds_load_b32 v36, v44 offset:24
	s_wait_xcnt 0x0
	v_lshlrev_b32_e32 v6, 2, v0
	s_wait_dscnt 0x1
	s_delay_alu instid0(VALU_DEP_1)
	v_add_nc_u64_e32 v[34:35], v[30:31], v[6:7]
	s_wait_dscnt 0x0
	global_store_b32 v[34:35], v36, off offset:24
.LBB14_35:                              ;   in Loop: Header=BB14_10 Depth=1
	s_wait_xcnt 0x0
	s_or_b32 exec_lo, exec_lo, s27
	s_and_saveexec_b32 s27, s4
	s_cbranch_execz .LBB14_39
; %bb.36:                               ;   in Loop: Header=BB14_10 Depth=1
	s_and_not1_b32 vcc_lo, exec_lo, s8
	s_cbranch_vccnz .LBB14_54
; %bb.37:                               ;   in Loop: Header=BB14_10 Depth=1
	ds_load_b32 v6, v44 offset:32
	s_wait_dscnt 0x1
	v_lshl_add_u64 v[34:35], v[22:23], 2, v[32:33]
	s_wait_dscnt 0x0
	global_store_b32 v[34:35], v6, off
	s_cbranch_execnz .LBB14_39
.LBB14_38:                              ;   in Loop: Header=BB14_10 Depth=1
	ds_load_b32 v36, v44 offset:32
	s_wait_xcnt 0x0
	v_lshlrev_b32_e32 v6, 2, v0
	s_wait_dscnt 0x1
	s_delay_alu instid0(VALU_DEP_1)
	v_add_nc_u64_e32 v[34:35], v[30:31], v[6:7]
	s_wait_dscnt 0x0
	global_store_b32 v[34:35], v36, off offset:32
.LBB14_39:                              ;   in Loop: Header=BB14_10 Depth=1
	s_wait_xcnt 0x0
	s_or_b32 exec_lo, exec_lo, s27
	s_and_saveexec_b32 s27, s5
	s_cbranch_execz .LBB14_43
; %bb.40:                               ;   in Loop: Header=BB14_10 Depth=1
	s_and_not1_b32 vcc_lo, exec_lo, s8
	s_cbranch_vccnz .LBB14_55
; %bb.41:                               ;   in Loop: Header=BB14_10 Depth=1
	ds_load_b32 v6, v44 offset:40
	s_wait_dscnt 0x1
	v_lshl_add_u64 v[34:35], v[24:25], 2, v[32:33]
	s_wait_dscnt 0x0
	global_store_b32 v[34:35], v6, off
	s_cbranch_execnz .LBB14_43
.LBB14_42:                              ;   in Loop: Header=BB14_10 Depth=1
	ds_load_b32 v36, v44 offset:40
	s_wait_xcnt 0x0
	v_lshlrev_b32_e32 v6, 2, v0
	s_wait_dscnt 0x1
	s_delay_alu instid0(VALU_DEP_1)
	v_add_nc_u64_e32 v[34:35], v[30:31], v[6:7]
	s_wait_dscnt 0x0
	global_store_b32 v[34:35], v36, off offset:40
.LBB14_43:                              ;   in Loop: Header=BB14_10 Depth=1
	s_wait_xcnt 0x0
	s_or_b32 exec_lo, exec_lo, s27
	s_and_saveexec_b32 s27, s6
	s_cbranch_execz .LBB14_47
; %bb.44:                               ;   in Loop: Header=BB14_10 Depth=1
	s_and_not1_b32 vcc_lo, exec_lo, s8
	s_cbranch_vccnz .LBB14_56
; %bb.45:                               ;   in Loop: Header=BB14_10 Depth=1
	ds_load_b32 v6, v44 offset:48
	s_wait_dscnt 0x1
	v_lshl_add_u64 v[34:35], v[26:27], 2, v[32:33]
	s_wait_dscnt 0x0
	global_store_b32 v[34:35], v6, off
	s_cbranch_execnz .LBB14_47
.LBB14_46:                              ;   in Loop: Header=BB14_10 Depth=1
	ds_load_b32 v36, v44 offset:48
	s_wait_xcnt 0x0
	v_lshlrev_b32_e32 v6, 2, v0
	s_wait_dscnt 0x1
	s_delay_alu instid0(VALU_DEP_1)
	v_add_nc_u64_e32 v[34:35], v[30:31], v[6:7]
	s_wait_dscnt 0x0
	global_store_b32 v[34:35], v36, off offset:48
.LBB14_47:                              ;   in Loop: Header=BB14_10 Depth=1
	s_wait_xcnt 0x0
	s_or_b32 exec_lo, exec_lo, s27
	s_and_saveexec_b32 s27, s7
	s_cbranch_execz .LBB14_8
; %bb.48:                               ;   in Loop: Header=BB14_10 Depth=1
	s_and_not1_b32 vcc_lo, exec_lo, s8
	s_cbranch_vccnz .LBB14_57
; %bb.49:                               ;   in Loop: Header=BB14_10 Depth=1
	ds_load_b32 v6, v44 offset:56
	v_lshl_add_u64 v[32:33], v[28:29], 2, v[32:33]
	s_wait_dscnt 0x0
	global_store_b32 v[32:33], v6, off
	s_cbranch_execnz .LBB14_8
	s_branch .LBB14_58
.LBB14_50:                              ;   in Loop: Header=BB14_10 Depth=1
	s_branch .LBB14_22
.LBB14_51:                              ;   in Loop: Header=BB14_10 Depth=1
	s_branch .LBB14_26
.LBB14_52:                              ;   in Loop: Header=BB14_10 Depth=1
	s_branch .LBB14_30
.LBB14_53:                              ;   in Loop: Header=BB14_10 Depth=1
	s_branch .LBB14_34
.LBB14_54:                              ;   in Loop: Header=BB14_10 Depth=1
	s_branch .LBB14_38
.LBB14_55:                              ;   in Loop: Header=BB14_10 Depth=1
	s_branch .LBB14_42
.LBB14_56:                              ;   in Loop: Header=BB14_10 Depth=1
	s_branch .LBB14_46
.LBB14_57:                              ;   in Loop: Header=BB14_10 Depth=1
.LBB14_58:                              ;   in Loop: Header=BB14_10 Depth=1
	s_wait_xcnt 0x0
	ds_load_b32 v32, v44 offset:56
	v_lshlrev_b32_e32 v6, 2, v0
	s_delay_alu instid0(VALU_DEP_1)
	v_add_nc_u64_e32 v[30:31], v[30:31], v[6:7]
	s_wait_dscnt 0x0
	global_store_b32 v[30:31], v32, off offset:56
	s_branch .LBB14_8
.LBB14_59:
	s_endpgm
	.section	.rodata,"a",@progbits
	.p2align	6, 0x0
	.amdhsa_kernel _ZN9rocsparseL42csr2bsr_wavefront_per_row_multipass_kernelILj256ELj32ELj16EiliEEv20rocsparse_direction_T4_S2_S2_S2_S2_21rocsparse_index_base_PKT2_PKT3_PKS2_S3_PS4_PS7_PS2_
		.amdhsa_group_segment_fixed_size 8200
		.amdhsa_private_segment_fixed_size 0
		.amdhsa_kernarg_size 88
		.amdhsa_user_sgpr_count 2
		.amdhsa_user_sgpr_dispatch_ptr 0
		.amdhsa_user_sgpr_queue_ptr 0
		.amdhsa_user_sgpr_kernarg_segment_ptr 1
		.amdhsa_user_sgpr_dispatch_id 0
		.amdhsa_user_sgpr_kernarg_preload_length 0
		.amdhsa_user_sgpr_kernarg_preload_offset 0
		.amdhsa_user_sgpr_private_segment_size 0
		.amdhsa_wavefront_size32 1
		.amdhsa_uses_dynamic_stack 0
		.amdhsa_enable_private_segment 0
		.amdhsa_system_sgpr_workgroup_id_x 1
		.amdhsa_system_sgpr_workgroup_id_y 0
		.amdhsa_system_sgpr_workgroup_id_z 0
		.amdhsa_system_sgpr_workgroup_info 0
		.amdhsa_system_vgpr_workitem_id 0
		.amdhsa_next_free_vgpr 55
		.amdhsa_next_free_sgpr 30
		.amdhsa_named_barrier_count 0
		.amdhsa_reserve_vcc 1
		.amdhsa_float_round_mode_32 0
		.amdhsa_float_round_mode_16_64 0
		.amdhsa_float_denorm_mode_32 3
		.amdhsa_float_denorm_mode_16_64 3
		.amdhsa_fp16_overflow 0
		.amdhsa_memory_ordered 1
		.amdhsa_forward_progress 1
		.amdhsa_inst_pref_size 20
		.amdhsa_round_robin_scheduling 0
		.amdhsa_exception_fp_ieee_invalid_op 0
		.amdhsa_exception_fp_denorm_src 0
		.amdhsa_exception_fp_ieee_div_zero 0
		.amdhsa_exception_fp_ieee_overflow 0
		.amdhsa_exception_fp_ieee_underflow 0
		.amdhsa_exception_fp_ieee_inexact 0
		.amdhsa_exception_int_div_zero 0
	.end_amdhsa_kernel
	.section	.text._ZN9rocsparseL42csr2bsr_wavefront_per_row_multipass_kernelILj256ELj32ELj16EiliEEv20rocsparse_direction_T4_S2_S2_S2_S2_21rocsparse_index_base_PKT2_PKT3_PKS2_S3_PS4_PS7_PS2_,"axG",@progbits,_ZN9rocsparseL42csr2bsr_wavefront_per_row_multipass_kernelILj256ELj32ELj16EiliEEv20rocsparse_direction_T4_S2_S2_S2_S2_21rocsparse_index_base_PKT2_PKT3_PKS2_S3_PS4_PS7_PS2_,comdat
.Lfunc_end14:
	.size	_ZN9rocsparseL42csr2bsr_wavefront_per_row_multipass_kernelILj256ELj32ELj16EiliEEv20rocsparse_direction_T4_S2_S2_S2_S2_21rocsparse_index_base_PKT2_PKT3_PKS2_S3_PS4_PS7_PS2_, .Lfunc_end14-_ZN9rocsparseL42csr2bsr_wavefront_per_row_multipass_kernelILj256ELj32ELj16EiliEEv20rocsparse_direction_T4_S2_S2_S2_S2_21rocsparse_index_base_PKT2_PKT3_PKS2_S3_PS4_PS7_PS2_
                                        ; -- End function
	.set _ZN9rocsparseL42csr2bsr_wavefront_per_row_multipass_kernelILj256ELj32ELj16EiliEEv20rocsparse_direction_T4_S2_S2_S2_S2_21rocsparse_index_base_PKT2_PKT3_PKS2_S3_PS4_PS7_PS2_.num_vgpr, 55
	.set _ZN9rocsparseL42csr2bsr_wavefront_per_row_multipass_kernelILj256ELj32ELj16EiliEEv20rocsparse_direction_T4_S2_S2_S2_S2_21rocsparse_index_base_PKT2_PKT3_PKS2_S3_PS4_PS7_PS2_.num_agpr, 0
	.set _ZN9rocsparseL42csr2bsr_wavefront_per_row_multipass_kernelILj256ELj32ELj16EiliEEv20rocsparse_direction_T4_S2_S2_S2_S2_21rocsparse_index_base_PKT2_PKT3_PKS2_S3_PS4_PS7_PS2_.numbered_sgpr, 30
	.set _ZN9rocsparseL42csr2bsr_wavefront_per_row_multipass_kernelILj256ELj32ELj16EiliEEv20rocsparse_direction_T4_S2_S2_S2_S2_21rocsparse_index_base_PKT2_PKT3_PKS2_S3_PS4_PS7_PS2_.num_named_barrier, 0
	.set _ZN9rocsparseL42csr2bsr_wavefront_per_row_multipass_kernelILj256ELj32ELj16EiliEEv20rocsparse_direction_T4_S2_S2_S2_S2_21rocsparse_index_base_PKT2_PKT3_PKS2_S3_PS4_PS7_PS2_.private_seg_size, 0
	.set _ZN9rocsparseL42csr2bsr_wavefront_per_row_multipass_kernelILj256ELj32ELj16EiliEEv20rocsparse_direction_T4_S2_S2_S2_S2_21rocsparse_index_base_PKT2_PKT3_PKS2_S3_PS4_PS7_PS2_.uses_vcc, 1
	.set _ZN9rocsparseL42csr2bsr_wavefront_per_row_multipass_kernelILj256ELj32ELj16EiliEEv20rocsparse_direction_T4_S2_S2_S2_S2_21rocsparse_index_base_PKT2_PKT3_PKS2_S3_PS4_PS7_PS2_.uses_flat_scratch, 0
	.set _ZN9rocsparseL42csr2bsr_wavefront_per_row_multipass_kernelILj256ELj32ELj16EiliEEv20rocsparse_direction_T4_S2_S2_S2_S2_21rocsparse_index_base_PKT2_PKT3_PKS2_S3_PS4_PS7_PS2_.has_dyn_sized_stack, 0
	.set _ZN9rocsparseL42csr2bsr_wavefront_per_row_multipass_kernelILj256ELj32ELj16EiliEEv20rocsparse_direction_T4_S2_S2_S2_S2_21rocsparse_index_base_PKT2_PKT3_PKS2_S3_PS4_PS7_PS2_.has_recursion, 0
	.set _ZN9rocsparseL42csr2bsr_wavefront_per_row_multipass_kernelILj256ELj32ELj16EiliEEv20rocsparse_direction_T4_S2_S2_S2_S2_21rocsparse_index_base_PKT2_PKT3_PKS2_S3_PS4_PS7_PS2_.has_indirect_call, 0
	.section	.AMDGPU.csdata,"",@progbits
; Kernel info:
; codeLenInByte = 2444
; TotalNumSgprs: 32
; NumVgprs: 55
; ScratchSize: 0
; MemoryBound: 0
; FloatMode: 240
; IeeeMode: 1
; LDSByteSize: 8200 bytes/workgroup (compile time only)
; SGPRBlocks: 0
; VGPRBlocks: 3
; NumSGPRsForWavesPerEU: 32
; NumVGPRsForWavesPerEU: 55
; NamedBarCnt: 0
; Occupancy: 16
; WaveLimiterHint : 0
; COMPUTE_PGM_RSRC2:SCRATCH_EN: 0
; COMPUTE_PGM_RSRC2:USER_SGPR: 2
; COMPUTE_PGM_RSRC2:TRAP_HANDLER: 0
; COMPUTE_PGM_RSRC2:TGID_X_EN: 1
; COMPUTE_PGM_RSRC2:TGID_Y_EN: 0
; COMPUTE_PGM_RSRC2:TGID_Z_EN: 0
; COMPUTE_PGM_RSRC2:TIDIG_COMP_CNT: 0
	.section	.text._ZN9rocsparseL38csr2bsr_block_per_row_multipass_kernelILj256ELj32EiliEEv20rocsparse_direction_T3_S2_S2_S2_S2_21rocsparse_index_base_PKT1_PKT2_PKS2_S3_PS4_PS7_PS2_,"axG",@progbits,_ZN9rocsparseL38csr2bsr_block_per_row_multipass_kernelILj256ELj32EiliEEv20rocsparse_direction_T3_S2_S2_S2_S2_21rocsparse_index_base_PKT1_PKT2_PKS2_S3_PS4_PS7_PS2_,comdat
	.globl	_ZN9rocsparseL38csr2bsr_block_per_row_multipass_kernelILj256ELj32EiliEEv20rocsparse_direction_T3_S2_S2_S2_S2_21rocsparse_index_base_PKT1_PKT2_PKS2_S3_PS4_PS7_PS2_ ; -- Begin function _ZN9rocsparseL38csr2bsr_block_per_row_multipass_kernelILj256ELj32EiliEEv20rocsparse_direction_T3_S2_S2_S2_S2_21rocsparse_index_base_PKT1_PKT2_PKS2_S3_PS4_PS7_PS2_
	.p2align	8
	.type	_ZN9rocsparseL38csr2bsr_block_per_row_multipass_kernelILj256ELj32EiliEEv20rocsparse_direction_T3_S2_S2_S2_S2_21rocsparse_index_base_PKT1_PKT2_PKS2_S3_PS4_PS7_PS2_,@function
_ZN9rocsparseL38csr2bsr_block_per_row_multipass_kernelILj256ELj32EiliEEv20rocsparse_direction_T3_S2_S2_S2_S2_21rocsparse_index_base_PKT1_PKT2_PKS2_S3_PS4_PS7_PS2_: ; @_ZN9rocsparseL38csr2bsr_block_per_row_multipass_kernelILj256ELj32EiliEEv20rocsparse_direction_T3_S2_S2_S2_S2_21rocsparse_index_base_PKT1_PKT2_PKS2_S3_PS4_PS7_PS2_
; %bb.0:
	s_clause 0x1
	s_load_b96 s[12:14], s[0:1], 0x10
	s_load_b64 s[4:5], s[0:1], 0x0
	s_bfe_u32 s2, ttmp6, 0x4000c
	s_and_b32 s3, ttmp6, 15
	s_add_co_i32 s2, s2, 1
	s_getreg_b32 s6, hwreg(HW_REG_IB_STS2, 6, 4)
	s_mul_i32 s2, ttmp9, s2
	v_lshrrev_b32_e32 v1, 3, v0
	s_add_co_i32 s3, s3, s2
	s_cmp_eq_u32 s6, 0
	s_load_b64 s[8:9], s[0:1], 0x28
	s_cselect_b32 s6, ttmp9, s3
	v_mov_b64_e32 v[2:3], 0
	v_mov_b64_e32 v[18:19], 0
	s_mov_b32 s3, 0
	s_wait_kmcnt 0x0
	v_mad_u32 v4, s13, s6, v1
	v_cmp_gt_i32_e32 vcc_lo, s13, v1
	s_delay_alu instid0(VALU_DEP_2) | instskip(SKIP_1) | instid1(SALU_CYCLE_1)
	v_cmp_gt_i32_e64 s2, s5, v4
	s_and_b32 s5, vcc_lo, s2
	s_and_saveexec_b32 s7, s5
	s_cbranch_execnz .LBB15_3
; %bb.1:
	s_or_b32 exec_lo, exec_lo, s7
	s_and_saveexec_b32 s2, s5
	s_cbranch_execnz .LBB15_4
.LBB15_2:
	s_or_b32 exec_lo, exec_lo, s2
	s_cmp_lt_i32 s12, 1
	s_cbranch_scc0 .LBB15_5
	s_branch .LBB15_53
.LBB15_3:
	global_load_b64 v[6:7], v4, s[8:9] scale_offset
	s_mov_b32 s2, s14
	s_wait_loadcnt 0x0
	v_sub_nc_u64_e64 v[18:19], v[6:7], s[2:3]
	s_or_b32 exec_lo, exec_lo, s7
	s_and_saveexec_b32 s2, s5
	s_cbranch_execz .LBB15_2
.LBB15_4:
	global_load_b64 v[2:3], v4, s[8:9] offset:8 scale_offset
	s_wait_xcnt 0x0
	s_mov_b32 s9, 0
	s_mov_b32 s8, s14
	s_wait_loadcnt 0x0
	v_sub_nc_u64_e64 v[2:3], v[2:3], s[8:9]
	s_or_b32 exec_lo, exec_lo, s2
	s_cmp_lt_i32 s12, 1
	s_cbranch_scc1 .LBB15_53
.LBB15_5:
	s_clause 0x3
	s_load_b128 s[8:11], s[0:1], 0x40
	s_load_b64 s[20:21], s[0:1], 0x50
	s_load_b64 s[22:23], s[0:1], 0x20
	s_load_b96 s[16:18], s[0:1], 0x30
	s_ashr_i32 s7, s6, 31
	v_dual_lshlrev_b32 v32, 7, v1 :: v_dual_bitop2_b32 v4, 7, v0 bitop3:0x40
	v_mbcnt_lo_u32_b32 v10, -1, 0
	s_lshl_b64 s[6:7], s[6:7], 3
	s_cmp_lg_u32 s4, 0
	s_delay_alu instid0(VALU_DEP_2) | instskip(NEXT) | instid1(VALU_DEP_2)
	v_dual_mov_b32 v7, 0 :: v_dual_lshlrev_b32 v22, 2, v4
	v_dual_lshlrev_b32 v6, 2, v1 :: v_dual_bitop2_b32 v11, 4, v10 bitop3:0x14
	s_mov_b32 s25, 0
	s_cselect_b32 s15, -1, 0
	s_abs_i32 s19, s13
	v_lshl_or_b32 v34, v10, 2, 28
	v_dual_mov_b32 v17, v7 :: v_dual_bitop2_b32 v14, 24, v4 bitop3:0x54
	s_wait_kmcnt 0x0
	s_add_nc_u64 s[4:5], s[10:11], s[6:7]
	v_add_nc_u64_e32 v[8:9], s[8:9], v[6:7]
	s_load_b64 s[6:7], s[4:5], 0x0
	s_wait_xcnt 0x0
	v_cmp_gt_i32_e64 s4, 32, v11
	v_xor_b32_e32 v12, 2, v10
	v_mul_lo_u32 v6, s13, v1
	s_mov_b32 s24, s18
	v_dual_lshlrev_b32 v33, 2, v0 :: v_dual_mov_b32 v5, v7
	v_cndmask_b32_e64 v1, v10, v11, s4
	v_cmp_gt_i32_e64 s4, 32, v12
	v_dual_mov_b32 v15, v7 :: v_dual_bitop2_b32 v13, 1, v10 bitop3:0x14
	v_cmp_gt_u32_e64 s0, 0x80, v0
	v_cmp_gt_u32_e64 s1, 64, v0
	s_delay_alu instid0(VALU_DEP_4) | instskip(NEXT) | instid1(VALU_DEP_4)
	v_cndmask_b32_e64 v11, v10, v12, s4
	v_cmp_gt_i32_e64 s4, 32, v13
	v_dual_mov_b32 v23, v7 :: v_dual_lshlrev_b32 v35, 2, v1
	s_delay_alu instid0(VALU_DEP_3) | instskip(NEXT) | instid1(VALU_DEP_3)
	v_dual_lshlrev_b32 v36, 2, v11 :: v_dual_bitop2_b32 v1, 8, v4 bitop3:0x54
	v_cndmask_b32_e64 v12, v10, v13, s4
	s_wait_kmcnt 0x0
	s_sub_nc_u64 s[10:11], s[6:7], s[24:25]
	s_mov_b32 s24, s13
	v_lshl_add_u64 v[10:11], v[6:7], 2, s[8:9]
	s_mul_u64 s[26:27], s[24:25], s[24:25]
	s_cvt_f32_u32 s24, s19
	v_dual_lshlrev_b32 v37, 2, v12 :: v_dual_mov_b32 v13, v7
	v_mul_lo_u32 v12, v4, s13
	v_cmp_gt_u32_e64 s9, s13, v1
	v_rcp_iflag_f32_e32 v1, s24
	v_cmp_gt_u32_e64 s8, s13, v4
	v_or_b32_e32 v6, 16, v4
	s_lshl_b32 s24, s13, 3
	v_cmp_gt_u32_e64 s2, 32, v0
	v_cmp_gt_u32_e64 s3, 16, v0
	v_cmp_gt_u32_e64 s4, 8, v0
	v_readfirstlane_b32 s30, v1
	v_cmp_gt_u32_e64 s5, 4, v0
	v_cmp_gt_u32_e64 s6, 2, v0
	v_cmp_eq_u32_e64 s7, 0, v0
	s_and_b32 s28, vcc_lo, s8
	v_dual_mov_b32 v1, v7 :: v_dual_add_nc_u32 v0, s24, v12
	v_cmp_gt_u32_e64 s8, s13, v6
	s_mul_f32 s33, s30, 0x4f7ffffe
	s_and_b32 s29, vcc_lo, s9
	v_cmp_gt_u32_e64 s9, s13, v14
	v_dual_mov_b32 v39, 1 :: v_dual_add_nc_u32 v14, s24, v0
	s_and_b32 s30, vcc_lo, s8
	s_cvt_u32_f32 s8, s33
	s_and_b32 s31, vcc_lo, s9
	s_sub_co_i32 s9, 0, s19
	v_add_nc_u64_e32 v[10:11], v[10:11], v[22:23]
	v_mov_b64_e32 v[20:21], 0
	s_mul_i32 s9, s9, s8
	v_dual_add_nc_u32 v16, s24, v14 :: v_dual_add_nc_u32 v38, v22, v32
	s_mul_hi_u32 s9, s8, s9
	s_ashr_i32 s33, s13, 31
	s_add_co_i32 s24, s8, s9
	s_branch .LBB15_7
.LBB15_6:                               ;   in Loop: Header=BB15_7 Depth=1
	s_or_b32 exec_lo, exec_lo, s34
	s_wait_dscnt 0x0
	s_barrier_signal -1
	s_barrier_wait -1
	ds_load_b32 v20, v7
	s_add_nc_u64 s[10:11], s[8:9], s[10:11]
	s_wait_dscnt 0x0
	s_barrier_signal -1
	s_barrier_wait -1
	v_cmp_gt_i32_e32 vcc_lo, s12, v20
	v_ashrrev_i32_e32 v21, 31, v20
	s_cbranch_vccz .LBB15_53
.LBB15_7:                               ; =>This Loop Header: Depth=1
                                        ;     Child Loop BB15_10 Depth 2
	v_add_nc_u64_e32 v[18:19], v[18:19], v[4:5]
	v_mov_b64_e32 v[26:27], v[2:3]
	v_mov_b32_e32 v40, s12
	s_mov_b32 s9, exec_lo
	ds_store_b8 v7, v7 offset:4096
	ds_store_2addr_b32 v38, v7, v7 offset1:8
	ds_store_2addr_b32 v38, v7, v7 offset0:16 offset1:24
	s_wait_dscnt 0x0
	s_barrier_signal -1
	s_barrier_wait -1
	v_cmpx_lt_i64_e64 v[18:19], v[2:3]
	s_cbranch_execz .LBB15_15
; %bb.8:                                ;   in Loop: Header=BB15_7 Depth=1
	v_lshlrev_b64_e32 v[24:25], 2, v[18:19]
	v_mov_b64_e32 v[26:27], v[2:3]
	v_mov_b32_e32 v40, s12
	s_mov_b32 s34, 0
	s_delay_alu instid0(VALU_DEP_3)
	v_add_nc_u64_e32 v[22:23], s[22:23], v[24:25]
	v_add_nc_u64_e32 v[24:25], s[16:17], v[24:25]
	s_branch .LBB15_10
.LBB15_9:                               ;   in Loop: Header=BB15_10 Depth=2
	s_wait_xcnt 0x0
	s_or_b32 exec_lo, exec_lo, s8
	v_add_nc_u64_e32 v[18:19], 8, v[18:19]
	s_xor_b32 s35, vcc_lo, -1
	v_add_nc_u64_e32 v[22:23], 32, v[22:23]
	v_add_nc_u64_e32 v[24:25], 32, v[24:25]
	s_delay_alu instid0(VALU_DEP_3) | instskip(SKIP_1) | instid1(SALU_CYCLE_1)
	v_cmp_ge_i64_e64 s8, v[18:19], v[2:3]
	s_or_b32 s8, s35, s8
	s_and_b32 s8, exec_lo, s8
	s_delay_alu instid0(SALU_CYCLE_1) | instskip(NEXT) | instid1(SALU_CYCLE_1)
	s_or_b32 s34, s8, s34
	s_and_not1_b32 exec_lo, exec_lo, s34
	s_cbranch_execz .LBB15_14
.LBB15_10:                              ;   Parent Loop BB15_7 Depth=1
                                        ; =>  This Inner Loop Header: Depth=2
	global_load_b32 v6, v[24:25], off
	s_wait_loadcnt 0x0
	v_subrev_nc_u32_e32 v41, s14, v6
	s_delay_alu instid0(VALU_DEP_1) | instskip(NEXT) | instid1(VALU_DEP_1)
	v_sub_nc_u32_e32 v6, 0, v41
	v_max_i32_e32 v6, v41, v6
	s_delay_alu instid0(VALU_DEP_1) | instskip(NEXT) | instid1(VALU_DEP_1)
	v_mul_u64_e32 v[28:29], s[24:25], v[6:7]
	v_mul_lo_u32 v28, v29, s19
	s_delay_alu instid0(VALU_DEP_1) | instskip(NEXT) | instid1(VALU_DEP_1)
	v_dual_sub_nc_u32 v6, v6, v28 :: v_dual_add_nc_u32 v28, 1, v29
	v_cmp_le_u32_e32 vcc_lo, s19, v6
	s_delay_alu instid0(VALU_DEP_2) | instskip(SKIP_1) | instid1(VALU_DEP_1)
	v_dual_cndmask_b32 v28, v29, v28 :: v_dual_ashrrev_i32 v29, 31, v41
	v_subrev_nc_u32_e32 v30, s19, v6
	v_dual_cndmask_b32 v6, v6, v30, vcc_lo :: v_dual_add_nc_u32 v30, 1, v28
	s_delay_alu instid0(VALU_DEP_1) | instskip(NEXT) | instid1(VALU_DEP_2)
	v_cmp_le_u32_e32 vcc_lo, s19, v6
	v_dual_cndmask_b32 v6, v28, v30, vcc_lo :: v_dual_bitop2_b32 v29, s33, v29 bitop3:0x14
	v_mov_b64_e32 v[30:31], v[26:27]
	s_delay_alu instid0(VALU_DEP_2) | instskip(NEXT) | instid1(VALU_DEP_1)
	v_xor_b32_e32 v6, v6, v29
	v_sub_nc_u32_e32 v28, v6, v29
	s_delay_alu instid0(VALU_DEP_1) | instskip(NEXT) | instid1(VALU_DEP_1)
	v_ashrrev_i32_e32 v29, 31, v28
	v_cmp_ne_u64_e64 s8, v[20:21], v[28:29]
	v_cmp_eq_u64_e32 vcc_lo, v[20:21], v[28:29]
	s_wait_xcnt 0x0
	s_and_saveexec_b32 s35, s8
	s_delay_alu instid0(SALU_CYCLE_1)
	s_xor_b32 s8, exec_lo, s35
; %bb.11:                               ;   in Loop: Header=BB15_10 Depth=2
	v_min_i32_e32 v40, v28, v40
                                        ; implicit-def: $vgpr28
                                        ; implicit-def: $vgpr41
                                        ; implicit-def: $vgpr30_vgpr31
; %bb.12:                               ;   in Loop: Header=BB15_10 Depth=2
	s_or_saveexec_b32 s8, s8
	v_mov_b64_e32 v[26:27], v[18:19]
	s_xor_b32 exec_lo, exec_lo, s8
	s_cbranch_execz .LBB15_9
; %bb.13:                               ;   in Loop: Header=BB15_10 Depth=2
	global_load_b32 v6, v[22:23], off
	v_mul_lo_u32 v26, v28, s13
	s_delay_alu instid0(VALU_DEP_1) | instskip(NEXT) | instid1(VALU_DEP_1)
	v_sub_nc_u32_e32 v26, v41, v26
	v_lshl_add_u32 v28, v26, 2, v32
	v_mov_b64_e32 v[26:27], v[30:31]
	ds_store_b8 v7, v39 offset:4096
	s_wait_loadcnt 0x0
	ds_store_b32 v28, v6
	s_branch .LBB15_9
.LBB15_14:                              ;   in Loop: Header=BB15_7 Depth=1
	s_or_b32 exec_lo, exec_lo, s34
.LBB15_15:                              ;   in Loop: Header=BB15_7 Depth=1
	s_delay_alu instid0(SALU_CYCLE_1)
	s_or_b32 exec_lo, exec_lo, s9
	ds_bpermute_b32 v18, v35, v26
	ds_bpermute_b32 v19, v35, v27
	s_wait_dscnt 0x0
	s_barrier_signal -1
	s_barrier_wait -1
	ds_load_u8 v6, v7 offset:4096
	s_mov_b64 s[8:9], 0
	v_min_i64 v[18:19], v[18:19], v[26:27]
	s_wait_dscnt 0x0
	v_and_b32_e32 v6, 1, v6
	s_delay_alu instid0(VALU_DEP_1)
	v_cmp_eq_u32_e32 vcc_lo, 0, v6
	s_and_b32 vcc_lo, exec_lo, vcc_lo
	ds_bpermute_b32 v22, v36, v18
	ds_bpermute_b32 v23, v36, v19
	s_wait_dscnt 0x0
	v_min_i64 v[18:19], v[22:23], v[18:19]
	ds_bpermute_b32 v22, v37, v18
	ds_bpermute_b32 v23, v37, v19
	s_wait_dscnt 0x0
	v_min_i64 v[18:19], v[22:23], v[18:19]
	ds_bpermute_b32 v18, v34, v18
	ds_bpermute_b32 v19, v34, v19
	s_cbranch_vccnz .LBB15_33
; %bb.16:                               ;   in Loop: Header=BB15_7 Depth=1
	s_mul_u64 s[8:9], s[26:27], s[10:11]
	v_add_nc_u32_e32 v6, s18, v20
	s_lshl_b64 s[8:9], s[8:9], 2
	s_delay_alu instid0(SALU_CYCLE_1) | instskip(SKIP_2) | instid1(SALU_CYCLE_1)
	v_add_nc_u64_e32 v[24:25], s[8:9], v[8:9]
	v_add_nc_u64_e32 v[22:23], s[8:9], v[10:11]
	s_lshl_b64 s[8:9], s[10:11], 2
	s_add_nc_u64 s[8:9], s[20:21], s[8:9]
	global_store_b32 v7, v6, s[8:9]
	s_wait_xcnt 0x0
	s_and_saveexec_b32 s8, s28
	s_cbranch_execz .LBB15_20
; %bb.17:                               ;   in Loop: Header=BB15_7 Depth=1
	ds_load_b32 v6, v38
	s_and_b32 vcc_lo, exec_lo, s15
	s_cbranch_vccz .LBB15_49
; %bb.18:                               ;   in Loop: Header=BB15_7 Depth=1
	v_lshl_add_u64 v[20:21], v[12:13], 2, v[24:25]
	s_wait_dscnt 0x0
	global_store_b32 v[20:21], v6, off
	s_cbranch_execnz .LBB15_20
.LBB15_19:                              ;   in Loop: Header=BB15_7 Depth=1
	s_wait_dscnt 0x0
	global_store_b32 v[22:23], v6, off
.LBB15_20:                              ;   in Loop: Header=BB15_7 Depth=1
	s_wait_xcnt 0x0
	s_or_b32 exec_lo, exec_lo, s8
	s_and_saveexec_b32 s8, s29
	s_cbranch_execz .LBB15_24
; %bb.21:                               ;   in Loop: Header=BB15_7 Depth=1
	s_wait_dscnt 0x0
	ds_load_b32 v6, v38 offset:32
	s_and_not1_b32 vcc_lo, exec_lo, s15
	s_cbranch_vccnz .LBB15_50
; %bb.22:                               ;   in Loop: Header=BB15_7 Depth=1
	v_lshl_add_u64 v[20:21], v[0:1], 2, v[24:25]
	s_wait_dscnt 0x0
	global_store_b32 v[20:21], v6, off
	s_cbranch_execnz .LBB15_24
.LBB15_23:                              ;   in Loop: Header=BB15_7 Depth=1
	s_wait_dscnt 0x0
	global_store_b32 v[22:23], v6, off offset:32
.LBB15_24:                              ;   in Loop: Header=BB15_7 Depth=1
	s_wait_xcnt 0x0
	s_or_b32 exec_lo, exec_lo, s8
	s_and_saveexec_b32 s8, s30
	s_cbranch_execz .LBB15_28
; %bb.25:                               ;   in Loop: Header=BB15_7 Depth=1
	s_wait_dscnt 0x0
	ds_load_b32 v6, v38 offset:64
	s_and_not1_b32 vcc_lo, exec_lo, s15
	s_cbranch_vccnz .LBB15_51
; %bb.26:                               ;   in Loop: Header=BB15_7 Depth=1
	v_lshl_add_u64 v[20:21], v[14:15], 2, v[24:25]
	s_wait_dscnt 0x0
	global_store_b32 v[20:21], v6, off
	s_cbranch_execnz .LBB15_28
.LBB15_27:                              ;   in Loop: Header=BB15_7 Depth=1
	s_wait_dscnt 0x0
	global_store_b32 v[22:23], v6, off offset:64
.LBB15_28:                              ;   in Loop: Header=BB15_7 Depth=1
	s_wait_xcnt 0x0
	s_or_b32 exec_lo, exec_lo, s8
	s_and_saveexec_b32 s8, s31
	s_cbranch_execz .LBB15_32
; %bb.29:                               ;   in Loop: Header=BB15_7 Depth=1
	s_wait_dscnt 0x0
	ds_load_b32 v6, v38 offset:96
	s_and_not1_b32 vcc_lo, exec_lo, s15
	s_cbranch_vccnz .LBB15_52
; %bb.30:                               ;   in Loop: Header=BB15_7 Depth=1
	v_lshl_add_u64 v[20:21], v[16:17], 2, v[24:25]
	s_wait_dscnt 0x0
	global_store_b32 v[20:21], v6, off
	s_cbranch_execnz .LBB15_32
.LBB15_31:                              ;   in Loop: Header=BB15_7 Depth=1
	s_wait_dscnt 0x0
	global_store_b32 v[22:23], v6, off offset:96
.LBB15_32:                              ;   in Loop: Header=BB15_7 Depth=1
	s_wait_xcnt 0x0
	s_or_b32 exec_lo, exec_lo, s8
	s_mov_b64 s[8:9], 1
.LBB15_33:                              ;   in Loop: Header=BB15_7 Depth=1
	s_wait_storecnt_dscnt 0x0
	s_barrier_signal -1
	s_barrier_wait -1
	ds_store_b32 v33, v40
	s_wait_dscnt 0x0
	s_barrier_signal -1
	s_barrier_wait -1
	s_and_saveexec_b32 s34, s0
	s_cbranch_execz .LBB15_35
; %bb.34:                               ;   in Loop: Header=BB15_7 Depth=1
	ds_load_2addr_stride64_b32 v[20:21], v33 offset1:2
	s_wait_dscnt 0x0
	v_min_i32_e32 v6, v21, v20
	ds_store_b32 v33, v6
.LBB15_35:                              ;   in Loop: Header=BB15_7 Depth=1
	s_or_b32 exec_lo, exec_lo, s34
	s_wait_dscnt 0x0
	s_barrier_signal -1
	s_barrier_wait -1
	s_and_saveexec_b32 s34, s1
	s_cbranch_execz .LBB15_37
; %bb.36:                               ;   in Loop: Header=BB15_7 Depth=1
	ds_load_2addr_stride64_b32 v[20:21], v33 offset1:1
	s_wait_dscnt 0x0
	v_min_i32_e32 v6, v21, v20
	ds_store_b32 v33, v6
.LBB15_37:                              ;   in Loop: Header=BB15_7 Depth=1
	s_or_b32 exec_lo, exec_lo, s34
	s_wait_dscnt 0x0
	s_barrier_signal -1
	s_barrier_wait -1
	s_and_saveexec_b32 s34, s2
	s_cbranch_execz .LBB15_39
; %bb.38:                               ;   in Loop: Header=BB15_7 Depth=1
	ds_load_2addr_b32 v[20:21], v33 offset1:32
	s_wait_dscnt 0x0
	v_min_i32_e32 v6, v21, v20
	ds_store_b32 v33, v6
.LBB15_39:                              ;   in Loop: Header=BB15_7 Depth=1
	s_or_b32 exec_lo, exec_lo, s34
	s_wait_dscnt 0x0
	s_barrier_signal -1
	s_barrier_wait -1
	s_and_saveexec_b32 s34, s3
	s_cbranch_execz .LBB15_41
; %bb.40:                               ;   in Loop: Header=BB15_7 Depth=1
	ds_load_2addr_b32 v[20:21], v33 offset1:16
	s_wait_dscnt 0x0
	v_min_i32_e32 v6, v21, v20
	ds_store_b32 v33, v6
.LBB15_41:                              ;   in Loop: Header=BB15_7 Depth=1
	;; [unrolled: 12-line block ×5, first 2 shown]
	s_or_b32 exec_lo, exec_lo, s34
	s_wait_dscnt 0x0
	s_barrier_signal -1
	s_barrier_wait -1
	s_and_saveexec_b32 s34, s7
	s_cbranch_execz .LBB15_6
; %bb.48:                               ;   in Loop: Header=BB15_7 Depth=1
	ds_load_b64 v[20:21], v7
	s_wait_dscnt 0x0
	v_min_i32_e32 v6, v21, v20
	ds_store_b32 v7, v6
	s_branch .LBB15_6
.LBB15_49:                              ;   in Loop: Header=BB15_7 Depth=1
	s_branch .LBB15_19
.LBB15_50:                              ;   in Loop: Header=BB15_7 Depth=1
	s_branch .LBB15_23
.LBB15_51:                              ;   in Loop: Header=BB15_7 Depth=1
	s_branch .LBB15_27
.LBB15_52:                              ;   in Loop: Header=BB15_7 Depth=1
	s_branch .LBB15_31
.LBB15_53:
	s_endpgm
	.section	.rodata,"a",@progbits
	.p2align	6, 0x0
	.amdhsa_kernel _ZN9rocsparseL38csr2bsr_block_per_row_multipass_kernelILj256ELj32EiliEEv20rocsparse_direction_T3_S2_S2_S2_S2_21rocsparse_index_base_PKT1_PKT2_PKS2_S3_PS4_PS7_PS2_
		.amdhsa_group_segment_fixed_size 4100
		.amdhsa_private_segment_fixed_size 0
		.amdhsa_kernarg_size 88
		.amdhsa_user_sgpr_count 2
		.amdhsa_user_sgpr_dispatch_ptr 0
		.amdhsa_user_sgpr_queue_ptr 0
		.amdhsa_user_sgpr_kernarg_segment_ptr 1
		.amdhsa_user_sgpr_dispatch_id 0
		.amdhsa_user_sgpr_kernarg_preload_length 0
		.amdhsa_user_sgpr_kernarg_preload_offset 0
		.amdhsa_user_sgpr_private_segment_size 0
		.amdhsa_wavefront_size32 1
		.amdhsa_uses_dynamic_stack 0
		.amdhsa_enable_private_segment 0
		.amdhsa_system_sgpr_workgroup_id_x 1
		.amdhsa_system_sgpr_workgroup_id_y 0
		.amdhsa_system_sgpr_workgroup_id_z 0
		.amdhsa_system_sgpr_workgroup_info 0
		.amdhsa_system_vgpr_workitem_id 0
		.amdhsa_next_free_vgpr 42
		.amdhsa_next_free_sgpr 36
		.amdhsa_named_barrier_count 0
		.amdhsa_reserve_vcc 1
		.amdhsa_float_round_mode_32 0
		.amdhsa_float_round_mode_16_64 0
		.amdhsa_float_denorm_mode_32 3
		.amdhsa_float_denorm_mode_16_64 3
		.amdhsa_fp16_overflow 0
		.amdhsa_memory_ordered 1
		.amdhsa_forward_progress 1
		.amdhsa_inst_pref_size 17
		.amdhsa_round_robin_scheduling 0
		.amdhsa_exception_fp_ieee_invalid_op 0
		.amdhsa_exception_fp_denorm_src 0
		.amdhsa_exception_fp_ieee_div_zero 0
		.amdhsa_exception_fp_ieee_overflow 0
		.amdhsa_exception_fp_ieee_underflow 0
		.amdhsa_exception_fp_ieee_inexact 0
		.amdhsa_exception_int_div_zero 0
	.end_amdhsa_kernel
	.section	.text._ZN9rocsparseL38csr2bsr_block_per_row_multipass_kernelILj256ELj32EiliEEv20rocsparse_direction_T3_S2_S2_S2_S2_21rocsparse_index_base_PKT1_PKT2_PKS2_S3_PS4_PS7_PS2_,"axG",@progbits,_ZN9rocsparseL38csr2bsr_block_per_row_multipass_kernelILj256ELj32EiliEEv20rocsparse_direction_T3_S2_S2_S2_S2_21rocsparse_index_base_PKT1_PKT2_PKS2_S3_PS4_PS7_PS2_,comdat
.Lfunc_end15:
	.size	_ZN9rocsparseL38csr2bsr_block_per_row_multipass_kernelILj256ELj32EiliEEv20rocsparse_direction_T3_S2_S2_S2_S2_21rocsparse_index_base_PKT1_PKT2_PKS2_S3_PS4_PS7_PS2_, .Lfunc_end15-_ZN9rocsparseL38csr2bsr_block_per_row_multipass_kernelILj256ELj32EiliEEv20rocsparse_direction_T3_S2_S2_S2_S2_21rocsparse_index_base_PKT1_PKT2_PKS2_S3_PS4_PS7_PS2_
                                        ; -- End function
	.set _ZN9rocsparseL38csr2bsr_block_per_row_multipass_kernelILj256ELj32EiliEEv20rocsparse_direction_T3_S2_S2_S2_S2_21rocsparse_index_base_PKT1_PKT2_PKS2_S3_PS4_PS7_PS2_.num_vgpr, 42
	.set _ZN9rocsparseL38csr2bsr_block_per_row_multipass_kernelILj256ELj32EiliEEv20rocsparse_direction_T3_S2_S2_S2_S2_21rocsparse_index_base_PKT1_PKT2_PKS2_S3_PS4_PS7_PS2_.num_agpr, 0
	.set _ZN9rocsparseL38csr2bsr_block_per_row_multipass_kernelILj256ELj32EiliEEv20rocsparse_direction_T3_S2_S2_S2_S2_21rocsparse_index_base_PKT1_PKT2_PKS2_S3_PS4_PS7_PS2_.numbered_sgpr, 36
	.set _ZN9rocsparseL38csr2bsr_block_per_row_multipass_kernelILj256ELj32EiliEEv20rocsparse_direction_T3_S2_S2_S2_S2_21rocsparse_index_base_PKT1_PKT2_PKS2_S3_PS4_PS7_PS2_.num_named_barrier, 0
	.set _ZN9rocsparseL38csr2bsr_block_per_row_multipass_kernelILj256ELj32EiliEEv20rocsparse_direction_T3_S2_S2_S2_S2_21rocsparse_index_base_PKT1_PKT2_PKS2_S3_PS4_PS7_PS2_.private_seg_size, 0
	.set _ZN9rocsparseL38csr2bsr_block_per_row_multipass_kernelILj256ELj32EiliEEv20rocsparse_direction_T3_S2_S2_S2_S2_21rocsparse_index_base_PKT1_PKT2_PKS2_S3_PS4_PS7_PS2_.uses_vcc, 1
	.set _ZN9rocsparseL38csr2bsr_block_per_row_multipass_kernelILj256ELj32EiliEEv20rocsparse_direction_T3_S2_S2_S2_S2_21rocsparse_index_base_PKT1_PKT2_PKS2_S3_PS4_PS7_PS2_.uses_flat_scratch, 0
	.set _ZN9rocsparseL38csr2bsr_block_per_row_multipass_kernelILj256ELj32EiliEEv20rocsparse_direction_T3_S2_S2_S2_S2_21rocsparse_index_base_PKT1_PKT2_PKS2_S3_PS4_PS7_PS2_.has_dyn_sized_stack, 0
	.set _ZN9rocsparseL38csr2bsr_block_per_row_multipass_kernelILj256ELj32EiliEEv20rocsparse_direction_T3_S2_S2_S2_S2_21rocsparse_index_base_PKT1_PKT2_PKS2_S3_PS4_PS7_PS2_.has_recursion, 0
	.set _ZN9rocsparseL38csr2bsr_block_per_row_multipass_kernelILj256ELj32EiliEEv20rocsparse_direction_T3_S2_S2_S2_S2_21rocsparse_index_base_PKT1_PKT2_PKS2_S3_PS4_PS7_PS2_.has_indirect_call, 0
	.section	.AMDGPU.csdata,"",@progbits
; Kernel info:
; codeLenInByte = 2164
; TotalNumSgprs: 38
; NumVgprs: 42
; ScratchSize: 0
; MemoryBound: 0
; FloatMode: 240
; IeeeMode: 1
; LDSByteSize: 4100 bytes/workgroup (compile time only)
; SGPRBlocks: 0
; VGPRBlocks: 2
; NumSGPRsForWavesPerEU: 38
; NumVGPRsForWavesPerEU: 42
; NamedBarCnt: 0
; Occupancy: 16
; WaveLimiterHint : 0
; COMPUTE_PGM_RSRC2:SCRATCH_EN: 0
; COMPUTE_PGM_RSRC2:USER_SGPR: 2
; COMPUTE_PGM_RSRC2:TRAP_HANDLER: 0
; COMPUTE_PGM_RSRC2:TGID_X_EN: 1
; COMPUTE_PGM_RSRC2:TGID_Y_EN: 0
; COMPUTE_PGM_RSRC2:TGID_Z_EN: 0
; COMPUTE_PGM_RSRC2:TIDIG_COMP_CNT: 0
	.section	.text._ZN9rocsparseL38csr2bsr_block_per_row_multipass_kernelILj256ELj64EiliEEv20rocsparse_direction_T3_S2_S2_S2_S2_21rocsparse_index_base_PKT1_PKT2_PKS2_S3_PS4_PS7_PS2_,"axG",@progbits,_ZN9rocsparseL38csr2bsr_block_per_row_multipass_kernelILj256ELj64EiliEEv20rocsparse_direction_T3_S2_S2_S2_S2_21rocsparse_index_base_PKT1_PKT2_PKS2_S3_PS4_PS7_PS2_,comdat
	.globl	_ZN9rocsparseL38csr2bsr_block_per_row_multipass_kernelILj256ELj64EiliEEv20rocsparse_direction_T3_S2_S2_S2_S2_21rocsparse_index_base_PKT1_PKT2_PKS2_S3_PS4_PS7_PS2_ ; -- Begin function _ZN9rocsparseL38csr2bsr_block_per_row_multipass_kernelILj256ELj64EiliEEv20rocsparse_direction_T3_S2_S2_S2_S2_21rocsparse_index_base_PKT1_PKT2_PKS2_S3_PS4_PS7_PS2_
	.p2align	8
	.type	_ZN9rocsparseL38csr2bsr_block_per_row_multipass_kernelILj256ELj64EiliEEv20rocsparse_direction_T3_S2_S2_S2_S2_21rocsparse_index_base_PKT1_PKT2_PKS2_S3_PS4_PS7_PS2_,@function
_ZN9rocsparseL38csr2bsr_block_per_row_multipass_kernelILj256ELj64EiliEEv20rocsparse_direction_T3_S2_S2_S2_S2_21rocsparse_index_base_PKT1_PKT2_PKS2_S3_PS4_PS7_PS2_: ; @_ZN9rocsparseL38csr2bsr_block_per_row_multipass_kernelILj256ELj64EiliEEv20rocsparse_direction_T3_S2_S2_S2_S2_21rocsparse_index_base_PKT1_PKT2_PKS2_S3_PS4_PS7_PS2_
; %bb.0:
	s_clause 0x1
	s_load_b96 s[16:18], s[0:1], 0x10
	s_load_b64 s[6:7], s[0:1], 0x0
	s_bfe_u32 s2, ttmp6, 0x4000c
	s_and_b32 s3, ttmp6, 15
	s_add_co_i32 s2, s2, 1
	s_getreg_b32 s4, hwreg(HW_REG_IB_STS2, 6, 4)
	s_mul_i32 s2, ttmp9, s2
	v_lshrrev_b32_e32 v1, 2, v0
	s_add_co_i32 s3, s3, s2
	s_cmp_eq_u32 s4, 0
	s_load_b64 s[4:5], s[0:1], 0x28
	s_cselect_b32 s8, ttmp9, s3
	v_mov_b64_e32 v[2:3], 0
	v_mov_b64_e32 v[20:21], 0
	s_mov_b32 s3, 0
	s_wait_kmcnt 0x0
	v_mad_u32 v4, s17, s8, v1
	v_cmp_gt_i32_e32 vcc_lo, s17, v1
	s_delay_alu instid0(VALU_DEP_2) | instskip(SKIP_1) | instid1(SALU_CYCLE_1)
	v_cmp_gt_i32_e64 s2, s7, v4
	s_and_b32 s7, vcc_lo, s2
	s_and_saveexec_b32 s9, s7
	s_cbranch_execnz .LBB16_3
; %bb.1:
	s_or_b32 exec_lo, exec_lo, s9
	s_and_saveexec_b32 s2, s7
	s_cbranch_execnz .LBB16_4
.LBB16_2:
	s_or_b32 exec_lo, exec_lo, s2
	s_cmp_lt_i32 s16, 1
	s_cbranch_scc0 .LBB16_5
	s_branch .LBB16_113
.LBB16_3:
	global_load_b64 v[6:7], v4, s[4:5] scale_offset
	s_mov_b32 s2, s18
	s_wait_loadcnt 0x0
	v_sub_nc_u64_e64 v[20:21], v[6:7], s[2:3]
	s_or_b32 exec_lo, exec_lo, s9
	s_and_saveexec_b32 s2, s7
	s_cbranch_execz .LBB16_2
.LBB16_4:
	global_load_b64 v[2:3], v4, s[4:5] offset:8 scale_offset
	s_wait_xcnt 0x0
	s_mov_b32 s5, 0
	s_mov_b32 s4, s18
	s_wait_loadcnt 0x0
	v_sub_nc_u64_e64 v[2:3], v[2:3], s[4:5]
	s_or_b32 exec_lo, exec_lo, s2
	s_cmp_lt_i32 s16, 1
	s_cbranch_scc1 .LBB16_113
.LBB16_5:
	s_clause 0x3
	s_load_b128 s[12:15], s[0:1], 0x40
	s_load_b64 s[10:11], s[0:1], 0x50
	s_load_b64 s[24:25], s[0:1], 0x20
	s_load_b96 s[20:22], s[0:1], 0x30
	v_dual_lshlrev_b32 v56, 8, v1 :: v_dual_bitop2_b32 v4, 3, v0 bitop3:0x40
	v_mbcnt_lo_u32_b32 v10, -1, 0
	s_ashr_i32 s9, s8, 31
	v_dual_mov_b32 v7, 0 :: v_dual_lshlrev_b32 v6, 2, v1
	s_lshl_b64 s[8:9], s[8:9], 3
	s_delay_alu instid0(VALU_DEP_2) | instskip(SKIP_1) | instid1(VALU_DEP_2)
	v_dual_lshlrev_b32 v44, 2, v4 :: v_dual_bitop2_b32 v11, 2, v10 bitop3:0x14
	s_cmp_lg_u32 s6, 0
	v_dual_mov_b32 v45, v7 :: v_dual_bitop2_b32 v12, 1, v10 bitop3:0x14
	v_lshl_or_b32 v58, v10, 2, 12
	s_delay_alu instid0(VALU_DEP_3)
	v_cmp_gt_i32_e64 s6, 32, v11
	s_mov_b32 s27, 0
	v_dual_lshlrev_b32 v57, 2, v0 :: v_dual_mov_b32 v5, v7
	s_wait_kmcnt 0x0
	s_add_nc_u64 s[8:9], s[14:15], s[8:9]
	v_add_nc_u64_e32 v[8:9], s[12:13], v[6:7]
	s_load_b64 s[14:15], s[8:9], 0x0
	v_mul_lo_u32 v6, s17, v1
	v_cndmask_b32_e64 v1, v10, v11, s6
	v_cmp_gt_i32_e64 s6, 32, v12
	s_mov_b32 s26, s22
	v_cmp_gt_u32_e64 s0, 0x80, v0
	v_cmp_gt_u32_e64 s1, 64, v0
	;; [unrolled: 1-line block ×3, first 2 shown]
	v_cndmask_b32_e64 v11, v10, v12, s6
	v_mul_lo_u32 v10, v4, s17
	v_cmp_gt_u32_e64 s3, 16, v0
	v_cmp_gt_u32_e64 s4, 8, v0
	;; [unrolled: 1-line block ×3, first 2 shown]
	s_wait_xcnt 0x0
	v_cmp_gt_u32_e64 s8, s17, v4
	v_dual_lshlrev_b32 v59, 2, v1 :: v_dual_lshlrev_b32 v60, 2, v11
	v_dual_mov_b32 v11, v7 :: v_dual_bitop2_b32 v1, 4, v4 bitop3:0x54
	v_cmp_gt_u32_e64 s6, 2, v0
	v_cmp_eq_u32_e64 s7, 0, v0
	v_or_b32_e32 v0, 8, v4
	v_lshl_add_u64 v[12:13], v[6:7], 2, s[12:13]
	s_wait_kmcnt 0x0
	s_sub_nc_u64 s[12:13], s[14:15], s[26:27]
	s_mov_b32 s26, s17
	s_cselect_b32 s19, -1, 0
	s_mul_u64 s[14:15], s[26:27], s[26:27]
	s_lshl_b32 s26, s17, 2
	s_and_b32 s23, vcc_lo, s8
	v_cmp_gt_u32_e64 s8, s17, v1
	v_dual_mov_b32 v1, v7 :: v_dual_bitop2_b32 v6, 12, v4 bitop3:0x54
	v_cmp_gt_u32_e64 s9, s17, v0
	v_add_nc_u32_e32 v0, s26, v10
	s_and_b32 s28, vcc_lo, s8
	v_cmp_gt_u32_e64 s8, s17, v6
	v_dual_mov_b32 v15, v7 :: v_dual_bitop2_b32 v6, 16, v4 bitop3:0x54
	s_delay_alu instid0(VALU_DEP_3) | instskip(SKIP_3) | instid1(VALU_DEP_2)
	v_dual_mov_b32 v17, v7 :: v_dual_add_nc_u32 v14, s26, v0
	v_or_b32_e32 v18, 20, v4
	s_and_b32 s29, vcc_lo, s9
	s_and_b32 s30, vcc_lo, s8
	v_add_nc_u32_e32 v16, s26, v14
	v_cmp_gt_u32_e64 s8, s17, v6
	v_cmp_gt_u32_e64 s9, s17, v18
	v_dual_mov_b32 v19, v7 :: v_dual_bitop2_b32 v6, 24, v4 bitop3:0x54
	s_delay_alu instid0(VALU_DEP_4) | instskip(SKIP_1) | instid1(VALU_DEP_2)
	v_dual_mov_b32 v23, v7 :: v_dual_add_nc_u32 v18, s26, v16
	s_and_b32 s31, vcc_lo, s8
	v_cmp_gt_u32_e64 s8, s17, v6
	s_delay_alu instid0(VALU_DEP_2) | instskip(SKIP_3) | instid1(VALU_DEP_2)
	v_dual_add_nc_u32 v22, s26, v18 :: v_dual_bitop2_b32 v6, 28, v4 bitop3:0x54
	v_or_b32_e32 v26, 32, v4
	s_and_b32 s33, vcc_lo, s9
	s_and_b32 s34, vcc_lo, s8
	v_cmp_gt_u32_e64 s8, s17, v6
	v_dual_mov_b32 v25, v7 :: v_dual_add_nc_u32 v24, s26, v22
	v_or_b32_e32 v6, 36, v4
	v_cmp_gt_u32_e64 s9, s17, v26
	s_and_b32 s35, vcc_lo, s8
	v_dual_mov_b32 v27, v7 :: v_dual_add_nc_u32 v26, s26, v24
	v_cmp_gt_u32_e64 s8, s17, v6
	v_dual_mov_b32 v29, v7 :: v_dual_bitop2_b32 v6, 40, v4 bitop3:0x54
	s_delay_alu instid0(VALU_DEP_3) | instskip(SKIP_1) | instid1(VALU_DEP_2)
	v_dual_add_nc_u32 v28, s26, v26 :: v_dual_bitop2_b32 v32, 44, v4 bitop3:0x54
	s_and_b32 s37, vcc_lo, s8
	v_cmp_gt_u32_e64 s8, s17, v6
	v_mov_b32_e32 v31, v7
	s_and_b32 s36, vcc_lo, s9
	v_add_nc_u32_e32 v30, s26, v28
	v_or_b32_e32 v6, 48, v4
	v_cmp_gt_u32_e64 s9, s17, v32
	s_abs_i32 s40, s17
	s_and_b32 s38, vcc_lo, s8
	v_dual_mov_b32 v33, v7 :: v_dual_add_nc_u32 v32, s26, v30
	v_cmp_gt_u32_e64 s8, s17, v6
	v_or_b32_e32 v6, 52, v4
	s_and_b32 s39, vcc_lo, s9
	v_dual_mov_b32 v35, v7 :: v_dual_add_nc_u32 v34, s26, v32
	s_cvt_f32_u32 s9, s40
	s_and_b32 s41, vcc_lo, s8
	v_cmp_gt_u32_e64 s8, s17, v6
	s_delay_alu instid0(VALU_DEP_2) | instskip(SKIP_2) | instid1(VALU_DEP_2)
	v_dual_mov_b32 v37, v7 :: v_dual_add_nc_u32 v36, s26, v34
	v_rcp_iflag_f32_e32 v6, s9
	v_dual_mov_b32 v41, v7 :: v_dual_bitop2_b32 v40, 60, v4 bitop3:0x54
	v_add_nc_u32_e32 v38, s26, v36
	v_or_b32_e32 v39, 56, v4
	s_and_b32 s42, vcc_lo, s8
	s_delay_alu instid0(VALU_DEP_3) | instskip(NEXT) | instid1(TRANS32_DEP_1)
	v_cmp_gt_u32_e64 s9, s17, v40
	v_readfirstlane_b32 s43, v6
	v_add_nc_u32_e32 v40, s26, v38
	v_cmp_gt_u32_e64 s8, s17, v39
	v_add_nc_u64_e32 v[12:13], v[12:13], v[44:45]
	s_and_b32 s44, vcc_lo, s9
	s_mul_f32 s45, s43, 0x4f7ffffe
	s_sub_co_i32 s9, 0, s40
	s_and_b32 s43, vcc_lo, s8
	v_mov_b64_e32 v[48:49], 0
	s_cvt_u32_f32 s8, s45
	v_dual_mov_b32 v39, v7 :: v_dual_add_nc_u32 v42, s26, v40
	v_mov_b32_e32 v43, v7
	s_delay_alu instid0(SALU_CYCLE_1)
	s_mul_i32 s9, s9, s8
	v_dual_mov_b32 v62, 1 :: v_dual_add_nc_u32 v61, v44, v56
	s_mul_hi_u32 s9, s8, s9
	s_ashr_i32 s45, s17, 31
	s_add_co_i32 s26, s8, s9
	s_branch .LBB16_7
.LBB16_6:                               ;   in Loop: Header=BB16_7 Depth=1
	s_or_b32 exec_lo, exec_lo, s46
	s_wait_dscnt 0x0
	s_barrier_signal -1
	s_barrier_wait -1
	ds_load_b32 v48, v7
	s_add_nc_u64 s[12:13], s[8:9], s[12:13]
	s_wait_dscnt 0x0
	s_barrier_signal -1
	s_barrier_wait -1
	v_cmp_gt_i32_e32 vcc_lo, s16, v48
	v_ashrrev_i32_e32 v49, 31, v48
	s_cbranch_vccz .LBB16_113
.LBB16_7:                               ; =>This Loop Header: Depth=1
                                        ;     Child Loop BB16_10 Depth 2
	v_add_nc_u64_e32 v[20:21], v[20:21], v[4:5]
	v_mov_b64_e32 v[50:51], v[2:3]
	v_mov_b32_e32 v63, s16
	s_mov_b32 s9, exec_lo
	ds_store_b8 v7, v7 offset:16384
	ds_store_2addr_b32 v61, v7, v7 offset1:4
	ds_store_2addr_b32 v61, v7, v7 offset0:8 offset1:12
	ds_store_2addr_b32 v61, v7, v7 offset0:16 offset1:20
	;; [unrolled: 1-line block ×7, first 2 shown]
	s_wait_dscnt 0x0
	s_barrier_signal -1
	s_barrier_wait -1
	v_cmpx_lt_i64_e64 v[20:21], v[2:3]
	s_cbranch_execz .LBB16_15
; %bb.8:                                ;   in Loop: Header=BB16_7 Depth=1
	v_lshlrev_b64_e32 v[46:47], 2, v[20:21]
	v_mov_b64_e32 v[50:51], v[2:3]
	v_mov_b32_e32 v63, s16
	s_mov_b32 s46, 0
	s_delay_alu instid0(VALU_DEP_3)
	v_add_nc_u64_e32 v[44:45], s[24:25], v[46:47]
	v_add_nc_u64_e32 v[46:47], s[20:21], v[46:47]
	s_branch .LBB16_10
.LBB16_9:                               ;   in Loop: Header=BB16_10 Depth=2
	s_wait_xcnt 0x0
	s_or_b32 exec_lo, exec_lo, s8
	v_add_nc_u64_e32 v[20:21], 4, v[20:21]
	s_xor_b32 s47, vcc_lo, -1
	v_add_nc_u64_e32 v[44:45], 16, v[44:45]
	v_add_nc_u64_e32 v[46:47], 16, v[46:47]
	s_delay_alu instid0(VALU_DEP_3) | instskip(SKIP_1) | instid1(SALU_CYCLE_1)
	v_cmp_ge_i64_e64 s8, v[20:21], v[2:3]
	s_or_b32 s8, s47, s8
	s_and_b32 s8, exec_lo, s8
	s_delay_alu instid0(SALU_CYCLE_1) | instskip(NEXT) | instid1(SALU_CYCLE_1)
	s_or_b32 s46, s8, s46
	s_and_not1_b32 exec_lo, exec_lo, s46
	s_cbranch_execz .LBB16_14
.LBB16_10:                              ;   Parent Loop BB16_7 Depth=1
                                        ; =>  This Inner Loop Header: Depth=2
	global_load_b32 v6, v[46:47], off
	s_wait_loadcnt 0x0
	v_subrev_nc_u32_e32 v64, s18, v6
	s_delay_alu instid0(VALU_DEP_1) | instskip(NEXT) | instid1(VALU_DEP_1)
	v_sub_nc_u32_e32 v6, 0, v64
	v_max_i32_e32 v6, v64, v6
	s_delay_alu instid0(VALU_DEP_1) | instskip(NEXT) | instid1(VALU_DEP_1)
	v_mul_u64_e32 v[52:53], s[26:27], v[6:7]
	v_mul_lo_u32 v52, v53, s40
	s_delay_alu instid0(VALU_DEP_1) | instskip(NEXT) | instid1(VALU_DEP_1)
	v_dual_sub_nc_u32 v6, v6, v52 :: v_dual_add_nc_u32 v52, 1, v53
	v_subrev_nc_u32_e32 v54, s40, v6
	v_cmp_le_u32_e32 vcc_lo, s40, v6
	s_delay_alu instid0(VALU_DEP_3) | instskip(NEXT) | instid1(VALU_DEP_3)
	v_cndmask_b32_e32 v52, v53, v52, vcc_lo
	v_dual_cndmask_b32 v6, v6, v54 :: v_dual_ashrrev_i32 v53, 31, v64
	s_delay_alu instid0(VALU_DEP_2) | instskip(NEXT) | instid1(VALU_DEP_2)
	v_add_nc_u32_e32 v54, 1, v52
	v_cmp_le_u32_e32 vcc_lo, s40, v6
	s_delay_alu instid0(VALU_DEP_2) | instskip(SKIP_1) | instid1(VALU_DEP_2)
	v_dual_cndmask_b32 v6, v52, v54, vcc_lo :: v_dual_bitop2_b32 v53, s45, v53 bitop3:0x14
	v_mov_b64_e32 v[54:55], v[50:51]
	v_xor_b32_e32 v6, v6, v53
	s_delay_alu instid0(VALU_DEP_1) | instskip(NEXT) | instid1(VALU_DEP_1)
	v_sub_nc_u32_e32 v52, v6, v53
	v_ashrrev_i32_e32 v53, 31, v52
	s_delay_alu instid0(VALU_DEP_1) | instskip(SKIP_3) | instid1(SALU_CYCLE_1)
	v_cmp_ne_u64_e64 s8, v[48:49], v[52:53]
	v_cmp_eq_u64_e32 vcc_lo, v[48:49], v[52:53]
	s_wait_xcnt 0x0
	s_and_saveexec_b32 s47, s8
	s_xor_b32 s8, exec_lo, s47
; %bb.11:                               ;   in Loop: Header=BB16_10 Depth=2
	v_min_i32_e32 v63, v52, v63
                                        ; implicit-def: $vgpr52
                                        ; implicit-def: $vgpr64
                                        ; implicit-def: $vgpr54_vgpr55
; %bb.12:                               ;   in Loop: Header=BB16_10 Depth=2
	s_or_saveexec_b32 s8, s8
	v_mov_b64_e32 v[50:51], v[20:21]
	s_xor_b32 exec_lo, exec_lo, s8
	s_cbranch_execz .LBB16_9
; %bb.13:                               ;   in Loop: Header=BB16_10 Depth=2
	global_load_b32 v6, v[44:45], off
	v_mul_lo_u32 v50, v52, s17
	s_delay_alu instid0(VALU_DEP_1) | instskip(NEXT) | instid1(VALU_DEP_1)
	v_sub_nc_u32_e32 v50, v64, v50
	v_lshl_add_u32 v52, v50, 2, v56
	v_mov_b64_e32 v[50:51], v[54:55]
	ds_store_b8 v7, v62 offset:16384
	s_wait_loadcnt 0x0
	ds_store_b32 v52, v6
	s_branch .LBB16_9
.LBB16_14:                              ;   in Loop: Header=BB16_7 Depth=1
	s_or_b32 exec_lo, exec_lo, s46
.LBB16_15:                              ;   in Loop: Header=BB16_7 Depth=1
	s_delay_alu instid0(SALU_CYCLE_1)
	s_or_b32 exec_lo, exec_lo, s9
	ds_bpermute_b32 v20, v59, v50
	ds_bpermute_b32 v21, v59, v51
	s_wait_dscnt 0x0
	s_barrier_signal -1
	s_barrier_wait -1
	ds_load_u8 v6, v7 offset:16384
	s_mov_b64 s[8:9], 0
	v_min_i64 v[20:21], v[20:21], v[50:51]
	s_wait_dscnt 0x0
	v_and_b32_e32 v6, 1, v6
	s_delay_alu instid0(VALU_DEP_1)
	v_cmp_eq_u32_e32 vcc_lo, 0, v6
	s_and_b32 vcc_lo, exec_lo, vcc_lo
	ds_bpermute_b32 v44, v60, v20
	ds_bpermute_b32 v45, v60, v21
	s_wait_dscnt 0x0
	v_min_i64 v[20:21], v[44:45], v[20:21]
	ds_bpermute_b32 v20, v58, v20
	ds_bpermute_b32 v21, v58, v21
	s_cbranch_vccnz .LBB16_81
; %bb.16:                               ;   in Loop: Header=BB16_7 Depth=1
	s_mul_u64 s[8:9], s[14:15], s[12:13]
	v_add_nc_u32_e32 v6, s22, v48
	s_lshl_b64 s[8:9], s[8:9], 2
	s_delay_alu instid0(SALU_CYCLE_1) | instskip(SKIP_2) | instid1(SALU_CYCLE_1)
	v_add_nc_u64_e32 v[46:47], s[8:9], v[8:9]
	v_add_nc_u64_e32 v[44:45], s[8:9], v[12:13]
	s_lshl_b64 s[8:9], s[12:13], 2
	s_add_nc_u64 s[8:9], s[10:11], s[8:9]
	global_store_b32 v7, v6, s[8:9]
	s_wait_xcnt 0x0
	s_and_saveexec_b32 s8, s23
	s_cbranch_execz .LBB16_20
; %bb.17:                               ;   in Loop: Header=BB16_7 Depth=1
	ds_load_b32 v6, v61
	s_and_b32 vcc_lo, exec_lo, s19
	s_cbranch_vccz .LBB16_97
; %bb.18:                               ;   in Loop: Header=BB16_7 Depth=1
	v_lshl_add_u64 v[48:49], v[10:11], 2, v[46:47]
	s_wait_dscnt 0x0
	global_store_b32 v[48:49], v6, off
	s_cbranch_execnz .LBB16_20
.LBB16_19:                              ;   in Loop: Header=BB16_7 Depth=1
	s_wait_dscnt 0x0
	global_store_b32 v[44:45], v6, off
.LBB16_20:                              ;   in Loop: Header=BB16_7 Depth=1
	s_wait_xcnt 0x0
	s_or_b32 exec_lo, exec_lo, s8
	s_and_saveexec_b32 s8, s28
	s_cbranch_execz .LBB16_24
; %bb.21:                               ;   in Loop: Header=BB16_7 Depth=1
	s_wait_dscnt 0x0
	ds_load_b32 v6, v61 offset:16
	s_and_not1_b32 vcc_lo, exec_lo, s19
	s_cbranch_vccnz .LBB16_98
; %bb.22:                               ;   in Loop: Header=BB16_7 Depth=1
	v_lshl_add_u64 v[48:49], v[0:1], 2, v[46:47]
	s_wait_dscnt 0x0
	global_store_b32 v[48:49], v6, off
	s_cbranch_execnz .LBB16_24
.LBB16_23:                              ;   in Loop: Header=BB16_7 Depth=1
	s_wait_dscnt 0x0
	global_store_b32 v[44:45], v6, off offset:16
.LBB16_24:                              ;   in Loop: Header=BB16_7 Depth=1
	s_wait_xcnt 0x0
	s_or_b32 exec_lo, exec_lo, s8
	s_and_saveexec_b32 s8, s29
	s_cbranch_execz .LBB16_28
; %bb.25:                               ;   in Loop: Header=BB16_7 Depth=1
	s_wait_dscnt 0x0
	ds_load_b32 v6, v61 offset:32
	s_and_not1_b32 vcc_lo, exec_lo, s19
	s_cbranch_vccnz .LBB16_99
; %bb.26:                               ;   in Loop: Header=BB16_7 Depth=1
	v_lshl_add_u64 v[48:49], v[14:15], 2, v[46:47]
	s_wait_dscnt 0x0
	global_store_b32 v[48:49], v6, off
	s_cbranch_execnz .LBB16_28
.LBB16_27:                              ;   in Loop: Header=BB16_7 Depth=1
	s_wait_dscnt 0x0
	global_store_b32 v[44:45], v6, off offset:32
.LBB16_28:                              ;   in Loop: Header=BB16_7 Depth=1
	s_wait_xcnt 0x0
	s_or_b32 exec_lo, exec_lo, s8
	s_and_saveexec_b32 s8, s30
	s_cbranch_execz .LBB16_32
; %bb.29:                               ;   in Loop: Header=BB16_7 Depth=1
	s_wait_dscnt 0x0
	ds_load_b32 v6, v61 offset:48
	s_and_not1_b32 vcc_lo, exec_lo, s19
	s_cbranch_vccnz .LBB16_100
; %bb.30:                               ;   in Loop: Header=BB16_7 Depth=1
	v_lshl_add_u64 v[48:49], v[16:17], 2, v[46:47]
	s_wait_dscnt 0x0
	global_store_b32 v[48:49], v6, off
	s_cbranch_execnz .LBB16_32
.LBB16_31:                              ;   in Loop: Header=BB16_7 Depth=1
	s_wait_dscnt 0x0
	global_store_b32 v[44:45], v6, off offset:48
.LBB16_32:                              ;   in Loop: Header=BB16_7 Depth=1
	s_wait_xcnt 0x0
	s_or_b32 exec_lo, exec_lo, s8
	s_and_saveexec_b32 s8, s31
	s_cbranch_execz .LBB16_36
; %bb.33:                               ;   in Loop: Header=BB16_7 Depth=1
	s_wait_dscnt 0x0
	ds_load_b32 v6, v61 offset:64
	s_and_not1_b32 vcc_lo, exec_lo, s19
	s_cbranch_vccnz .LBB16_101
; %bb.34:                               ;   in Loop: Header=BB16_7 Depth=1
	v_lshl_add_u64 v[48:49], v[18:19], 2, v[46:47]
	s_wait_dscnt 0x0
	global_store_b32 v[48:49], v6, off
	s_cbranch_execnz .LBB16_36
.LBB16_35:                              ;   in Loop: Header=BB16_7 Depth=1
	s_wait_dscnt 0x0
	global_store_b32 v[44:45], v6, off offset:64
.LBB16_36:                              ;   in Loop: Header=BB16_7 Depth=1
	s_wait_xcnt 0x0
	s_or_b32 exec_lo, exec_lo, s8
	s_and_saveexec_b32 s8, s33
	s_cbranch_execz .LBB16_40
; %bb.37:                               ;   in Loop: Header=BB16_7 Depth=1
	s_wait_dscnt 0x0
	ds_load_b32 v6, v61 offset:80
	s_and_not1_b32 vcc_lo, exec_lo, s19
	s_cbranch_vccnz .LBB16_102
; %bb.38:                               ;   in Loop: Header=BB16_7 Depth=1
	v_lshl_add_u64 v[48:49], v[22:23], 2, v[46:47]
	s_wait_dscnt 0x0
	global_store_b32 v[48:49], v6, off
	s_cbranch_execnz .LBB16_40
.LBB16_39:                              ;   in Loop: Header=BB16_7 Depth=1
	s_wait_dscnt 0x0
	global_store_b32 v[44:45], v6, off offset:80
.LBB16_40:                              ;   in Loop: Header=BB16_7 Depth=1
	s_wait_xcnt 0x0
	s_or_b32 exec_lo, exec_lo, s8
	s_and_saveexec_b32 s8, s34
	s_cbranch_execz .LBB16_44
; %bb.41:                               ;   in Loop: Header=BB16_7 Depth=1
	s_wait_dscnt 0x0
	ds_load_b32 v6, v61 offset:96
	s_and_not1_b32 vcc_lo, exec_lo, s19
	s_cbranch_vccnz .LBB16_103
; %bb.42:                               ;   in Loop: Header=BB16_7 Depth=1
	v_lshl_add_u64 v[48:49], v[24:25], 2, v[46:47]
	s_wait_dscnt 0x0
	global_store_b32 v[48:49], v6, off
	s_cbranch_execnz .LBB16_44
.LBB16_43:                              ;   in Loop: Header=BB16_7 Depth=1
	s_wait_dscnt 0x0
	global_store_b32 v[44:45], v6, off offset:96
.LBB16_44:                              ;   in Loop: Header=BB16_7 Depth=1
	s_wait_xcnt 0x0
	s_or_b32 exec_lo, exec_lo, s8
	s_and_saveexec_b32 s8, s35
	s_cbranch_execz .LBB16_48
; %bb.45:                               ;   in Loop: Header=BB16_7 Depth=1
	s_wait_dscnt 0x0
	ds_load_b32 v6, v61 offset:112
	s_and_not1_b32 vcc_lo, exec_lo, s19
	s_cbranch_vccnz .LBB16_104
; %bb.46:                               ;   in Loop: Header=BB16_7 Depth=1
	v_lshl_add_u64 v[48:49], v[26:27], 2, v[46:47]
	s_wait_dscnt 0x0
	global_store_b32 v[48:49], v6, off
	s_cbranch_execnz .LBB16_48
.LBB16_47:                              ;   in Loop: Header=BB16_7 Depth=1
	s_wait_dscnt 0x0
	global_store_b32 v[44:45], v6, off offset:112
.LBB16_48:                              ;   in Loop: Header=BB16_7 Depth=1
	s_wait_xcnt 0x0
	s_or_b32 exec_lo, exec_lo, s8
	s_and_saveexec_b32 s8, s36
	s_cbranch_execz .LBB16_52
; %bb.49:                               ;   in Loop: Header=BB16_7 Depth=1
	s_wait_dscnt 0x0
	ds_load_b32 v6, v61 offset:128
	s_and_not1_b32 vcc_lo, exec_lo, s19
	s_cbranch_vccnz .LBB16_105
; %bb.50:                               ;   in Loop: Header=BB16_7 Depth=1
	v_lshl_add_u64 v[48:49], v[28:29], 2, v[46:47]
	s_wait_dscnt 0x0
	global_store_b32 v[48:49], v6, off
	s_cbranch_execnz .LBB16_52
.LBB16_51:                              ;   in Loop: Header=BB16_7 Depth=1
	s_wait_dscnt 0x0
	global_store_b32 v[44:45], v6, off offset:128
.LBB16_52:                              ;   in Loop: Header=BB16_7 Depth=1
	s_wait_xcnt 0x0
	s_or_b32 exec_lo, exec_lo, s8
	s_and_saveexec_b32 s8, s37
	s_cbranch_execz .LBB16_56
; %bb.53:                               ;   in Loop: Header=BB16_7 Depth=1
	s_wait_dscnt 0x0
	ds_load_b32 v6, v61 offset:144
	s_and_not1_b32 vcc_lo, exec_lo, s19
	s_cbranch_vccnz .LBB16_106
; %bb.54:                               ;   in Loop: Header=BB16_7 Depth=1
	v_lshl_add_u64 v[48:49], v[30:31], 2, v[46:47]
	s_wait_dscnt 0x0
	global_store_b32 v[48:49], v6, off
	s_cbranch_execnz .LBB16_56
.LBB16_55:                              ;   in Loop: Header=BB16_7 Depth=1
	s_wait_dscnt 0x0
	global_store_b32 v[44:45], v6, off offset:144
.LBB16_56:                              ;   in Loop: Header=BB16_7 Depth=1
	s_wait_xcnt 0x0
	s_or_b32 exec_lo, exec_lo, s8
	s_and_saveexec_b32 s8, s38
	s_cbranch_execz .LBB16_60
; %bb.57:                               ;   in Loop: Header=BB16_7 Depth=1
	s_wait_dscnt 0x0
	ds_load_b32 v6, v61 offset:160
	s_and_not1_b32 vcc_lo, exec_lo, s19
	s_cbranch_vccnz .LBB16_107
; %bb.58:                               ;   in Loop: Header=BB16_7 Depth=1
	v_lshl_add_u64 v[48:49], v[32:33], 2, v[46:47]
	s_wait_dscnt 0x0
	global_store_b32 v[48:49], v6, off
	s_cbranch_execnz .LBB16_60
.LBB16_59:                              ;   in Loop: Header=BB16_7 Depth=1
	s_wait_dscnt 0x0
	global_store_b32 v[44:45], v6, off offset:160
.LBB16_60:                              ;   in Loop: Header=BB16_7 Depth=1
	s_wait_xcnt 0x0
	s_or_b32 exec_lo, exec_lo, s8
	s_and_saveexec_b32 s8, s39
	s_cbranch_execz .LBB16_64
; %bb.61:                               ;   in Loop: Header=BB16_7 Depth=1
	s_wait_dscnt 0x0
	ds_load_b32 v6, v61 offset:176
	s_and_not1_b32 vcc_lo, exec_lo, s19
	s_cbranch_vccnz .LBB16_108
; %bb.62:                               ;   in Loop: Header=BB16_7 Depth=1
	v_lshl_add_u64 v[48:49], v[34:35], 2, v[46:47]
	s_wait_dscnt 0x0
	global_store_b32 v[48:49], v6, off
	s_cbranch_execnz .LBB16_64
.LBB16_63:                              ;   in Loop: Header=BB16_7 Depth=1
	s_wait_dscnt 0x0
	global_store_b32 v[44:45], v6, off offset:176
.LBB16_64:                              ;   in Loop: Header=BB16_7 Depth=1
	s_wait_xcnt 0x0
	s_or_b32 exec_lo, exec_lo, s8
	s_and_saveexec_b32 s8, s41
	s_cbranch_execz .LBB16_68
; %bb.65:                               ;   in Loop: Header=BB16_7 Depth=1
	s_wait_dscnt 0x0
	ds_load_b32 v6, v61 offset:192
	s_and_not1_b32 vcc_lo, exec_lo, s19
	s_cbranch_vccnz .LBB16_109
; %bb.66:                               ;   in Loop: Header=BB16_7 Depth=1
	v_lshl_add_u64 v[48:49], v[36:37], 2, v[46:47]
	s_wait_dscnt 0x0
	global_store_b32 v[48:49], v6, off
	s_cbranch_execnz .LBB16_68
.LBB16_67:                              ;   in Loop: Header=BB16_7 Depth=1
	s_wait_dscnt 0x0
	global_store_b32 v[44:45], v6, off offset:192
.LBB16_68:                              ;   in Loop: Header=BB16_7 Depth=1
	s_wait_xcnt 0x0
	s_or_b32 exec_lo, exec_lo, s8
	s_and_saveexec_b32 s8, s42
	s_cbranch_execz .LBB16_72
; %bb.69:                               ;   in Loop: Header=BB16_7 Depth=1
	s_wait_dscnt 0x0
	ds_load_b32 v6, v61 offset:208
	s_and_not1_b32 vcc_lo, exec_lo, s19
	s_cbranch_vccnz .LBB16_110
; %bb.70:                               ;   in Loop: Header=BB16_7 Depth=1
	v_lshl_add_u64 v[48:49], v[38:39], 2, v[46:47]
	s_wait_dscnt 0x0
	global_store_b32 v[48:49], v6, off
	s_cbranch_execnz .LBB16_72
.LBB16_71:                              ;   in Loop: Header=BB16_7 Depth=1
	s_wait_dscnt 0x0
	global_store_b32 v[44:45], v6, off offset:208
.LBB16_72:                              ;   in Loop: Header=BB16_7 Depth=1
	s_wait_xcnt 0x0
	s_or_b32 exec_lo, exec_lo, s8
	s_and_saveexec_b32 s8, s43
	s_cbranch_execz .LBB16_76
; %bb.73:                               ;   in Loop: Header=BB16_7 Depth=1
	s_wait_dscnt 0x0
	ds_load_b32 v6, v61 offset:224
	s_and_not1_b32 vcc_lo, exec_lo, s19
	s_cbranch_vccnz .LBB16_111
; %bb.74:                               ;   in Loop: Header=BB16_7 Depth=1
	v_lshl_add_u64 v[48:49], v[40:41], 2, v[46:47]
	s_wait_dscnt 0x0
	global_store_b32 v[48:49], v6, off
	s_cbranch_execnz .LBB16_76
.LBB16_75:                              ;   in Loop: Header=BB16_7 Depth=1
	s_wait_dscnt 0x0
	global_store_b32 v[44:45], v6, off offset:224
.LBB16_76:                              ;   in Loop: Header=BB16_7 Depth=1
	s_wait_xcnt 0x0
	s_or_b32 exec_lo, exec_lo, s8
	s_and_saveexec_b32 s8, s44
	s_cbranch_execz .LBB16_80
; %bb.77:                               ;   in Loop: Header=BB16_7 Depth=1
	s_wait_dscnt 0x0
	ds_load_b32 v6, v61 offset:240
	s_and_not1_b32 vcc_lo, exec_lo, s19
	s_cbranch_vccnz .LBB16_112
; %bb.78:                               ;   in Loop: Header=BB16_7 Depth=1
	v_lshl_add_u64 v[46:47], v[42:43], 2, v[46:47]
	s_wait_dscnt 0x0
	global_store_b32 v[46:47], v6, off
	s_cbranch_execnz .LBB16_80
.LBB16_79:                              ;   in Loop: Header=BB16_7 Depth=1
	s_wait_dscnt 0x0
	global_store_b32 v[44:45], v6, off offset:240
.LBB16_80:                              ;   in Loop: Header=BB16_7 Depth=1
	s_wait_xcnt 0x0
	s_or_b32 exec_lo, exec_lo, s8
	s_mov_b64 s[8:9], 1
.LBB16_81:                              ;   in Loop: Header=BB16_7 Depth=1
	s_wait_storecnt_dscnt 0x0
	s_barrier_signal -1
	s_barrier_wait -1
	ds_store_b32 v57, v63
	s_wait_dscnt 0x0
	s_barrier_signal -1
	s_barrier_wait -1
	s_and_saveexec_b32 s46, s0
	s_cbranch_execz .LBB16_83
; %bb.82:                               ;   in Loop: Header=BB16_7 Depth=1
	ds_load_2addr_stride64_b32 v[44:45], v57 offset1:2
	s_wait_dscnt 0x0
	v_min_i32_e32 v6, v45, v44
	ds_store_b32 v57, v6
.LBB16_83:                              ;   in Loop: Header=BB16_7 Depth=1
	s_or_b32 exec_lo, exec_lo, s46
	s_wait_dscnt 0x0
	s_barrier_signal -1
	s_barrier_wait -1
	s_and_saveexec_b32 s46, s1
	s_cbranch_execz .LBB16_85
; %bb.84:                               ;   in Loop: Header=BB16_7 Depth=1
	ds_load_2addr_stride64_b32 v[44:45], v57 offset1:1
	s_wait_dscnt 0x0
	v_min_i32_e32 v6, v45, v44
	ds_store_b32 v57, v6
.LBB16_85:                              ;   in Loop: Header=BB16_7 Depth=1
	s_or_b32 exec_lo, exec_lo, s46
	s_wait_dscnt 0x0
	s_barrier_signal -1
	s_barrier_wait -1
	s_and_saveexec_b32 s46, s2
	s_cbranch_execz .LBB16_87
; %bb.86:                               ;   in Loop: Header=BB16_7 Depth=1
	ds_load_2addr_b32 v[44:45], v57 offset1:32
	s_wait_dscnt 0x0
	v_min_i32_e32 v6, v45, v44
	ds_store_b32 v57, v6
.LBB16_87:                              ;   in Loop: Header=BB16_7 Depth=1
	s_or_b32 exec_lo, exec_lo, s46
	s_wait_dscnt 0x0
	s_barrier_signal -1
	s_barrier_wait -1
	s_and_saveexec_b32 s46, s3
	s_cbranch_execz .LBB16_89
; %bb.88:                               ;   in Loop: Header=BB16_7 Depth=1
	ds_load_2addr_b32 v[44:45], v57 offset1:16
	s_wait_dscnt 0x0
	v_min_i32_e32 v6, v45, v44
	ds_store_b32 v57, v6
.LBB16_89:                              ;   in Loop: Header=BB16_7 Depth=1
	;; [unrolled: 12-line block ×5, first 2 shown]
	s_or_b32 exec_lo, exec_lo, s46
	s_wait_dscnt 0x0
	s_barrier_signal -1
	s_barrier_wait -1
	s_and_saveexec_b32 s46, s7
	s_cbranch_execz .LBB16_6
; %bb.96:                               ;   in Loop: Header=BB16_7 Depth=1
	ds_load_b64 v[44:45], v7
	s_wait_dscnt 0x0
	v_min_i32_e32 v6, v45, v44
	ds_store_b32 v7, v6
	s_branch .LBB16_6
.LBB16_97:                              ;   in Loop: Header=BB16_7 Depth=1
	s_branch .LBB16_19
.LBB16_98:                              ;   in Loop: Header=BB16_7 Depth=1
	s_branch .LBB16_23
.LBB16_99:                              ;   in Loop: Header=BB16_7 Depth=1
	s_branch .LBB16_27
.LBB16_100:                             ;   in Loop: Header=BB16_7 Depth=1
	s_branch .LBB16_31
.LBB16_101:                             ;   in Loop: Header=BB16_7 Depth=1
	s_branch .LBB16_35
.LBB16_102:                             ;   in Loop: Header=BB16_7 Depth=1
	s_branch .LBB16_39
.LBB16_103:                             ;   in Loop: Header=BB16_7 Depth=1
	s_branch .LBB16_43
.LBB16_104:                             ;   in Loop: Header=BB16_7 Depth=1
	s_branch .LBB16_47
.LBB16_105:                             ;   in Loop: Header=BB16_7 Depth=1
	s_branch .LBB16_51
.LBB16_106:                             ;   in Loop: Header=BB16_7 Depth=1
	s_branch .LBB16_55
.LBB16_107:                             ;   in Loop: Header=BB16_7 Depth=1
	s_branch .LBB16_59
.LBB16_108:                             ;   in Loop: Header=BB16_7 Depth=1
	s_branch .LBB16_63
.LBB16_109:                             ;   in Loop: Header=BB16_7 Depth=1
	s_branch .LBB16_67
.LBB16_110:                             ;   in Loop: Header=BB16_7 Depth=1
	s_branch .LBB16_71
.LBB16_111:                             ;   in Loop: Header=BB16_7 Depth=1
	s_branch .LBB16_75
.LBB16_112:                             ;   in Loop: Header=BB16_7 Depth=1
	s_branch .LBB16_79
.LBB16_113:
	s_endpgm
	.section	.rodata,"a",@progbits
	.p2align	6, 0x0
	.amdhsa_kernel _ZN9rocsparseL38csr2bsr_block_per_row_multipass_kernelILj256ELj64EiliEEv20rocsparse_direction_T3_S2_S2_S2_S2_21rocsparse_index_base_PKT1_PKT2_PKS2_S3_PS4_PS7_PS2_
		.amdhsa_group_segment_fixed_size 16388
		.amdhsa_private_segment_fixed_size 0
		.amdhsa_kernarg_size 88
		.amdhsa_user_sgpr_count 2
		.amdhsa_user_sgpr_dispatch_ptr 0
		.amdhsa_user_sgpr_queue_ptr 0
		.amdhsa_user_sgpr_kernarg_segment_ptr 1
		.amdhsa_user_sgpr_dispatch_id 0
		.amdhsa_user_sgpr_kernarg_preload_length 0
		.amdhsa_user_sgpr_kernarg_preload_offset 0
		.amdhsa_user_sgpr_private_segment_size 0
		.amdhsa_wavefront_size32 1
		.amdhsa_uses_dynamic_stack 0
		.amdhsa_enable_private_segment 0
		.amdhsa_system_sgpr_workgroup_id_x 1
		.amdhsa_system_sgpr_workgroup_id_y 0
		.amdhsa_system_sgpr_workgroup_id_z 0
		.amdhsa_system_sgpr_workgroup_info 0
		.amdhsa_system_vgpr_workitem_id 0
		.amdhsa_next_free_vgpr 65
		.amdhsa_next_free_sgpr 48
		.amdhsa_named_barrier_count 0
		.amdhsa_reserve_vcc 1
		.amdhsa_float_round_mode_32 0
		.amdhsa_float_round_mode_16_64 0
		.amdhsa_float_denorm_mode_32 3
		.amdhsa_float_denorm_mode_16_64 3
		.amdhsa_fp16_overflow 0
		.amdhsa_memory_ordered 1
		.amdhsa_forward_progress 1
		.amdhsa_inst_pref_size 28
		.amdhsa_round_robin_scheduling 0
		.amdhsa_exception_fp_ieee_invalid_op 0
		.amdhsa_exception_fp_denorm_src 0
		.amdhsa_exception_fp_ieee_div_zero 0
		.amdhsa_exception_fp_ieee_overflow 0
		.amdhsa_exception_fp_ieee_underflow 0
		.amdhsa_exception_fp_ieee_inexact 0
		.amdhsa_exception_int_div_zero 0
	.end_amdhsa_kernel
	.section	.text._ZN9rocsparseL38csr2bsr_block_per_row_multipass_kernelILj256ELj64EiliEEv20rocsparse_direction_T3_S2_S2_S2_S2_21rocsparse_index_base_PKT1_PKT2_PKS2_S3_PS4_PS7_PS2_,"axG",@progbits,_ZN9rocsparseL38csr2bsr_block_per_row_multipass_kernelILj256ELj64EiliEEv20rocsparse_direction_T3_S2_S2_S2_S2_21rocsparse_index_base_PKT1_PKT2_PKS2_S3_PS4_PS7_PS2_,comdat
.Lfunc_end16:
	.size	_ZN9rocsparseL38csr2bsr_block_per_row_multipass_kernelILj256ELj64EiliEEv20rocsparse_direction_T3_S2_S2_S2_S2_21rocsparse_index_base_PKT1_PKT2_PKS2_S3_PS4_PS7_PS2_, .Lfunc_end16-_ZN9rocsparseL38csr2bsr_block_per_row_multipass_kernelILj256ELj64EiliEEv20rocsparse_direction_T3_S2_S2_S2_S2_21rocsparse_index_base_PKT1_PKT2_PKS2_S3_PS4_PS7_PS2_
                                        ; -- End function
	.set _ZN9rocsparseL38csr2bsr_block_per_row_multipass_kernelILj256ELj64EiliEEv20rocsparse_direction_T3_S2_S2_S2_S2_21rocsparse_index_base_PKT1_PKT2_PKS2_S3_PS4_PS7_PS2_.num_vgpr, 65
	.set _ZN9rocsparseL38csr2bsr_block_per_row_multipass_kernelILj256ELj64EiliEEv20rocsparse_direction_T3_S2_S2_S2_S2_21rocsparse_index_base_PKT1_PKT2_PKS2_S3_PS4_PS7_PS2_.num_agpr, 0
	.set _ZN9rocsparseL38csr2bsr_block_per_row_multipass_kernelILj256ELj64EiliEEv20rocsparse_direction_T3_S2_S2_S2_S2_21rocsparse_index_base_PKT1_PKT2_PKS2_S3_PS4_PS7_PS2_.numbered_sgpr, 48
	.set _ZN9rocsparseL38csr2bsr_block_per_row_multipass_kernelILj256ELj64EiliEEv20rocsparse_direction_T3_S2_S2_S2_S2_21rocsparse_index_base_PKT1_PKT2_PKS2_S3_PS4_PS7_PS2_.num_named_barrier, 0
	.set _ZN9rocsparseL38csr2bsr_block_per_row_multipass_kernelILj256ELj64EiliEEv20rocsparse_direction_T3_S2_S2_S2_S2_21rocsparse_index_base_PKT1_PKT2_PKS2_S3_PS4_PS7_PS2_.private_seg_size, 0
	.set _ZN9rocsparseL38csr2bsr_block_per_row_multipass_kernelILj256ELj64EiliEEv20rocsparse_direction_T3_S2_S2_S2_S2_21rocsparse_index_base_PKT1_PKT2_PKS2_S3_PS4_PS7_PS2_.uses_vcc, 1
	.set _ZN9rocsparseL38csr2bsr_block_per_row_multipass_kernelILj256ELj64EiliEEv20rocsparse_direction_T3_S2_S2_S2_S2_21rocsparse_index_base_PKT1_PKT2_PKS2_S3_PS4_PS7_PS2_.uses_flat_scratch, 0
	.set _ZN9rocsparseL38csr2bsr_block_per_row_multipass_kernelILj256ELj64EiliEEv20rocsparse_direction_T3_S2_S2_S2_S2_21rocsparse_index_base_PKT1_PKT2_PKS2_S3_PS4_PS7_PS2_.has_dyn_sized_stack, 0
	.set _ZN9rocsparseL38csr2bsr_block_per_row_multipass_kernelILj256ELj64EiliEEv20rocsparse_direction_T3_S2_S2_S2_S2_21rocsparse_index_base_PKT1_PKT2_PKS2_S3_PS4_PS7_PS2_.has_recursion, 0
	.set _ZN9rocsparseL38csr2bsr_block_per_row_multipass_kernelILj256ELj64EiliEEv20rocsparse_direction_T3_S2_S2_S2_S2_21rocsparse_index_base_PKT1_PKT2_PKS2_S3_PS4_PS7_PS2_.has_indirect_call, 0
	.section	.AMDGPU.csdata,"",@progbits
; Kernel info:
; codeLenInByte = 3492
; TotalNumSgprs: 50
; NumVgprs: 65
; ScratchSize: 0
; MemoryBound: 0
; FloatMode: 240
; IeeeMode: 1
; LDSByteSize: 16388 bytes/workgroup (compile time only)
; SGPRBlocks: 0
; VGPRBlocks: 4
; NumSGPRsForWavesPerEU: 50
; NumVGPRsForWavesPerEU: 65
; NamedBarCnt: 0
; Occupancy: 12
; WaveLimiterHint : 0
; COMPUTE_PGM_RSRC2:SCRATCH_EN: 0
; COMPUTE_PGM_RSRC2:USER_SGPR: 2
; COMPUTE_PGM_RSRC2:TRAP_HANDLER: 0
; COMPUTE_PGM_RSRC2:TGID_X_EN: 1
; COMPUTE_PGM_RSRC2:TGID_Y_EN: 0
; COMPUTE_PGM_RSRC2:TGID_Z_EN: 0
; COMPUTE_PGM_RSRC2:TIDIG_COMP_CNT: 0
	.section	.text._ZN9rocsparseL21csr2bsr_65_inf_kernelILj32EiliEEv20rocsparse_direction_T2_S2_S2_S2_S2_S2_21rocsparse_index_base_PKT0_PKT1_PKS2_S3_PS4_PS7_PS2_SD_SE_SC_,"axG",@progbits,_ZN9rocsparseL21csr2bsr_65_inf_kernelILj32EiliEEv20rocsparse_direction_T2_S2_S2_S2_S2_S2_21rocsparse_index_base_PKT0_PKT1_PKS2_S3_PS4_PS7_PS2_SD_SE_SC_,comdat
	.globl	_ZN9rocsparseL21csr2bsr_65_inf_kernelILj32EiliEEv20rocsparse_direction_T2_S2_S2_S2_S2_S2_21rocsparse_index_base_PKT0_PKT1_PKS2_S3_PS4_PS7_PS2_SD_SE_SC_ ; -- Begin function _ZN9rocsparseL21csr2bsr_65_inf_kernelILj32EiliEEv20rocsparse_direction_T2_S2_S2_S2_S2_S2_21rocsparse_index_base_PKT0_PKT1_PKS2_S3_PS4_PS7_PS2_SD_SE_SC_
	.p2align	8
	.type	_ZN9rocsparseL21csr2bsr_65_inf_kernelILj32EiliEEv20rocsparse_direction_T2_S2_S2_S2_S2_S2_21rocsparse_index_base_PKT0_PKT1_PKS2_S3_PS4_PS7_PS2_SD_SE_SC_,@function
_ZN9rocsparseL21csr2bsr_65_inf_kernelILj32EiliEEv20rocsparse_direction_T2_S2_S2_S2_S2_S2_21rocsparse_index_base_PKT0_PKT1_PKS2_S3_PS4_PS7_PS2_SD_SE_SC_: ; @_ZN9rocsparseL21csr2bsr_65_inf_kernelILj32EiliEEv20rocsparse_direction_T2_S2_S2_S2_S2_S2_21rocsparse_index_base_PKT0_PKT1_PKS2_S3_PS4_PS7_PS2_SD_SE_SC_
; %bb.0:
	s_clause 0x2
	s_load_b128 s[4:7], s[0:1], 0x0
	s_load_b64 s[2:3], s[0:1], 0x58
	s_load_b32 s15, s[0:1], 0x38
	s_bfe_u32 s8, ttmp6, 0x4000c
	s_and_b32 s9, ttmp6, 15
	s_add_co_i32 s8, s8, 1
	s_getreg_b32 s10, hwreg(HW_REG_IB_STS2, 6, 4)
	s_mul_i32 s8, ttmp9, s8
	s_mov_b32 s25, 0
	s_add_co_i32 s9, s9, s8
	s_cmp_eq_u32 s10, 0
	s_cselect_b32 s22, ttmp9, s9
	s_wait_kmcnt 0x0
	s_cmp_ge_i32 s22, s7
	s_mov_b32 s7, 0
	s_cbranch_scc1 .LBB17_2
; %bb.1:
	s_load_b64 s[8:9], s[0:1], 0x48
	s_ashr_i32 s23, s22, 31
	s_delay_alu instid0(SALU_CYCLE_1)
	s_lshl_b64 s[10:11], s[22:23], 3
	s_wait_kmcnt 0x0
	s_add_nc_u64 s[8:9], s[8:9], s[10:11]
	s_load_b32 s7, s[8:9], 0x0
	s_wait_kmcnt 0x0
	s_sub_co_i32 s7, s7, s15
.LBB17_2:
	s_load_b96 s[12:14], s[0:1], 0x14
	s_wait_kmcnt 0x0
	v_mul_lo_u32 v4, s13, v0
	s_mul_i32 s8, s22, s13
	s_delay_alu instid0(SALU_CYCLE_1) | instskip(NEXT) | instid1(SALU_CYCLE_1)
	s_lshl_b32 s24, s8, 6
	s_lshl_b64 s[8:9], s[24:25], 3
	s_lshl_b32 s24, s13, 5
	s_add_nc_u64 s[26:27], s[2:3], s[8:9]
	s_cmp_gt_i32 s13, 0
	s_cselect_b32 s28, -1, 0
	s_delay_alu instid0(VALU_DEP_1) | instskip(SKIP_1) | instid1(VALU_DEP_1)
	v_ashrrev_i32_e32 v5, 31, v4
	s_cmp_lt_i32 s13, 1
	v_lshl_add_u64 v[2:3], v[4:5], 3, s[26:27]
	s_cbranch_scc1 .LBB17_7
; %bb.3:
	s_load_b64 s[8:9], s[0:1], 0x28
	v_mov_b64_e32 v[6:7], 0
	s_delay_alu instid0(VALU_DEP_2)
	v_mov_b64_e32 v[8:9], v[2:3]
	v_mov_b32_e32 v1, v0
	s_mul_i32 s3, s12, s22
	s_mov_b32 s11, 0
	s_mov_b32 s10, s14
	s_lshl_b64 s[16:17], s[24:25], 3
	s_mov_b32 s18, s13
	s_branch .LBB17_5
.LBB17_4:                               ;   in Loop: Header=BB17_5 Depth=1
	s_wait_xcnt 0x0
	s_or_b32 exec_lo, exec_lo, s2
	v_add_nc_u64_e32 v[8:9], 8, v[8:9]
	v_add_nc_u32_e32 v1, 32, v1
	s_add_co_i32 s18, s18, -1
	s_delay_alu instid0(SALU_CYCLE_1)
	s_cmp_eq_u32 s18, 0
	s_cbranch_scc1 .LBB17_7
.LBB17_5:                               ; =>This Inner Loop Header: Depth=1
	s_delay_alu instid0(VALU_DEP_1) | instskip(NEXT) | instid1(VALU_DEP_3)
	v_add_nc_u32_e32 v12, s3, v1
	v_add_nc_u64_e32 v[10:11], s[16:17], v[8:9]
	v_cmp_gt_u32_e64 s2, s12, v1
	global_store_b64 v[8:9], v[6:7], off
	v_cmp_gt_i32_e32 vcc_lo, s5, v12
	global_store_b64 v[10:11], v[6:7], off
	s_and_b32 s19, s2, vcc_lo
	s_wait_xcnt 0x0
	s_and_saveexec_b32 s2, s19
	s_cbranch_execz .LBB17_4
; %bb.6:                                ;   in Loop: Header=BB17_5 Depth=1
	v_ashrrev_i32_e32 v13, 31, v12
	s_wait_kmcnt 0x0
	s_delay_alu instid0(VALU_DEP_1)
	v_lshl_add_u64 v[12:13], v[12:13], 3, s[8:9]
	global_load_b128 v[12:15], v[12:13], off
	s_wait_loadcnt 0x0
	v_sub_nc_u64_e64 v[12:13], v[12:13], s[10:11]
	v_sub_nc_u64_e64 v[14:15], v[14:15], s[10:11]
	s_clause 0x1
	global_store_b64 v[8:9], v[12:13], off
	global_store_b64 v[10:11], v[14:15], off
	s_branch .LBB17_4
.LBB17_7:
	s_cmp_lt_i32 s6, 1
	s_cbranch_scc1 .LBB17_37
; %bb.8:
	s_wait_kmcnt 0x0
	s_load_b128 s[8:11], s[0:1], 0x60
	v_mbcnt_lo_u32_b32 v10, -1, 0
	v_lshlrev_b64_e32 v[8:9], 2, v[4:5]
	s_clause 0x3
	s_load_b64 s[2:3], s[0:1], 0x50
	s_load_b64 s[16:17], s[0:1], 0x40
	;; [unrolled: 1-line block ×4, first 2 shown]
	s_wait_xcnt 0x0
	s_lshl_b64 s[0:1], s[24:25], 3
	s_mul_i32 s22, s24, s22
	v_xor_b32_e32 v11, 8, v10
	v_xor_b32_e32 v1, 16, v10
	s_mov_b32 s23, 0
	s_add_nc_u64 s[0:1], s[26:27], s[0:1]
	s_lshl_b64 s[24:25], s[22:23], 2
	s_cmp_lg_u32 s4, 0
	v_cmp_gt_i32_e32 vcc_lo, 32, v1
	v_lshl_add_u64 v[4:5], v[4:5], 3, s[0:1]
	v_mul_lo_u32 v31, v0, s12
	v_dual_mov_b32 v33, 0 :: v_dual_bitop2_b32 v12, 4, v10 bitop3:0x14
	v_cndmask_b32_e32 v1, v10, v1, vcc_lo
	s_mov_b32 s26, 0
	v_mov_b32_e32 v32, 0
	s_wait_kmcnt 0x0
	s_add_nc_u64 s[0:1], s[8:9], s[24:25]
	s_add_nc_u64 s[4:5], s[10:11], s[24:25]
	v_add_nc_u64_e32 v[6:7], s[0:1], v[8:9]
	s_cselect_b32 s1, -1, 0
	s_abs_i32 s24, s12
	v_lshlrev_b32_e32 v1, 2, v1
	s_cvt_f32_u32 s0, s24
	v_cmp_gt_i32_e32 vcc_lo, 32, v11
	v_add_nc_u64_e32 v[8:9], s[4:5], v[8:9]
	s_sub_co_i32 s8, 0, s24
	v_rcp_iflag_f32_e32 v15, s0
	s_ashr_i32 s5, s12, 31
	v_cndmask_b32_e32 v11, v10, v11, vcc_lo
	v_cmp_gt_i32_e32 vcc_lo, 32, v12
	v_xor_b32_e32 v13, 2, v10
	s_add_co_i32 s25, s7, -1
	v_mov_b32_e32 v30, 0x7c
	v_readfirstlane_b32 s0, v15
	v_cndmask_b32_e32 v12, v10, v12, vcc_lo
	v_cmp_gt_i32_e32 vcc_lo, 32, v13
	v_dual_lshlrev_b32 v26, 2, v11 :: v_dual_bitop2_b32 v14, 1, v10 bitop3:0x14
	s_mul_f32 s4, s0, 0x4f7ffffe
	v_cmp_eq_u32_e64 s0, 31, v0
	v_cndmask_b32_e32 v13, v10, v13, vcc_lo
	s_delay_alu instid0(VALU_DEP_3) | instskip(SKIP_2) | instid1(VALU_DEP_2)
	v_cmp_gt_i32_e32 vcc_lo, 32, v14
	s_cvt_u32_f32 s10, s4
	s_mov_b32 s4, s12
	v_dual_lshlrev_b32 v27, 2, v12 :: v_dual_lshlrev_b32 v28, 2, v13
	v_cndmask_b32_e32 v10, v10, v14, vcc_lo
	s_mul_i32 s11, s8, s10
	v_mov_b32_e32 v11, 0
	s_mul_u64 s[8:9], s[4:5], s[4:5]
	s_mul_hi_u32 s4, s10, s11
	v_dual_mov_b32 v10, 0 :: v_dual_lshlrev_b32 v29, 2, v10
	s_add_co_i32 s10, s10, s4
	s_mov_b32 s11, s23
	s_lshl_b32 s4, s12, 5
	s_branch .LBB17_10
.LBB17_9:                               ;   in Loop: Header=BB17_10 Depth=1
	s_wait_dscnt 0x1
	v_add_nc_u32_e32 v10, 1, v34
	s_delay_alu instid0(VALU_DEP_1) | instskip(SKIP_1) | instid1(SALU_CYCLE_1)
	v_cmp_le_i32_e32 vcc_lo, s6, v10
	s_or_b32 s26, vcc_lo, s26
	s_and_not1_b32 exec_lo, exec_lo, s26
	s_cbranch_execz .LBB17_37
.LBB17_10:                              ; =>This Loop Header: Depth=1
                                        ;     Child Loop BB17_14 Depth 2
                                        ;       Child Loop BB17_17 Depth 3
                                        ;     Child Loop BB17_31 Depth 2
	v_mov_b32_e32 v34, s6
	s_and_not1_b32 vcc_lo, exec_lo, s28
	s_cbranch_vccnz .LBB17_23
; %bb.11:                               ;   in Loop: Header=BB17_10 Depth=1
	v_mov_b32_e32 v34, s6
	s_mov_b32 s22, 0
	s_branch .LBB17_14
.LBB17_12:                              ;   in Loop: Header=BB17_14 Depth=2
	s_wait_xcnt 0x0
	s_or_b32 exec_lo, exec_lo, s29
.LBB17_13:                              ;   in Loop: Header=BB17_14 Depth=2
	s_delay_alu instid0(SALU_CYCLE_1) | instskip(SKIP_1) | instid1(SALU_CYCLE_1)
	s_or_b32 exec_lo, exec_lo, s27
	s_add_co_i32 s22, s22, 1
	s_cmp_eq_u32 s22, s13
	s_cbranch_scc1 .LBB17_23
.LBB17_14:                              ;   Parent Loop BB17_10 Depth=1
                                        ; =>  This Loop Header: Depth=2
                                        ;       Child Loop BB17_17 Depth 3
	s_lshl_b64 s[30:31], s[22:23], 3
	v_mov_b32_e32 v18, s6
	v_add_nc_u64_e32 v[12:13], s[30:31], v[2:3]
	v_add_nc_u64_e32 v[14:15], s[30:31], v[4:5]
	s_lshl_b64 s[30:31], s[22:23], 2
	s_mov_b32 s27, exec_lo
	v_add_nc_u64_e32 v[16:17], s[30:31], v[6:7]
	s_clause 0x1
	global_load_b64 v[22:23], v[12:13], off
	global_load_b64 v[20:21], v[14:15], off
	s_wait_xcnt 0x0
	v_add_nc_u64_e32 v[14:15], s[30:31], v[8:9]
	global_store_b32 v[14:15], v11, off
	global_store_b32 v[16:17], v18, off
	s_wait_loadcnt 0x0
	s_wait_xcnt 0x0
	v_cmpx_lt_i64_e64 v[22:23], v[20:21]
	s_cbranch_execz .LBB17_13
; %bb.15:                               ;   in Loop: Header=BB17_14 Depth=2
	v_lshl_add_u64 v[24:25], v[22:23], 2, s[20:21]
	s_mov_b32 s29, 0
                                        ; implicit-def: $sgpr30
                                        ; implicit-def: $sgpr33
                                        ; implicit-def: $sgpr31
	s_branch .LBB17_17
.LBB17_16:                              ;   in Loop: Header=BB17_17 Depth=3
	s_or_b32 exec_lo, exec_lo, s34
	s_delay_alu instid0(SALU_CYCLE_1) | instskip(NEXT) | instid1(SALU_CYCLE_1)
	s_and_b32 s34, exec_lo, s33
	s_or_b32 s29, s34, s29
	s_and_not1_b32 s30, s30, exec_lo
	s_and_b32 s34, s31, exec_lo
	s_delay_alu instid0(SALU_CYCLE_1)
	s_or_b32 s30, s30, s34
	s_and_not1_b32 exec_lo, exec_lo, s29
	s_cbranch_execz .LBB17_19
.LBB17_17:                              ;   Parent Loop BB17_10 Depth=1
                                        ;     Parent Loop BB17_14 Depth=2
                                        ; =>    This Inner Loop Header: Depth=3
	global_load_b32 v18, v[24:25], off
	s_or_b32 s31, s31, exec_lo
	s_or_b32 s33, s33, exec_lo
	s_mov_b32 s34, exec_lo
	s_wait_loadcnt 0x0
	v_subrev_nc_u32_e32 v35, s14, v18
	v_mov_b64_e32 v[18:19], v[22:23]
                                        ; implicit-def: $vgpr22_vgpr23
	s_wait_xcnt 0x0
	s_delay_alu instid0(VALU_DEP_2)
	v_cmpx_lt_i32_e64 v35, v10
	s_cbranch_execz .LBB17_16
; %bb.18:                               ;   in Loop: Header=BB17_17 Depth=3
	s_delay_alu instid0(VALU_DEP_2) | instskip(SKIP_3) | instid1(VALU_DEP_2)
	v_add_nc_u64_e32 v[22:23], 1, v[18:19]
	v_add_nc_u64_e32 v[24:25], 4, v[24:25]
	s_and_not1_b32 s33, s33, exec_lo
	s_and_not1_b32 s31, s31, exec_lo
	v_cmp_ge_i64_e32 vcc_lo, v[22:23], v[20:21]
	s_and_b32 s35, vcc_lo, exec_lo
	s_delay_alu instid0(SALU_CYCLE_1)
	s_or_b32 s33, s33, s35
	s_branch .LBB17_16
.LBB17_19:                              ;   in Loop: Header=BB17_14 Depth=2
	s_or_b32 exec_lo, exec_lo, s29
	v_lshl_add_u64 v[20:21], v[18:19], 2, s[18:19]
	s_xor_b32 s29, s30, -1
	s_delay_alu instid0(SALU_CYCLE_1) | instskip(NEXT) | instid1(SALU_CYCLE_1)
	s_and_saveexec_b32 s30, s29
	s_xor_b32 s29, exec_lo, s30
	s_cbranch_execz .LBB17_21
; %bb.20:                               ;   in Loop: Header=BB17_14 Depth=2
	global_load_b32 v12, v[20:21], off
                                        ; implicit-def: $vgpr20_vgpr21
	s_wait_loadcnt 0x0
	global_store_b32 v[14:15], v12, off
	global_store_b32 v[16:17], v35, off
                                        ; implicit-def: $vgpr14_vgpr15
                                        ; implicit-def: $vgpr16_vgpr17
                                        ; implicit-def: $vgpr12_vgpr13
.LBB17_21:                              ;   in Loop: Header=BB17_14 Depth=2
	s_wait_xcnt 0x0
	s_and_not1_saveexec_b32 s29, s29
	s_cbranch_execz .LBB17_12
; %bb.22:                               ;   in Loop: Header=BB17_14 Depth=2
	global_load_b32 v20, v[20:21], off
	v_min_i32_e32 v34, v35, v34
	global_store_b32 v[16:17], v35, off
	s_wait_loadcnt 0x0
	global_store_b32 v[14:15], v20, off
	global_store_b64 v[12:13], v[18:19], off
	s_branch .LBB17_12
.LBB17_23:                              ;   in Loop: Header=BB17_10 Depth=1
	ds_bpermute_b32 v10, v1, v34
	s_wait_dscnt 0x0
	v_min_i32_e32 v10, v10, v34
	ds_bpermute_b32 v12, v26, v10
	s_wait_dscnt 0x0
	v_min_i32_e32 v10, v12, v10
	;; [unrolled: 3-line block ×5, first 2 shown]
	s_delay_alu instid0(VALU_DEP_1) | instskip(SKIP_1) | instid1(SALU_CYCLE_1)
	v_cmp_gt_i32_e32 vcc_lo, s6, v12
	s_and_b32 s27, s0, vcc_lo
	s_and_saveexec_b32 s22, s27
	s_cbranch_execz .LBB17_27
; %bb.24:                               ;   in Loop: Header=BB17_10 Depth=1
	v_sub_nc_u32_e32 v10, 0, v12
	s_mov_b32 s27, exec_lo
	s_delay_alu instid0(VALU_DEP_1) | instskip(NEXT) | instid1(VALU_DEP_1)
	v_max_i32_e32 v10, v12, v10
	v_mul_u64_e32 v[14:15], s[10:11], v[10:11]
	s_delay_alu instid0(VALU_DEP_1) | instskip(NEXT) | instid1(VALU_DEP_1)
	v_mul_lo_u32 v13, v15, s24
	v_dual_sub_nc_u32 v10, v10, v13 :: v_dual_add_nc_u32 v13, 1, v15
	s_delay_alu instid0(VALU_DEP_1) | instskip(NEXT) | instid1(VALU_DEP_2)
	v_cmp_le_u32_e32 vcc_lo, s24, v10
	v_dual_cndmask_b32 v13, v15, v13, vcc_lo :: v_dual_ashrrev_i32 v15, 31, v12
	v_subrev_nc_u32_e32 v14, s24, v10
	s_delay_alu instid0(VALU_DEP_1) | instskip(NEXT) | instid1(VALU_DEP_1)
	v_dual_cndmask_b32 v10, v10, v14, vcc_lo :: v_dual_add_nc_u32 v14, 1, v13
	v_cmp_le_u32_e32 vcc_lo, s24, v10
	s_delay_alu instid0(VALU_DEP_2) | instskip(NEXT) | instid1(VALU_DEP_1)
	v_dual_cndmask_b32 v10, v13, v14, vcc_lo :: v_dual_bitop2_b32 v15, s5, v15 bitop3:0x14
	v_xor_b32_e32 v10, v10, v15
	s_delay_alu instid0(VALU_DEP_1) | instskip(NEXT) | instid1(VALU_DEP_1)
	v_sub_nc_u32_e32 v10, v10, v15
	v_cmpx_ge_i32_e64 v10, v32
	s_cbranch_execz .LBB17_26
; %bb.25:                               ;   in Loop: Header=BB17_10 Depth=1
	v_dual_add_nc_u32 v13, 1, v33 :: v_dual_add_nc_u32 v32, 1, v10
	v_dual_add_nc_u32 v14, s7, v33 :: v_dual_add_nc_u32 v10, s15, v10
	s_delay_alu instid0(VALU_DEP_2)
	v_mov_b32_e32 v33, v13
	global_store_b32 v14, v10, s[2:3] scale_offset
.LBB17_26:                              ;   in Loop: Header=BB17_10 Depth=1
	s_wait_xcnt 0x0
	s_or_b32 exec_lo, exec_lo, s27
.LBB17_27:                              ;   in Loop: Header=BB17_10 Depth=1
	s_delay_alu instid0(SALU_CYCLE_1)
	s_or_b32 exec_lo, exec_lo, s22
	ds_bpermute_b32 v34, v30, v12
	ds_bpermute_b32 v33, v30, v33
	s_and_not1_b32 vcc_lo, exec_lo, s28
	s_cbranch_vccnz .LBB17_9
; %bb.28:                               ;   in Loop: Header=BB17_10 Depth=1
	s_wait_dscnt 0x0
	v_dual_sub_nc_u32 v10, 0, v34 :: v_dual_add_nc_u32 v14, s25, v33
	s_mov_b32 s22, s13
	v_dual_mov_b32 v16, v0 :: v_dual_mov_b32 v20, v31
	s_delay_alu instid0(VALU_DEP_2) | instskip(NEXT) | instid1(VALU_DEP_1)
	v_max_i32_e32 v10, v34, v10
	v_mul_u64_e32 v[12:13], s[10:11], v[10:11]
	s_delay_alu instid0(VALU_DEP_1) | instskip(NEXT) | instid1(VALU_DEP_1)
	v_mul_lo_u32 v12, v13, s24
	v_dual_ashrrev_i32 v15, 31, v14 :: v_dual_sub_nc_u32 v10, v10, v12
	s_delay_alu instid0(VALU_DEP_1) | instskip(SKIP_1) | instid1(VALU_DEP_3)
	v_mul_u64_e32 v[18:19], s[8:9], v[14:15]
	v_add_nc_u32_e32 v12, 1, v13
	v_subrev_nc_u32_e32 v14, s24, v10
	v_cmp_le_u32_e32 vcc_lo, s24, v10
	s_delay_alu instid0(VALU_DEP_3) | instskip(NEXT) | instid1(VALU_DEP_1)
	v_dual_cndmask_b32 v12, v13, v12 :: v_dual_ashrrev_i32 v13, 31, v34
	v_dual_cndmask_b32 v10, v10, v14, vcc_lo :: v_dual_add_nc_u32 v14, 1, v12
	s_delay_alu instid0(VALU_DEP_1) | instskip(NEXT) | instid1(VALU_DEP_2)
	v_cmp_le_u32_e32 vcc_lo, s24, v10
	v_dual_cndmask_b32 v10, v12, v14, vcc_lo :: v_dual_bitop2_b32 v17, s5, v13 bitop3:0x14
	v_mov_b64_e32 v[12:13], v[8:9]
	v_mov_b64_e32 v[14:15], v[6:7]
	s_delay_alu instid0(VALU_DEP_3) | instskip(NEXT) | instid1(VALU_DEP_1)
	v_xor_b32_e32 v10, v10, v17
	v_sub_nc_u32_e32 v35, v10, v17
	v_lshl_add_u64 v[18:19], v[18:19], 2, s[16:17]
	s_branch .LBB17_31
.LBB17_29:                              ;   in Loop: Header=BB17_31 Depth=2
	s_delay_alu instid0(VALU_DEP_1) | instskip(NEXT) | instid1(VALU_DEP_1)
	v_lshl_add_u64 v[22:23], v[22:23], 2, v[18:19]
	v_lshl_add_u64 v[22:23], v[24:25], 2, v[22:23]
	s_wait_loadcnt 0x0
	global_store_b32 v[22:23], v37, off
.LBB17_30:                              ;   in Loop: Header=BB17_31 Depth=2
	s_wait_xcnt 0x0
	s_or_b32 exec_lo, exec_lo, s27
	v_add_nc_u64_e32 v[14:15], 4, v[14:15]
	v_add_nc_u64_e32 v[12:13], 4, v[12:13]
	v_add_nc_u32_e32 v20, s4, v20
	v_add_nc_u32_e32 v16, 32, v16
	s_add_co_i32 s22, s22, -1
	s_delay_alu instid0(SALU_CYCLE_1)
	s_cmp_eq_u32 s22, 0
	s_cbranch_scc1 .LBB17_9
.LBB17_31:                              ;   Parent Loop BB17_10 Depth=1
                                        ; =>  This Inner Loop Header: Depth=2
	global_load_b32 v17, v[14:15], off
	s_mov_b32 s27, exec_lo
	s_wait_loadcnt 0x0
	v_cmpx_gt_i32_e64 s6, v17
	s_cbranch_execz .LBB17_30
; %bb.32:                               ;   in Loop: Header=BB17_31 Depth=2
	v_dual_sub_nc_u32 v10, 0, v17 :: v_dual_ashrrev_i32 v36, 31, v17
	s_delay_alu instid0(VALU_DEP_1) | instskip(NEXT) | instid1(VALU_DEP_1)
	v_max_i32_e32 v10, v17, v10
	v_mul_u64_e32 v[22:23], s[10:11], v[10:11]
	s_delay_alu instid0(VALU_DEP_1) | instskip(NEXT) | instid1(VALU_DEP_1)
	v_mul_lo_u32 v21, v23, s24
	v_dual_add_nc_u32 v22, 1, v23 :: v_dual_sub_nc_u32 v21, v10, v21
	s_delay_alu instid0(VALU_DEP_1) | instskip(NEXT) | instid1(VALU_DEP_2)
	v_cmp_le_u32_e32 vcc_lo, s24, v21
	v_cndmask_b32_e32 v22, v23, v22, vcc_lo
	v_subrev_nc_u32_e32 v24, s24, v21
	s_delay_alu instid0(VALU_DEP_1) | instskip(NEXT) | instid1(VALU_DEP_1)
	v_dual_add_nc_u32 v23, 1, v22 :: v_dual_cndmask_b32 v21, v21, v24, vcc_lo
	v_cmp_le_u32_e32 vcc_lo, s24, v21
	s_delay_alu instid0(VALU_DEP_2) | instskip(NEXT) | instid1(VALU_DEP_1)
	v_dual_cndmask_b32 v21, v22, v23, vcc_lo :: v_dual_bitop2_b32 v24, s5, v36 bitop3:0x14
	v_xor_b32_e32 v21, v21, v24
	s_delay_alu instid0(VALU_DEP_1) | instskip(NEXT) | instid1(VALU_DEP_1)
	v_sub_nc_u32_e32 v21, v21, v24
	v_cmp_eq_u32_e32 vcc_lo, v21, v35
	s_and_b32 exec_lo, exec_lo, vcc_lo
	s_cbranch_execz .LBB17_30
; %bb.33:                               ;   in Loop: Header=BB17_31 Depth=2
	global_load_b32 v37, v[12:13], off
	s_and_b32 vcc_lo, exec_lo, s1
	s_cbranch_vccz .LBB17_35
; %bb.34:                               ;   in Loop: Header=BB17_31 Depth=2
	v_mul_lo_u32 v21, v35, s12
	s_delay_alu instid0(VALU_DEP_1) | instskip(NEXT) | instid1(VALU_DEP_1)
	v_sub_nc_u32_e32 v17, v17, v21
	v_mul_lo_u32 v22, v17, s12
	v_mov_b32_e32 v17, v11
	s_delay_alu instid0(VALU_DEP_1) | instskip(NEXT) | instid1(VALU_DEP_3)
	v_mov_b64_e32 v[24:25], v[16:17]
	v_ashrrev_i32_e32 v23, 31, v22
	s_cbranch_execnz .LBB17_29
	s_branch .LBB17_36
.LBB17_35:                              ;   in Loop: Header=BB17_31 Depth=2
	v_mov_b32_e32 v21, v11
                                        ; implicit-def: $vgpr24_vgpr25
	s_delay_alu instid0(VALU_DEP_1)
	v_mov_b64_e32 v[22:23], v[20:21]
.LBB17_36:                              ;   in Loop: Header=BB17_31 Depth=2
	v_mul_u64_e32 v[24:25], s[10:11], v[10:11]
	s_delay_alu instid0(VALU_DEP_1) | instskip(NEXT) | instid1(VALU_DEP_1)
	v_mul_lo_u32 v17, v25, s24
	v_sub_nc_u32_e32 v10, v10, v17
	s_delay_alu instid0(VALU_DEP_1) | instskip(SKIP_1) | instid1(VALU_DEP_2)
	v_subrev_nc_u32_e32 v17, s24, v10
	v_cmp_le_u32_e32 vcc_lo, s24, v10
	v_cndmask_b32_e32 v10, v10, v17, vcc_lo
	s_delay_alu instid0(VALU_DEP_1) | instskip(SKIP_1) | instid1(VALU_DEP_2)
	v_subrev_nc_u32_e32 v17, s24, v10
	v_cmp_le_u32_e32 vcc_lo, s24, v10
	v_cndmask_b32_e32 v10, v10, v17, vcc_lo
	s_delay_alu instid0(VALU_DEP_1) | instskip(NEXT) | instid1(VALU_DEP_1)
	v_xor_b32_e32 v10, v10, v36
	v_sub_nc_u32_e32 v24, v10, v36
	s_delay_alu instid0(VALU_DEP_1)
	v_ashrrev_i32_e32 v25, 31, v24
	s_branch .LBB17_29
.LBB17_37:
	s_endpgm
	.section	.rodata,"a",@progbits
	.p2align	6, 0x0
	.amdhsa_kernel _ZN9rocsparseL21csr2bsr_65_inf_kernelILj32EiliEEv20rocsparse_direction_T2_S2_S2_S2_S2_S2_21rocsparse_index_base_PKT0_PKT1_PKS2_S3_PS4_PS7_PS2_SD_SE_SC_
		.amdhsa_group_segment_fixed_size 0
		.amdhsa_private_segment_fixed_size 0
		.amdhsa_kernarg_size 112
		.amdhsa_user_sgpr_count 2
		.amdhsa_user_sgpr_dispatch_ptr 0
		.amdhsa_user_sgpr_queue_ptr 0
		.amdhsa_user_sgpr_kernarg_segment_ptr 1
		.amdhsa_user_sgpr_dispatch_id 0
		.amdhsa_user_sgpr_kernarg_preload_length 0
		.amdhsa_user_sgpr_kernarg_preload_offset 0
		.amdhsa_user_sgpr_private_segment_size 0
		.amdhsa_wavefront_size32 1
		.amdhsa_uses_dynamic_stack 0
		.amdhsa_enable_private_segment 0
		.amdhsa_system_sgpr_workgroup_id_x 1
		.amdhsa_system_sgpr_workgroup_id_y 0
		.amdhsa_system_sgpr_workgroup_id_z 0
		.amdhsa_system_sgpr_workgroup_info 0
		.amdhsa_system_vgpr_workitem_id 0
		.amdhsa_next_free_vgpr 38
		.amdhsa_next_free_sgpr 36
		.amdhsa_named_barrier_count 0
		.amdhsa_reserve_vcc 1
		.amdhsa_float_round_mode_32 0
		.amdhsa_float_round_mode_16_64 0
		.amdhsa_float_denorm_mode_32 3
		.amdhsa_float_denorm_mode_16_64 3
		.amdhsa_fp16_overflow 0
		.amdhsa_memory_ordered 1
		.amdhsa_forward_progress 1
		.amdhsa_inst_pref_size 17
		.amdhsa_round_robin_scheduling 0
		.amdhsa_exception_fp_ieee_invalid_op 0
		.amdhsa_exception_fp_denorm_src 0
		.amdhsa_exception_fp_ieee_div_zero 0
		.amdhsa_exception_fp_ieee_overflow 0
		.amdhsa_exception_fp_ieee_underflow 0
		.amdhsa_exception_fp_ieee_inexact 0
		.amdhsa_exception_int_div_zero 0
	.end_amdhsa_kernel
	.section	.text._ZN9rocsparseL21csr2bsr_65_inf_kernelILj32EiliEEv20rocsparse_direction_T2_S2_S2_S2_S2_S2_21rocsparse_index_base_PKT0_PKT1_PKS2_S3_PS4_PS7_PS2_SD_SE_SC_,"axG",@progbits,_ZN9rocsparseL21csr2bsr_65_inf_kernelILj32EiliEEv20rocsparse_direction_T2_S2_S2_S2_S2_S2_21rocsparse_index_base_PKT0_PKT1_PKS2_S3_PS4_PS7_PS2_SD_SE_SC_,comdat
.Lfunc_end17:
	.size	_ZN9rocsparseL21csr2bsr_65_inf_kernelILj32EiliEEv20rocsparse_direction_T2_S2_S2_S2_S2_S2_21rocsparse_index_base_PKT0_PKT1_PKS2_S3_PS4_PS7_PS2_SD_SE_SC_, .Lfunc_end17-_ZN9rocsparseL21csr2bsr_65_inf_kernelILj32EiliEEv20rocsparse_direction_T2_S2_S2_S2_S2_S2_21rocsparse_index_base_PKT0_PKT1_PKS2_S3_PS4_PS7_PS2_SD_SE_SC_
                                        ; -- End function
	.set _ZN9rocsparseL21csr2bsr_65_inf_kernelILj32EiliEEv20rocsparse_direction_T2_S2_S2_S2_S2_S2_21rocsparse_index_base_PKT0_PKT1_PKS2_S3_PS4_PS7_PS2_SD_SE_SC_.num_vgpr, 38
	.set _ZN9rocsparseL21csr2bsr_65_inf_kernelILj32EiliEEv20rocsparse_direction_T2_S2_S2_S2_S2_S2_21rocsparse_index_base_PKT0_PKT1_PKS2_S3_PS4_PS7_PS2_SD_SE_SC_.num_agpr, 0
	.set _ZN9rocsparseL21csr2bsr_65_inf_kernelILj32EiliEEv20rocsparse_direction_T2_S2_S2_S2_S2_S2_21rocsparse_index_base_PKT0_PKT1_PKS2_S3_PS4_PS7_PS2_SD_SE_SC_.numbered_sgpr, 36
	.set _ZN9rocsparseL21csr2bsr_65_inf_kernelILj32EiliEEv20rocsparse_direction_T2_S2_S2_S2_S2_S2_21rocsparse_index_base_PKT0_PKT1_PKS2_S3_PS4_PS7_PS2_SD_SE_SC_.num_named_barrier, 0
	.set _ZN9rocsparseL21csr2bsr_65_inf_kernelILj32EiliEEv20rocsparse_direction_T2_S2_S2_S2_S2_S2_21rocsparse_index_base_PKT0_PKT1_PKS2_S3_PS4_PS7_PS2_SD_SE_SC_.private_seg_size, 0
	.set _ZN9rocsparseL21csr2bsr_65_inf_kernelILj32EiliEEv20rocsparse_direction_T2_S2_S2_S2_S2_S2_21rocsparse_index_base_PKT0_PKT1_PKS2_S3_PS4_PS7_PS2_SD_SE_SC_.uses_vcc, 1
	.set _ZN9rocsparseL21csr2bsr_65_inf_kernelILj32EiliEEv20rocsparse_direction_T2_S2_S2_S2_S2_S2_21rocsparse_index_base_PKT0_PKT1_PKS2_S3_PS4_PS7_PS2_SD_SE_SC_.uses_flat_scratch, 0
	.set _ZN9rocsparseL21csr2bsr_65_inf_kernelILj32EiliEEv20rocsparse_direction_T2_S2_S2_S2_S2_S2_21rocsparse_index_base_PKT0_PKT1_PKS2_S3_PS4_PS7_PS2_SD_SE_SC_.has_dyn_sized_stack, 0
	.set _ZN9rocsparseL21csr2bsr_65_inf_kernelILj32EiliEEv20rocsparse_direction_T2_S2_S2_S2_S2_S2_21rocsparse_index_base_PKT0_PKT1_PKS2_S3_PS4_PS7_PS2_SD_SE_SC_.has_recursion, 0
	.set _ZN9rocsparseL21csr2bsr_65_inf_kernelILj32EiliEEv20rocsparse_direction_T2_S2_S2_S2_S2_S2_21rocsparse_index_base_PKT0_PKT1_PKS2_S3_PS4_PS7_PS2_SD_SE_SC_.has_indirect_call, 0
	.section	.AMDGPU.csdata,"",@progbits
; Kernel info:
; codeLenInByte = 2124
; TotalNumSgprs: 38
; NumVgprs: 38
; ScratchSize: 0
; MemoryBound: 0
; FloatMode: 240
; IeeeMode: 1
; LDSByteSize: 0 bytes/workgroup (compile time only)
; SGPRBlocks: 0
; VGPRBlocks: 2
; NumSGPRsForWavesPerEU: 38
; NumVGPRsForWavesPerEU: 38
; NamedBarCnt: 0
; Occupancy: 16
; WaveLimiterHint : 0
; COMPUTE_PGM_RSRC2:SCRATCH_EN: 0
; COMPUTE_PGM_RSRC2:USER_SGPR: 2
; COMPUTE_PGM_RSRC2:TRAP_HANDLER: 0
; COMPUTE_PGM_RSRC2:TGID_X_EN: 1
; COMPUTE_PGM_RSRC2:TGID_Y_EN: 0
; COMPUTE_PGM_RSRC2:TGID_Z_EN: 0
; COMPUTE_PGM_RSRC2:TIDIG_COMP_CNT: 0
	.section	.text._ZN9rocsparseL35csr2bsr_block_dim_equals_one_kernelILj256EiilEEvT2_S1_S1_S1_21rocsparse_index_base_PKT0_PKT1_PKS1_S2_PS3_PS6_PS1_,"axG",@progbits,_ZN9rocsparseL35csr2bsr_block_dim_equals_one_kernelILj256EiilEEvT2_S1_S1_S1_21rocsparse_index_base_PKT0_PKT1_PKS1_S2_PS3_PS6_PS1_,comdat
	.globl	_ZN9rocsparseL35csr2bsr_block_dim_equals_one_kernelILj256EiilEEvT2_S1_S1_S1_21rocsparse_index_base_PKT0_PKT1_PKS1_S2_PS3_PS6_PS1_ ; -- Begin function _ZN9rocsparseL35csr2bsr_block_dim_equals_one_kernelILj256EiilEEvT2_S1_S1_S1_21rocsparse_index_base_PKT0_PKT1_PKS1_S2_PS3_PS6_PS1_
	.p2align	8
	.type	_ZN9rocsparseL35csr2bsr_block_dim_equals_one_kernelILj256EiilEEvT2_S1_S1_S1_21rocsparse_index_base_PKT0_PKT1_PKS1_S2_PS3_PS6_PS1_,@function
_ZN9rocsparseL35csr2bsr_block_dim_equals_one_kernelILj256EiilEEvT2_S1_S1_S1_21rocsparse_index_base_PKT0_PKT1_PKS1_S2_PS3_PS6_PS1_: ; @_ZN9rocsparseL35csr2bsr_block_dim_equals_one_kernelILj256EiilEEvT2_S1_S1_S1_21rocsparse_index_base_PKT0_PKT1_PKS1_S2_PS3_PS6_PS1_
; %bb.0:
	s_clause 0x1
	s_load_b64 s[2:3], s[0:1], 0x0
	s_load_b128 s[4:7], s[0:1], 0x28
	s_bfe_u32 s8, ttmp6, 0x4000c
	s_and_b32 s9, ttmp6, 15
	s_add_co_i32 s8, s8, 1
	s_getreg_b32 s10, hwreg(HW_REG_IB_STS2, 6, 4)
	s_mul_i32 s8, ttmp9, s8
	s_delay_alu instid0(SALU_CYCLE_1) | instskip(SKIP_2) | instid1(SALU_CYCLE_1)
	s_add_co_i32 s9, s9, s8
	s_cmp_eq_u32 s10, 0
	s_cselect_b32 s8, ttmp9, s9
	v_lshl_or_b32 v0, s8, 8, v0
	s_wait_kmcnt 0x0
	s_lshl_b64 s[2:3], s[2:3], 2
	s_delay_alu instid0(SALU_CYCLE_1)
	s_add_nc_u64 s[2:3], s[6:7], s[2:3]
	s_clause 0x1
	s_load_b32 s9, s[2:3], 0x0
	s_load_b32 s10, s[6:7], 0x0
	s_wait_xcnt 0x0
	s_mov_b32 s3, 0
	s_mov_b32 s2, exec_lo
	s_wait_kmcnt 0x0
	s_sub_co_i32 s11, s9, s10
	s_delay_alu instid0(SALU_CYCLE_1)
	v_cmpx_gt_i32_e64 s11, v0
	s_cbranch_execz .LBB18_3
; %bb.1:
	s_clause 0x3
	s_load_b96 s[8:10], s[0:1], 0x38
	s_load_b64 s[6:7], s[0:1], 0x48
	s_load_b32 s2, s[0:1], 0x20
	s_load_b96 s[12:14], s[0:1], 0x58
	s_wait_xcnt 0x0
	s_mov_b32 s1, s3
	s_wait_kmcnt 0x0
	s_mov_b32 s0, s10
	s_delay_alu instid0(SALU_CYCLE_1)
	s_sub_nc_u64 s[0:1], s[0:1], s[2:3]
	s_lshl_b32 s2, s14, 8
.LBB18_2:                               ; =>This Inner Loop Header: Depth=1
	s_clause 0x1
	global_load_b64 v[2:3], v0, s[8:9] scale_offset
	global_load_b32 v1, v0, s[4:5] scale_offset
	s_wait_loadcnt 0x1
	v_add_nc_u64_e32 v[2:3], s[0:1], v[2:3]
	global_store_b64 v0, v[2:3], s[12:13] scale_offset
	s_wait_loadcnt 0x0
	global_store_b32 v0, v1, s[6:7] scale_offset
	s_wait_xcnt 0x0
	v_add_nc_u32_e32 v0, s2, v0
	s_delay_alu instid0(VALU_DEP_1) | instskip(SKIP_1) | instid1(SALU_CYCLE_1)
	v_cmp_le_i32_e32 vcc_lo, s11, v0
	s_or_b32 s3, vcc_lo, s3
	s_and_not1_b32 exec_lo, exec_lo, s3
	s_cbranch_execnz .LBB18_2
.LBB18_3:
	s_endpgm
	.section	.rodata,"a",@progbits
	.p2align	6, 0x0
	.amdhsa_kernel _ZN9rocsparseL35csr2bsr_block_dim_equals_one_kernelILj256EiilEEvT2_S1_S1_S1_21rocsparse_index_base_PKT0_PKT1_PKS1_S2_PS3_PS6_PS1_
		.amdhsa_group_segment_fixed_size 0
		.amdhsa_private_segment_fixed_size 0
		.amdhsa_kernarg_size 352
		.amdhsa_user_sgpr_count 2
		.amdhsa_user_sgpr_dispatch_ptr 0
		.amdhsa_user_sgpr_queue_ptr 0
		.amdhsa_user_sgpr_kernarg_segment_ptr 1
		.amdhsa_user_sgpr_dispatch_id 0
		.amdhsa_user_sgpr_kernarg_preload_length 0
		.amdhsa_user_sgpr_kernarg_preload_offset 0
		.amdhsa_user_sgpr_private_segment_size 0
		.amdhsa_wavefront_size32 1
		.amdhsa_uses_dynamic_stack 0
		.amdhsa_enable_private_segment 0
		.amdhsa_system_sgpr_workgroup_id_x 1
		.amdhsa_system_sgpr_workgroup_id_y 0
		.amdhsa_system_sgpr_workgroup_id_z 0
		.amdhsa_system_sgpr_workgroup_info 0
		.amdhsa_system_vgpr_workitem_id 0
		.amdhsa_next_free_vgpr 4
		.amdhsa_next_free_sgpr 15
		.amdhsa_named_barrier_count 0
		.amdhsa_reserve_vcc 1
		.amdhsa_float_round_mode_32 0
		.amdhsa_float_round_mode_16_64 0
		.amdhsa_float_denorm_mode_32 3
		.amdhsa_float_denorm_mode_16_64 3
		.amdhsa_fp16_overflow 0
		.amdhsa_memory_ordered 1
		.amdhsa_forward_progress 1
		.amdhsa_inst_pref_size 3
		.amdhsa_round_robin_scheduling 0
		.amdhsa_exception_fp_ieee_invalid_op 0
		.amdhsa_exception_fp_denorm_src 0
		.amdhsa_exception_fp_ieee_div_zero 0
		.amdhsa_exception_fp_ieee_overflow 0
		.amdhsa_exception_fp_ieee_underflow 0
		.amdhsa_exception_fp_ieee_inexact 0
		.amdhsa_exception_int_div_zero 0
	.end_amdhsa_kernel
	.section	.text._ZN9rocsparseL35csr2bsr_block_dim_equals_one_kernelILj256EiilEEvT2_S1_S1_S1_21rocsparse_index_base_PKT0_PKT1_PKS1_S2_PS3_PS6_PS1_,"axG",@progbits,_ZN9rocsparseL35csr2bsr_block_dim_equals_one_kernelILj256EiilEEvT2_S1_S1_S1_21rocsparse_index_base_PKT0_PKT1_PKS1_S2_PS3_PS6_PS1_,comdat
.Lfunc_end18:
	.size	_ZN9rocsparseL35csr2bsr_block_dim_equals_one_kernelILj256EiilEEvT2_S1_S1_S1_21rocsparse_index_base_PKT0_PKT1_PKS1_S2_PS3_PS6_PS1_, .Lfunc_end18-_ZN9rocsparseL35csr2bsr_block_dim_equals_one_kernelILj256EiilEEvT2_S1_S1_S1_21rocsparse_index_base_PKT0_PKT1_PKS1_S2_PS3_PS6_PS1_
                                        ; -- End function
	.set _ZN9rocsparseL35csr2bsr_block_dim_equals_one_kernelILj256EiilEEvT2_S1_S1_S1_21rocsparse_index_base_PKT0_PKT1_PKS1_S2_PS3_PS6_PS1_.num_vgpr, 4
	.set _ZN9rocsparseL35csr2bsr_block_dim_equals_one_kernelILj256EiilEEvT2_S1_S1_S1_21rocsparse_index_base_PKT0_PKT1_PKS1_S2_PS3_PS6_PS1_.num_agpr, 0
	.set _ZN9rocsparseL35csr2bsr_block_dim_equals_one_kernelILj256EiilEEvT2_S1_S1_S1_21rocsparse_index_base_PKT0_PKT1_PKS1_S2_PS3_PS6_PS1_.numbered_sgpr, 15
	.set _ZN9rocsparseL35csr2bsr_block_dim_equals_one_kernelILj256EiilEEvT2_S1_S1_S1_21rocsparse_index_base_PKT0_PKT1_PKS1_S2_PS3_PS6_PS1_.num_named_barrier, 0
	.set _ZN9rocsparseL35csr2bsr_block_dim_equals_one_kernelILj256EiilEEvT2_S1_S1_S1_21rocsparse_index_base_PKT0_PKT1_PKS1_S2_PS3_PS6_PS1_.private_seg_size, 0
	.set _ZN9rocsparseL35csr2bsr_block_dim_equals_one_kernelILj256EiilEEvT2_S1_S1_S1_21rocsparse_index_base_PKT0_PKT1_PKS1_S2_PS3_PS6_PS1_.uses_vcc, 1
	.set _ZN9rocsparseL35csr2bsr_block_dim_equals_one_kernelILj256EiilEEvT2_S1_S1_S1_21rocsparse_index_base_PKT0_PKT1_PKS1_S2_PS3_PS6_PS1_.uses_flat_scratch, 0
	.set _ZN9rocsparseL35csr2bsr_block_dim_equals_one_kernelILj256EiilEEvT2_S1_S1_S1_21rocsparse_index_base_PKT0_PKT1_PKS1_S2_PS3_PS6_PS1_.has_dyn_sized_stack, 0
	.set _ZN9rocsparseL35csr2bsr_block_dim_equals_one_kernelILj256EiilEEvT2_S1_S1_S1_21rocsparse_index_base_PKT0_PKT1_PKS1_S2_PS3_PS6_PS1_.has_recursion, 0
	.set _ZN9rocsparseL35csr2bsr_block_dim_equals_one_kernelILj256EiilEEvT2_S1_S1_S1_21rocsparse_index_base_PKT0_PKT1_PKS1_S2_PS3_PS6_PS1_.has_indirect_call, 0
	.section	.AMDGPU.csdata,"",@progbits
; Kernel info:
; codeLenInByte = 300
; TotalNumSgprs: 17
; NumVgprs: 4
; ScratchSize: 0
; MemoryBound: 0
; FloatMode: 240
; IeeeMode: 1
; LDSByteSize: 0 bytes/workgroup (compile time only)
; SGPRBlocks: 0
; VGPRBlocks: 0
; NumSGPRsForWavesPerEU: 17
; NumVGPRsForWavesPerEU: 4
; NamedBarCnt: 0
; Occupancy: 16
; WaveLimiterHint : 0
; COMPUTE_PGM_RSRC2:SCRATCH_EN: 0
; COMPUTE_PGM_RSRC2:USER_SGPR: 2
; COMPUTE_PGM_RSRC2:TRAP_HANDLER: 0
; COMPUTE_PGM_RSRC2:TGID_X_EN: 1
; COMPUTE_PGM_RSRC2:TGID_Y_EN: 0
; COMPUTE_PGM_RSRC2:TGID_Z_EN: 0
; COMPUTE_PGM_RSRC2:TIDIG_COMP_CNT: 0
	.section	.text._ZN9rocsparseL42csr2bsr_wavefront_per_row_multipass_kernelILj256ELj16ELj4EiilEEv20rocsparse_direction_T4_S2_S2_S2_S2_21rocsparse_index_base_PKT2_PKT3_PKS2_S3_PS4_PS7_PS2_,"axG",@progbits,_ZN9rocsparseL42csr2bsr_wavefront_per_row_multipass_kernelILj256ELj16ELj4EiilEEv20rocsparse_direction_T4_S2_S2_S2_S2_21rocsparse_index_base_PKT2_PKT3_PKS2_S3_PS4_PS7_PS2_,comdat
	.globl	_ZN9rocsparseL42csr2bsr_wavefront_per_row_multipass_kernelILj256ELj16ELj4EiilEEv20rocsparse_direction_T4_S2_S2_S2_S2_21rocsparse_index_base_PKT2_PKT3_PKS2_S3_PS4_PS7_PS2_ ; -- Begin function _ZN9rocsparseL42csr2bsr_wavefront_per_row_multipass_kernelILj256ELj16ELj4EiilEEv20rocsparse_direction_T4_S2_S2_S2_S2_21rocsparse_index_base_PKT2_PKT3_PKS2_S3_PS4_PS7_PS2_
	.p2align	8
	.type	_ZN9rocsparseL42csr2bsr_wavefront_per_row_multipass_kernelILj256ELj16ELj4EiilEEv20rocsparse_direction_T4_S2_S2_S2_S2_21rocsparse_index_base_PKT2_PKT3_PKS2_S3_PS4_PS7_PS2_,@function
_ZN9rocsparseL42csr2bsr_wavefront_per_row_multipass_kernelILj256ELj16ELj4EiilEEv20rocsparse_direction_T4_S2_S2_S2_S2_21rocsparse_index_base_PKT2_PKT3_PKS2_S3_PS4_PS7_PS2_: ; @_ZN9rocsparseL42csr2bsr_wavefront_per_row_multipass_kernelILj256ELj16ELj4EiilEEv20rocsparse_direction_T4_S2_S2_S2_S2_21rocsparse_index_base_PKT2_PKT3_PKS2_S3_PS4_PS7_PS2_
; %bb.0:
	s_bfe_u32 s2, ttmp6, 0x4000c
	s_clause 0x1
	s_load_b96 s[8:10], s[0:1], 0x28
	s_load_b64 s[14:15], s[0:1], 0x40
	s_add_co_i32 s2, s2, 1
	s_and_b32 s3, ttmp6, 15
	s_mul_i32 s2, ttmp9, s2
	s_getreg_b32 s4, hwreg(HW_REG_IB_STS2, 6, 4)
	s_add_co_i32 s3, s3, s2
	s_cmp_eq_u32 s4, 0
	v_dual_mov_b32 v23, 0 :: v_dual_lshrrev_b32 v22, 4, v0
	s_cselect_b32 s12, ttmp9, s3
	v_bfe_u32 v8, v0, 2, 2
	s_ashr_i32 s13, s12, 31
	v_mov_b32_e32 v14, 0
	s_lshl_b64 s[2:3], s[12:13], 4
	s_delay_alu instid0(SALU_CYCLE_1) | instskip(SKIP_2) | instid1(VALU_DEP_1)
	v_dual_mov_b32 v9, v23 :: v_dual_bitop2_b32 v1, s2, v22 bitop3:0x54
	s_load_b128 s[4:7], s[0:1], 0x18
	s_wait_kmcnt 0x0
	v_mad_nc_u64_u32 v[2:3], v1, s8, v[8:9]
	s_delay_alu instid0(VALU_DEP_1) | instskip(SKIP_1) | instid1(VALU_DEP_1)
	v_mad_u32 v3, s3, s8, v3
	s_load_b64 s[2:3], s[0:1], 0x8
	v_mad_u32 v3, v1, s9, v3
	s_wait_kmcnt 0x0
	s_delay_alu instid0(VALU_DEP_1) | instskip(SKIP_2) | instid1(SALU_CYCLE_1)
	v_cmp_gt_i64_e32 vcc_lo, s[2:3], v[2:3]
	v_cmp_gt_i64_e64 s2, s[8:9], v[8:9]
	s_and_b32 s3, s2, vcc_lo
	s_and_saveexec_b32 s11, s3
	s_cbranch_execz .LBB19_2
; %bb.1:
	v_lshl_add_u64 v[4:5], v[2:3], 2, s[14:15]
	global_load_b32 v1, v[4:5], off
	s_wait_loadcnt 0x0
	v_subrev_nc_u32_e32 v14, s10, v1
.LBB19_2:
	s_or_b32 exec_lo, exec_lo, s11
	s_and_saveexec_b32 s11, s3
	s_cbranch_execz .LBB19_4
; %bb.3:
	v_lshl_add_u64 v[2:3], v[2:3], 2, s[14:15]
	global_load_b32 v1, v[2:3], off offset:4
	s_wait_loadcnt 0x0
	v_subrev_nc_u32_e32 v23, s10, v1
.LBB19_4:
	s_or_b32 exec_lo, exec_lo, s11
	s_load_b32 s22, s[0:1], 0x50
	v_mov_b32_e32 v5, 0
	v_lshl_or_b32 v4, s12, 4, v22
	s_mov_b32 s3, exec_lo
	s_delay_alu instid0(VALU_DEP_2) | instskip(NEXT) | instid1(VALU_DEP_2)
	v_mov_b32_e32 v2, v5
	v_cmpx_gt_i64_e64 s[4:5], v[4:5]
	s_cbranch_execz .LBB19_6
; %bb.5:
	s_load_b64 s[4:5], s[0:1], 0x60
	s_wait_kmcnt 0x0
	v_lshl_add_u64 v[2:3], v[4:5], 2, s[4:5]
	global_load_b32 v1, v[2:3], off
	s_wait_loadcnt 0x0
	v_subrev_nc_u32_e32 v2, s22, v1
.LBB19_6:
	s_or_b32 exec_lo, exec_lo, s3
	v_cmp_lt_i64_e64 s3, s[6:7], 1
	s_and_b32 vcc_lo, exec_lo, s3
	s_cbranch_vccnz .LBB19_28
; %bb.7:
	v_dual_mov_b32 v4, 0 :: v_dual_bitop2_b32 v6, 3, v0 bitop3:0x40
	v_mul_u64_e32 v[10:11], s[8:9], v[8:9]
	s_clause 0x3
	s_load_b64 s[14:15], s[0:1], 0x48
	s_load_b64 s[18:19], s[0:1], 0x58
	s_load_b64 s[16:17], s[0:1], 0x38
	s_load_b32 s3, s[0:1], 0x0
	v_and_b32_e32 v0, 0x3f0, v0
	v_dual_mov_b32 v7, v4 :: v_dual_lshlrev_b32 v1, 4, v8
	v_mbcnt_lo_u32_b32 v3, -1, 0
	s_load_b64 s[4:5], s[0:1], 0x68
	v_lshlrev_b32_e32 v8, 2, v8
	s_delay_alu instid0(VALU_DEP_3) | instskip(SKIP_4) | instid1(VALU_DEP_3)
	v_mul_u64_e32 v[12:13], s[8:9], v[6:7]
	v_lshl_or_b32 v24, v0, 2, v1
	v_dual_lshlrev_b32 v16, 2, v3 :: v_dual_bitop2_b32 v5, 2, v3 bitop3:0x14
	v_dual_mov_b32 v1, v4 :: v_dual_bitop2_b32 v17, 8, v3 bitop3:0x14
	v_dual_mov_b32 v9, v4 :: v_dual_bitop2_b32 v15, 1, v3 bitop3:0x14
	v_cmp_gt_i32_e32 vcc_lo, 32, v5
	v_xor_b32_e32 v18, 4, v3
	s_wait_xcnt 0x0
	v_cmp_gt_i32_e64 s0, 32, v17
	v_dual_lshlrev_b32 v0, 2, v6 :: v_dual_bitop2_b32 v26, 12, v16 bitop3:0x54
	v_cndmask_b32_e32 v5, v3, v5, vcc_lo
	v_cmp_gt_i32_e32 vcc_lo, 32, v15
	s_delay_alu instid0(VALU_DEP_4) | instskip(SKIP_4) | instid1(VALU_DEP_4)
	v_cndmask_b32_e64 v17, v3, v17, s0
	v_cmp_gt_i32_e64 s0, 32, v18
	v_dual_mov_b32 v31, 1 :: v_dual_bitop2_b32 v25, v24, v0 bitop3:0x54
	v_cndmask_b32_e32 v15, v3, v15, vcc_lo
	v_cmp_gt_u64_e32 vcc_lo, s[8:9], v[6:7]
	v_dual_cndmask_b32 v3, v3, v18, s0 :: v_dual_lshlrev_b32 v7, 2, v5
	s_delay_alu instid0(VALU_DEP_3) | instskip(SKIP_2) | instid1(VALU_DEP_3)
	v_dual_lshlrev_b32 v28, 2, v17 :: v_dual_lshlrev_b32 v27, 2, v15
	s_wait_kmcnt 0x0
	v_lshl_add_u64 v[10:11], v[10:11], 2, s[18:19]
	v_dual_lshlrev_b32 v29, 2, v3 :: v_dual_bitop2_b32 v30, 60, v16 bitop3:0x54
	v_mov_b32_e32 v3, 0
	s_mov_b32 s1, 0
	s_delay_alu instid0(VALU_DEP_3)
	v_add_nc_u64_e32 v[0:1], v[10:11], v[0:1]
	s_cmp_lg_u32 s3, 0
	v_lshl_add_u64 v[12:13], v[12:13], 2, s[18:19]
	s_mul_u64 s[12:13], s[8:9], s[8:9]
	s_mov_b32 s11, s1
	s_cselect_b32 s23, -1, 0
	s_and_b32 s24, s2, vcc_lo
	v_add_nc_u64_e32 v[8:9], v[12:13], v[8:9]
	v_mov_b64_e32 v[12:13], 0
	s_mov_b64 s[2:3], 0xffffffff
	s_ashr_i32 s18, s9, 31
	s_sub_co_i32 s25, 0, s8
	s_mov_b32 s26, 0
	s_branch .LBB19_10
.LBB19_8:                               ;   in Loop: Header=BB19_10 Depth=1
	s_wait_xcnt 0x0
	s_or_b32 exec_lo, exec_lo, s19
	v_mov_b32_e32 v5, 1
.LBB19_9:                               ;   in Loop: Header=BB19_10 Depth=1
	s_or_b32 exec_lo, exec_lo, s0
	ds_bpermute_b32 v12, v28, v10
	ds_bpermute_b32 v13, v28, v11
	s_wait_storecnt_dscnt 0x0
	v_add_nc_u32_e32 v2, v5, v2
	v_min_i64 v[10:11], v[12:13], v[10:11]
	ds_bpermute_b32 v12, v29, v10
	ds_bpermute_b32 v13, v29, v11
	s_wait_dscnt 0x0
	v_min_i64 v[10:11], v[12:13], v[10:11]
	ds_bpermute_b32 v12, v7, v10
	ds_bpermute_b32 v13, v7, v11
	s_wait_dscnt 0x0
	;; [unrolled: 4-line block ×3, first 2 shown]
	v_min_i64 v[10:11], v[12:13], v[10:11]
	ds_bpermute_b32 v12, v30, v10
	s_wait_dscnt 0x0
	v_dual_ashrrev_i32 v13, 31, v12 :: v_dual_mov_b32 v3, v12
	s_delay_alu instid0(VALU_DEP_1) | instskip(SKIP_1) | instid1(SALU_CYCLE_1)
	v_cmp_le_i64_e32 vcc_lo, s[6:7], v[12:13]
	s_or_b32 s26, vcc_lo, s26
	s_and_not1_b32 exec_lo, exec_lo, s26
	s_cbranch_execz .LBB19_28
.LBB19_10:                              ; =>This Loop Header: Depth=1
                                        ;     Child Loop BB19_13 Depth 2
	v_mov_b64_e32 v[10:11], s[6:7]
	v_dual_mov_b32 v5, v23 :: v_dual_add_nc_u32 v14, v14, v6
	s_mov_b32 s27, exec_lo
	ds_store_b8 v22, v4 offset:1024
	ds_store_b32 v25, v4
	s_wait_dscnt 0x0
	v_cmpx_lt_i32_e64 v14, v23
	s_cbranch_execz .LBB19_22
; %bb.11:                               ;   in Loop: Header=BB19_10 Depth=1
	v_mul_u64_e32 v[16:17], s[8:9], v[12:13]
	v_mov_b64_e32 v[10:11], s[6:7]
	v_mov_b32_e32 v17, v23
	s_mov_b32 s28, 0
	s_branch .LBB19_13
.LBB19_12:                              ;   in Loop: Header=BB19_13 Depth=2
	s_wait_xcnt 0x0
	s_or_b32 exec_lo, exec_lo, s0
	v_dual_mov_b32 v17, v5 :: v_dual_add_nc_u32 v14, 4, v14
	s_xor_b32 s19, vcc_lo, -1
	s_delay_alu instid0(VALU_DEP_1) | instskip(SKIP_1) | instid1(SALU_CYCLE_1)
	v_cmp_ge_i32_e64 s0, v14, v23
	s_or_b32 s0, s19, s0
	s_and_b32 s0, exec_lo, s0
	s_delay_alu instid0(SALU_CYCLE_1) | instskip(NEXT) | instid1(SALU_CYCLE_1)
	s_or_b32 s28, s0, s28
	s_and_not1_b32 exec_lo, exec_lo, s28
	s_cbranch_execz .LBB19_21
.LBB19_13:                              ;   Parent Loop BB19_10 Depth=1
                                        ; =>  This Inner Loop Header: Depth=2
	global_load_b64 v[18:19], v14, s[14:15] scale_offset
                                        ; implicit-def: $vgpr20_vgpr21
	s_mov_b32 s0, exec_lo
	s_wait_loadcnt 0x0
	v_sub_nc_u64_e64 v[18:19], v[18:19], s[10:11]
	s_delay_alu instid0(VALU_DEP_1) | instskip(SKIP_1) | instid1(VALU_DEP_1)
	v_or_b32_e32 v5, s9, v19
	s_wait_xcnt 0x0
	v_cmpx_ne_u64_e32 0, v[4:5]
	s_xor_b32 s29, exec_lo, s0
	s_cbranch_execz .LBB19_15
; %bb.14:                               ;   in Loop: Header=BB19_13 Depth=2
	s_mov_b32 s19, s18
	v_dual_mov_b32 v35, v4 :: v_dual_ashrrev_i32 v20, 31, v19
	s_add_nc_u64 s[20:21], s[8:9], s[18:19]
	v_mov_b32_e32 v39, v4
	s_xor_b64 s[20:21], s[20:21], s[18:19]
	s_delay_alu instid0(VALU_DEP_2)
	v_mov_b32_e32 v21, v20
	s_cvt_f32_u32 s0, s20
	s_cvt_f32_u32 s19, s21
	s_sub_nc_u64 s[34:35], 0, s[20:21]
	v_mov_b32_e32 v43, v4
	v_add_nc_u64_e32 v[32:33], v[18:19], v[20:21]
	s_fmamk_f32 s0, s19, 0x4f800000, s0
	s_delay_alu instid0(SALU_CYCLE_3) | instskip(NEXT) | instid1(VALU_DEP_1)
	v_s_rcp_f32 s0, s0
	v_xor_b32_e32 v38, v33, v20
	s_delay_alu instid0(VALU_DEP_2) | instskip(SKIP_1) | instid1(TRANS32_DEP_1)
	v_xor_b32_e32 v34, v32, v20
	v_xor_b32_e32 v20, s18, v20
	s_mul_f32 s0, s0, 0x5f7ffffc
	s_delay_alu instid0(SALU_CYCLE_3) | instskip(NEXT) | instid1(SALU_CYCLE_3)
	s_mul_f32 s19, s0, 0x2f800000
	s_trunc_f32 s19, s19
	s_delay_alu instid0(SALU_CYCLE_3) | instskip(SKIP_1) | instid1(SALU_CYCLE_2)
	s_fmamk_f32 s0, s19, 0xcf800000, s0
	s_cvt_u32_f32 s31, s19
	s_cvt_u32_f32 s30, s0
	s_delay_alu instid0(SALU_CYCLE_3) | instskip(NEXT) | instid1(SALU_CYCLE_1)
	s_mul_u64 s[36:37], s[34:35], s[30:31]
	s_mul_hi_u32 s39, s30, s37
	s_mul_i32 s38, s30, s37
	s_mul_hi_u32 s0, s30, s36
	s_mul_i32 s33, s31, s36
	s_add_nc_u64 s[38:39], s[0:1], s[38:39]
	s_mul_hi_u32 s19, s31, s36
	s_mul_hi_u32 s40, s31, s37
	s_add_co_u32 s0, s38, s33
	s_add_co_ci_u32 s0, s39, s19
	s_mul_i32 s36, s31, s37
	s_add_co_ci_u32 s37, s40, 0
	s_delay_alu instid0(SALU_CYCLE_1) | instskip(NEXT) | instid1(SALU_CYCLE_1)
	s_add_nc_u64 s[36:37], s[0:1], s[36:37]
	s_add_co_u32 s30, s30, s36
	s_cselect_b32 s0, -1, 0
	s_delay_alu instid0(SALU_CYCLE_1) | instskip(SKIP_1) | instid1(SALU_CYCLE_1)
	s_cmp_lg_u32 s0, 0
	s_add_co_ci_u32 s31, s31, s37
	s_mul_u64 s[34:35], s[34:35], s[30:31]
	s_delay_alu instid0(SALU_CYCLE_1)
	s_mul_hi_u32 s37, s30, s35
	s_mul_i32 s36, s30, s35
	s_mul_hi_u32 s0, s30, s34
	s_mul_i32 s33, s31, s34
	s_add_nc_u64 s[36:37], s[0:1], s[36:37]
	s_mul_hi_u32 s19, s31, s34
	s_mul_hi_u32 s38, s31, s35
	s_add_co_u32 s0, s36, s33
	s_add_co_ci_u32 s0, s37, s19
	s_mul_i32 s34, s31, s35
	s_add_co_ci_u32 s35, s38, 0
	s_delay_alu instid0(SALU_CYCLE_1) | instskip(NEXT) | instid1(SALU_CYCLE_1)
	s_add_nc_u64 s[34:35], s[0:1], s[34:35]
	s_add_co_u32 s30, s30, s34
	s_cselect_b32 s0, -1, 0
	v_mul_hi_u32 v42, v34, s30
	s_cmp_lg_u32 s0, 0
	s_add_co_ci_u32 s0, s31, s35
	s_and_b64 s[34:35], s[30:31], s[2:3]
	v_mul_u64_e32 v[36:37], s[0:1], v[34:35]
	v_mul_u64_e32 v[32:33], s[34:35], v[38:39]
	v_mul_u64_e32 v[40:41], s[0:1], v[38:39]
	s_delay_alu instid0(VALU_DEP_3) | instskip(NEXT) | instid1(VALU_DEP_1)
	v_add_nc_u64_e32 v[36:37], v[42:43], v[36:37]
	v_add_co_u32 v5, vcc_lo, v36, v32
	s_delay_alu instid0(VALU_DEP_2) | instskip(NEXT) | instid1(VALU_DEP_4)
	v_add_co_ci_u32_e32 v42, vcc_lo, v37, v33, vcc_lo
	v_add_co_ci_u32_e32 v41, vcc_lo, 0, v41, vcc_lo
	s_delay_alu instid0(VALU_DEP_1) | instskip(NEXT) | instid1(VALU_DEP_1)
	v_add_nc_u64_e32 v[32:33], v[42:43], v[40:41]
	v_mul_u64_e32 v[36:37], s[20:21], v[32:33]
	s_delay_alu instid0(VALU_DEP_1) | instskip(NEXT) | instid1(VALU_DEP_2)
	v_sub_nc_u32_e32 v5, v38, v37
	v_sub_co_u32 v15, vcc_lo, v34, v36
	s_delay_alu instid0(VALU_DEP_1) | instskip(NEXT) | instid1(VALU_DEP_3)
	v_sub_co_ci_u32_e64 v21, null, v38, v37, vcc_lo
	v_subrev_co_ci_u32_e64 v5, null, s21, v5, vcc_lo
	s_delay_alu instid0(VALU_DEP_3) | instskip(SKIP_1) | instid1(VALU_DEP_3)
	v_sub_co_u32 v19, s0, v15, s20
	v_add_nc_u64_e32 v[36:37], 1, v[32:33]
	v_subrev_co_ci_u32_e64 v5, null, 0, v5, s0
	s_delay_alu instid0(VALU_DEP_3) | instskip(SKIP_1) | instid1(VALU_DEP_3)
	v_cmp_le_u32_e32 vcc_lo, s20, v19
	v_cndmask_b32_e64 v19, 0, -1, vcc_lo
	v_cmp_le_u32_e32 vcc_lo, s21, v5
	v_cndmask_b32_e64 v34, 0, -1, vcc_lo
	;; [unrolled: 2-line block ×4, first 2 shown]
	v_cmp_eq_u32_e32 vcc_lo, s21, v5
	v_cndmask_b32_e32 v5, v34, v19, vcc_lo
	v_cmp_eq_u32_e32 vcc_lo, s21, v21
	v_add_nc_u64_e32 v[34:35], 2, v[32:33]
	v_dual_mov_b32 v21, v20 :: v_dual_cndmask_b32 v15, v38, v15, vcc_lo
	s_delay_alu instid0(VALU_DEP_4) | instskip(NEXT) | instid1(VALU_DEP_2)
	v_cmp_ne_u32_e32 vcc_lo, 0, v5
	v_cmp_ne_u32_e64 s0, 0, v15
	s_delay_alu instid0(VALU_DEP_4) | instskip(NEXT) | instid1(VALU_DEP_1)
	v_dual_cndmask_b32 v5, v37, v35, vcc_lo :: v_dual_cndmask_b32 v15, v36, v34, vcc_lo
	v_dual_cndmask_b32 v5, v33, v5, s0 :: v_dual_cndmask_b32 v15, v32, v15, s0
	s_delay_alu instid0(VALU_DEP_1) | instskip(NEXT) | instid1(VALU_DEP_2)
	v_xor_b32_e32 v33, v5, v20
	v_xor_b32_e32 v32, v15, v20
	s_delay_alu instid0(VALU_DEP_1)
	v_sub_nc_u64_e32 v[20:21], v[32:33], v[20:21]
.LBB19_15:                              ;   in Loop: Header=BB19_13 Depth=2
	s_and_not1_saveexec_b32 s0, s29
	s_cbranch_execz .LBB19_17
; %bb.16:                               ;   in Loop: Header=BB19_13 Depth=2
	v_cvt_f32_u32_e32 v5, s8
	v_mov_b32_e32 v21, v4
	s_delay_alu instid0(VALU_DEP_2) | instskip(SKIP_1) | instid1(TRANS32_DEP_1)
	v_rcp_iflag_f32_e32 v5, v5
	v_nop
	v_mul_f32_e32 v5, 0x4f7ffffe, v5
	s_delay_alu instid0(VALU_DEP_1) | instskip(NEXT) | instid1(VALU_DEP_1)
	v_cvt_u32_f32_e32 v5, v5
	v_mul_lo_u32 v15, s25, v5
	s_delay_alu instid0(VALU_DEP_1) | instskip(NEXT) | instid1(VALU_DEP_1)
	v_mul_hi_u32 v15, v5, v15
	v_add_nc_u32_e32 v5, v5, v15
	s_delay_alu instid0(VALU_DEP_1) | instskip(NEXT) | instid1(VALU_DEP_1)
	v_mul_hi_u32 v5, v18, v5
	v_mul_lo_u32 v15, v5, s8
	s_delay_alu instid0(VALU_DEP_1) | instskip(NEXT) | instid1(VALU_DEP_1)
	v_sub_nc_u32_e32 v15, v18, v15
	v_subrev_nc_u32_e32 v20, s8, v15
	v_cmp_le_u32_e32 vcc_lo, s8, v15
	s_delay_alu instid0(VALU_DEP_2) | instskip(NEXT) | instid1(VALU_DEP_1)
	v_dual_add_nc_u32 v19, 1, v5 :: v_dual_cndmask_b32 v15, v15, v20, vcc_lo
	v_cndmask_b32_e32 v5, v5, v19, vcc_lo
	s_delay_alu instid0(VALU_DEP_2) | instskip(NEXT) | instid1(VALU_DEP_2)
	v_cmp_le_u32_e32 vcc_lo, s8, v15
	v_add_nc_u32_e32 v19, 1, v5
	s_delay_alu instid0(VALU_DEP_1)
	v_cndmask_b32_e32 v20, v5, v19, vcc_lo
.LBB19_17:                              ;   in Loop: Header=BB19_13 Depth=2
	s_or_b32 exec_lo, exec_lo, s0
	s_delay_alu instid0(VALU_DEP_1) | instskip(SKIP_2) | instid1(SALU_CYCLE_1)
	v_cmp_ne_u64_e64 s0, v[20:21], v[12:13]
	v_cmp_eq_u64_e32 vcc_lo, v[20:21], v[12:13]
	s_and_saveexec_b32 s19, s0
	s_xor_b32 s0, exec_lo, s19
; %bb.18:                               ;   in Loop: Header=BB19_13 Depth=2
	v_min_i64 v[10:11], v[20:21], v[10:11]
                                        ; implicit-def: $vgpr18_vgpr19
                                        ; implicit-def: $vgpr17
; %bb.19:                               ;   in Loop: Header=BB19_13 Depth=2
	s_or_saveexec_b32 s0, s0
	v_mov_b32_e32 v5, v14
	s_xor_b32 exec_lo, exec_lo, s0
	s_cbranch_execz .LBB19_12
; %bb.20:                               ;   in Loop: Header=BB19_13 Depth=2
	v_dual_ashrrev_i32 v15, 31, v14 :: v_dual_sub_nc_u32 v5, v18, v16
	s_delay_alu instid0(VALU_DEP_1) | instskip(NEXT) | instid1(VALU_DEP_2)
	v_lshl_add_u64 v[20:21], v[14:15], 2, s[16:17]
	v_lshl_add_u32 v18, v5, 2, v24
	v_mov_b32_e32 v5, v17
	global_load_b32 v15, v[20:21], off
	ds_store_b8 v22, v31 offset:1024
	s_wait_loadcnt 0x0
	ds_store_b32 v18, v15
	s_branch .LBB19_12
.LBB19_21:                              ;   in Loop: Header=BB19_10 Depth=1
	s_or_b32 exec_lo, exec_lo, s28
.LBB19_22:                              ;   in Loop: Header=BB19_10 Depth=1
	s_delay_alu instid0(SALU_CYCLE_1)
	s_or_b32 exec_lo, exec_lo, s27
	ds_bpermute_b32 v12, v7, v5
	s_wait_dscnt 0x0
	ds_load_u8 v13, v22 offset:1024
	v_min_i32_e32 v5, v12, v5
	ds_bpermute_b32 v12, v27, v5
	s_wait_dscnt 0x0
	v_min_i32_e32 v5, v12, v5
	ds_bpermute_b32 v14, v26, v5
	v_and_b32_e32 v5, 1, v13
	s_delay_alu instid0(VALU_DEP_1)
	v_cmp_eq_u32_e32 vcc_lo, 1, v5
	v_mov_b32_e32 v5, 0
	s_and_saveexec_b32 s0, vcc_lo
	s_cbranch_execz .LBB19_9
; %bb.23:                               ;   in Loop: Header=BB19_10 Depth=1
	v_add_nc_u32_e32 v12, s22, v3
	s_delay_alu instid0(VALU_DEP_1)
	v_ashrrev_i32_e32 v13, 31, v12
	global_store_b64 v2, v[12:13], s[4:5] scale_offset
	s_wait_xcnt 0x0
	s_and_saveexec_b32 s19, s24
	s_cbranch_execz .LBB19_8
; %bb.24:                               ;   in Loop: Header=BB19_10 Depth=1
	v_ashrrev_i32_e32 v3, 31, v2
	s_and_b32 vcc_lo, exec_lo, s23
	s_delay_alu instid0(VALU_DEP_1)
	v_mul_u64_e32 v[12:13], s[12:13], v[2:3]
	ds_load_b32 v3, v25
	s_cbranch_vccz .LBB19_26
; %bb.25:                               ;   in Loop: Header=BB19_10 Depth=1
	v_lshl_add_u64 v[16:17], v[12:13], 2, v[8:9]
	s_wait_dscnt 0x0
	global_store_b32 v[16:17], v3, off
	s_cbranch_execnz .LBB19_8
	s_branch .LBB19_27
.LBB19_26:                              ;   in Loop: Header=BB19_10 Depth=1
.LBB19_27:                              ;   in Loop: Header=BB19_10 Depth=1
	v_lshl_add_u64 v[12:13], v[12:13], 2, v[0:1]
	s_wait_dscnt 0x0
	global_store_b32 v[12:13], v3, off
	s_branch .LBB19_8
.LBB19_28:
	s_endpgm
	.section	.rodata,"a",@progbits
	.p2align	6, 0x0
	.amdhsa_kernel _ZN9rocsparseL42csr2bsr_wavefront_per_row_multipass_kernelILj256ELj16ELj4EiilEEv20rocsparse_direction_T4_S2_S2_S2_S2_21rocsparse_index_base_PKT2_PKT3_PKS2_S3_PS4_PS7_PS2_
		.amdhsa_group_segment_fixed_size 1040
		.amdhsa_private_segment_fixed_size 0
		.amdhsa_kernarg_size 112
		.amdhsa_user_sgpr_count 2
		.amdhsa_user_sgpr_dispatch_ptr 0
		.amdhsa_user_sgpr_queue_ptr 0
		.amdhsa_user_sgpr_kernarg_segment_ptr 1
		.amdhsa_user_sgpr_dispatch_id 0
		.amdhsa_user_sgpr_kernarg_preload_length 0
		.amdhsa_user_sgpr_kernarg_preload_offset 0
		.amdhsa_user_sgpr_private_segment_size 0
		.amdhsa_wavefront_size32 1
		.amdhsa_uses_dynamic_stack 0
		.amdhsa_enable_private_segment 0
		.amdhsa_system_sgpr_workgroup_id_x 1
		.amdhsa_system_sgpr_workgroup_id_y 0
		.amdhsa_system_sgpr_workgroup_id_z 0
		.amdhsa_system_sgpr_workgroup_info 0
		.amdhsa_system_vgpr_workitem_id 0
		.amdhsa_next_free_vgpr 44
		.amdhsa_next_free_sgpr 41
		.amdhsa_named_barrier_count 0
		.amdhsa_reserve_vcc 1
		.amdhsa_float_round_mode_32 0
		.amdhsa_float_round_mode_16_64 0
		.amdhsa_float_denorm_mode_32 3
		.amdhsa_float_denorm_mode_16_64 3
		.amdhsa_fp16_overflow 0
		.amdhsa_memory_ordered 1
		.amdhsa_forward_progress 1
		.amdhsa_inst_pref_size 17
		.amdhsa_round_robin_scheduling 0
		.amdhsa_exception_fp_ieee_invalid_op 0
		.amdhsa_exception_fp_denorm_src 0
		.amdhsa_exception_fp_ieee_div_zero 0
		.amdhsa_exception_fp_ieee_overflow 0
		.amdhsa_exception_fp_ieee_underflow 0
		.amdhsa_exception_fp_ieee_inexact 0
		.amdhsa_exception_int_div_zero 0
	.end_amdhsa_kernel
	.section	.text._ZN9rocsparseL42csr2bsr_wavefront_per_row_multipass_kernelILj256ELj16ELj4EiilEEv20rocsparse_direction_T4_S2_S2_S2_S2_21rocsparse_index_base_PKT2_PKT3_PKS2_S3_PS4_PS7_PS2_,"axG",@progbits,_ZN9rocsparseL42csr2bsr_wavefront_per_row_multipass_kernelILj256ELj16ELj4EiilEEv20rocsparse_direction_T4_S2_S2_S2_S2_21rocsparse_index_base_PKT2_PKT3_PKS2_S3_PS4_PS7_PS2_,comdat
.Lfunc_end19:
	.size	_ZN9rocsparseL42csr2bsr_wavefront_per_row_multipass_kernelILj256ELj16ELj4EiilEEv20rocsparse_direction_T4_S2_S2_S2_S2_21rocsparse_index_base_PKT2_PKT3_PKS2_S3_PS4_PS7_PS2_, .Lfunc_end19-_ZN9rocsparseL42csr2bsr_wavefront_per_row_multipass_kernelILj256ELj16ELj4EiilEEv20rocsparse_direction_T4_S2_S2_S2_S2_21rocsparse_index_base_PKT2_PKT3_PKS2_S3_PS4_PS7_PS2_
                                        ; -- End function
	.set _ZN9rocsparseL42csr2bsr_wavefront_per_row_multipass_kernelILj256ELj16ELj4EiilEEv20rocsparse_direction_T4_S2_S2_S2_S2_21rocsparse_index_base_PKT2_PKT3_PKS2_S3_PS4_PS7_PS2_.num_vgpr, 44
	.set _ZN9rocsparseL42csr2bsr_wavefront_per_row_multipass_kernelILj256ELj16ELj4EiilEEv20rocsparse_direction_T4_S2_S2_S2_S2_21rocsparse_index_base_PKT2_PKT3_PKS2_S3_PS4_PS7_PS2_.num_agpr, 0
	.set _ZN9rocsparseL42csr2bsr_wavefront_per_row_multipass_kernelILj256ELj16ELj4EiilEEv20rocsparse_direction_T4_S2_S2_S2_S2_21rocsparse_index_base_PKT2_PKT3_PKS2_S3_PS4_PS7_PS2_.numbered_sgpr, 41
	.set _ZN9rocsparseL42csr2bsr_wavefront_per_row_multipass_kernelILj256ELj16ELj4EiilEEv20rocsparse_direction_T4_S2_S2_S2_S2_21rocsparse_index_base_PKT2_PKT3_PKS2_S3_PS4_PS7_PS2_.num_named_barrier, 0
	.set _ZN9rocsparseL42csr2bsr_wavefront_per_row_multipass_kernelILj256ELj16ELj4EiilEEv20rocsparse_direction_T4_S2_S2_S2_S2_21rocsparse_index_base_PKT2_PKT3_PKS2_S3_PS4_PS7_PS2_.private_seg_size, 0
	.set _ZN9rocsparseL42csr2bsr_wavefront_per_row_multipass_kernelILj256ELj16ELj4EiilEEv20rocsparse_direction_T4_S2_S2_S2_S2_21rocsparse_index_base_PKT2_PKT3_PKS2_S3_PS4_PS7_PS2_.uses_vcc, 1
	.set _ZN9rocsparseL42csr2bsr_wavefront_per_row_multipass_kernelILj256ELj16ELj4EiilEEv20rocsparse_direction_T4_S2_S2_S2_S2_21rocsparse_index_base_PKT2_PKT3_PKS2_S3_PS4_PS7_PS2_.uses_flat_scratch, 0
	.set _ZN9rocsparseL42csr2bsr_wavefront_per_row_multipass_kernelILj256ELj16ELj4EiilEEv20rocsparse_direction_T4_S2_S2_S2_S2_21rocsparse_index_base_PKT2_PKT3_PKS2_S3_PS4_PS7_PS2_.has_dyn_sized_stack, 0
	.set _ZN9rocsparseL42csr2bsr_wavefront_per_row_multipass_kernelILj256ELj16ELj4EiilEEv20rocsparse_direction_T4_S2_S2_S2_S2_21rocsparse_index_base_PKT2_PKT3_PKS2_S3_PS4_PS7_PS2_.has_recursion, 0
	.set _ZN9rocsparseL42csr2bsr_wavefront_per_row_multipass_kernelILj256ELj16ELj4EiilEEv20rocsparse_direction_T4_S2_S2_S2_S2_21rocsparse_index_base_PKT2_PKT3_PKS2_S3_PS4_PS7_PS2_.has_indirect_call, 0
	.section	.AMDGPU.csdata,"",@progbits
; Kernel info:
; codeLenInByte = 2096
; TotalNumSgprs: 43
; NumVgprs: 44
; ScratchSize: 0
; MemoryBound: 0
; FloatMode: 240
; IeeeMode: 1
; LDSByteSize: 1040 bytes/workgroup (compile time only)
; SGPRBlocks: 0
; VGPRBlocks: 2
; NumSGPRsForWavesPerEU: 43
; NumVGPRsForWavesPerEU: 44
; NamedBarCnt: 0
; Occupancy: 16
; WaveLimiterHint : 0
; COMPUTE_PGM_RSRC2:SCRATCH_EN: 0
; COMPUTE_PGM_RSRC2:USER_SGPR: 2
; COMPUTE_PGM_RSRC2:TRAP_HANDLER: 0
; COMPUTE_PGM_RSRC2:TGID_X_EN: 1
; COMPUTE_PGM_RSRC2:TGID_Y_EN: 0
; COMPUTE_PGM_RSRC2:TGID_Z_EN: 0
; COMPUTE_PGM_RSRC2:TIDIG_COMP_CNT: 0
	.section	.text._ZN9rocsparseL42csr2bsr_wavefront_per_row_multipass_kernelILj256ELj64ELj8EiilEEv20rocsparse_direction_T4_S2_S2_S2_S2_21rocsparse_index_base_PKT2_PKT3_PKS2_S3_PS4_PS7_PS2_,"axG",@progbits,_ZN9rocsparseL42csr2bsr_wavefront_per_row_multipass_kernelILj256ELj64ELj8EiilEEv20rocsparse_direction_T4_S2_S2_S2_S2_21rocsparse_index_base_PKT2_PKT3_PKS2_S3_PS4_PS7_PS2_,comdat
	.globl	_ZN9rocsparseL42csr2bsr_wavefront_per_row_multipass_kernelILj256ELj64ELj8EiilEEv20rocsparse_direction_T4_S2_S2_S2_S2_21rocsparse_index_base_PKT2_PKT3_PKS2_S3_PS4_PS7_PS2_ ; -- Begin function _ZN9rocsparseL42csr2bsr_wavefront_per_row_multipass_kernelILj256ELj64ELj8EiilEEv20rocsparse_direction_T4_S2_S2_S2_S2_21rocsparse_index_base_PKT2_PKT3_PKS2_S3_PS4_PS7_PS2_
	.p2align	8
	.type	_ZN9rocsparseL42csr2bsr_wavefront_per_row_multipass_kernelILj256ELj64ELj8EiilEEv20rocsparse_direction_T4_S2_S2_S2_S2_21rocsparse_index_base_PKT2_PKT3_PKS2_S3_PS4_PS7_PS2_,@function
_ZN9rocsparseL42csr2bsr_wavefront_per_row_multipass_kernelILj256ELj64ELj8EiilEEv20rocsparse_direction_T4_S2_S2_S2_S2_21rocsparse_index_base_PKT2_PKT3_PKS2_S3_PS4_PS7_PS2_: ; @_ZN9rocsparseL42csr2bsr_wavefront_per_row_multipass_kernelILj256ELj64ELj8EiilEEv20rocsparse_direction_T4_S2_S2_S2_S2_21rocsparse_index_base_PKT2_PKT3_PKS2_S3_PS4_PS7_PS2_
; %bb.0:
	s_bfe_u32 s2, ttmp6, 0x4000c
	s_clause 0x1
	s_load_b96 s[8:10], s[0:1], 0x28
	s_load_b64 s[14:15], s[0:1], 0x40
	s_add_co_i32 s2, s2, 1
	s_and_b32 s3, ttmp6, 15
	s_mul_i32 s2, ttmp9, s2
	s_getreg_b32 s4, hwreg(HW_REG_IB_STS2, 6, 4)
	s_add_co_i32 s3, s3, s2
	s_cmp_eq_u32 s4, 0
	v_dual_mov_b32 v23, 0 :: v_dual_lshrrev_b32 v22, 6, v0
	s_cselect_b32 s12, ttmp9, s3
	v_bfe_u32 v8, v0, 3, 3
	s_ashr_i32 s13, s12, 31
	v_mov_b32_e32 v14, 0
	s_lshl_b64 s[2:3], s[12:13], 2
	s_delay_alu instid0(SALU_CYCLE_1) | instskip(SKIP_2) | instid1(VALU_DEP_1)
	v_dual_mov_b32 v9, v23 :: v_dual_bitop2_b32 v1, s2, v22 bitop3:0x54
	s_load_b128 s[4:7], s[0:1], 0x18
	s_wait_kmcnt 0x0
	v_mad_nc_u64_u32 v[2:3], v1, s8, v[8:9]
	s_delay_alu instid0(VALU_DEP_1) | instskip(SKIP_1) | instid1(VALU_DEP_1)
	v_mad_u32 v3, s3, s8, v3
	s_load_b64 s[2:3], s[0:1], 0x8
	v_mad_u32 v3, v1, s9, v3
	s_wait_kmcnt 0x0
	s_delay_alu instid0(VALU_DEP_1) | instskip(SKIP_2) | instid1(SALU_CYCLE_1)
	v_cmp_gt_i64_e32 vcc_lo, s[2:3], v[2:3]
	v_cmp_gt_i64_e64 s2, s[8:9], v[8:9]
	s_and_b32 s3, s2, vcc_lo
	s_and_saveexec_b32 s11, s3
	s_cbranch_execz .LBB20_2
; %bb.1:
	v_lshl_add_u64 v[4:5], v[2:3], 2, s[14:15]
	global_load_b32 v1, v[4:5], off
	s_wait_loadcnt 0x0
	v_subrev_nc_u32_e32 v14, s10, v1
.LBB20_2:
	s_or_b32 exec_lo, exec_lo, s11
	s_and_saveexec_b32 s11, s3
	s_cbranch_execz .LBB20_4
; %bb.3:
	v_lshl_add_u64 v[2:3], v[2:3], 2, s[14:15]
	global_load_b32 v1, v[2:3], off offset:4
	s_wait_loadcnt 0x0
	v_subrev_nc_u32_e32 v23, s10, v1
.LBB20_4:
	s_or_b32 exec_lo, exec_lo, s11
	s_load_b32 s22, s[0:1], 0x50
	v_mov_b32_e32 v5, 0
	v_lshl_or_b32 v4, s12, 2, v22
	s_mov_b32 s3, exec_lo
	s_delay_alu instid0(VALU_DEP_2) | instskip(NEXT) | instid1(VALU_DEP_2)
	v_mov_b32_e32 v2, v5
	v_cmpx_gt_i64_e64 s[4:5], v[4:5]
	s_cbranch_execz .LBB20_6
; %bb.5:
	s_load_b64 s[4:5], s[0:1], 0x60
	s_wait_kmcnt 0x0
	v_lshl_add_u64 v[2:3], v[4:5], 2, s[4:5]
	global_load_b32 v1, v[2:3], off
	s_wait_loadcnt 0x0
	v_subrev_nc_u32_e32 v2, s22, v1
.LBB20_6:
	s_or_b32 exec_lo, exec_lo, s3
	v_cmp_lt_i64_e64 s3, s[6:7], 1
	s_and_b32 vcc_lo, exec_lo, s3
	s_cbranch_vccnz .LBB20_28
; %bb.7:
	v_dual_mov_b32 v4, 0 :: v_dual_bitop2_b32 v6, 7, v0 bitop3:0x40
	v_and_b32_e32 v1, 0x3c0, v0
	v_mbcnt_lo_u32_b32 v5, -1, 0
	v_mul_u64_e32 v[10:11], s[8:9], v[8:9]
	s_delay_alu instid0(VALU_DEP_4)
	v_dual_mov_b32 v7, v4 :: v_dual_lshlrev_b32 v3, 5, v8
	s_clause 0x3
	s_load_b64 s[14:15], s[0:1], 0x48
	s_load_b64 s[18:19], s[0:1], 0x58
	;; [unrolled: 1-line block ×3, first 2 shown]
	s_load_b32 s3, s[0:1], 0x0
	v_dual_mov_b32 v9, v4 :: v_dual_bitop2_b32 v15, 2, v5 bitop3:0x14
	v_mul_u64_e32 v[12:13], s[8:9], v[6:7]
	v_lshl_or_b32 v24, v1, 2, v3
	v_dual_mov_b32 v1, v4 :: v_dual_bitop2_b32 v3, 4, v5 bitop3:0x14
	s_load_b64 s[4:5], s[0:1], 0x68
	v_dual_lshlrev_b32 v0, 2, v8 :: v_dual_lshlrev_b32 v8, 2, v6
	s_delay_alu instid0(VALU_DEP_2)
	v_cmp_gt_i32_e32 vcc_lo, 32, v3
	v_xor_b32_e32 v16, 1, v5
	v_lshl_or_b32 v25, v5, 2, 28
	v_bfrev_b32_e32 v32, 0.5
	s_wait_xcnt 0x0
	s_mov_b32 s1, 0
	v_cndmask_b32_e32 v3, v5, v3, vcc_lo
	v_cmp_gt_i32_e32 vcc_lo, 32, v15
	v_or_b32_e32 v17, 32, v5
	v_or_b32_e32 v26, v24, v8
	s_mul_u64 s[12:13], s[8:9], s[8:9]
	s_wait_kmcnt 0x0
	s_cmp_lg_u32 s3, 0
	v_cndmask_b32_e32 v15, v5, v15, vcc_lo
	v_cmp_gt_i32_e32 vcc_lo, 32, v16
	v_xor_b32_e32 v18, 16, v5
	v_cmp_gt_i32_e64 s0, 32, v17
	s_mov_b32 s11, s1
	s_cselect_b32 s23, -1, 0
	v_cndmask_b32_e32 v16, v5, v16, vcc_lo
	v_cmp_gt_u64_e32 vcc_lo, s[8:9], v[6:7]
	v_lshlrev_b32_e32 v7, 2, v3
	v_dual_lshlrev_b32 v27, 2, v15 :: v_dual_cndmask_b32 v15, v5, v17, s0
	v_cmp_gt_i32_e64 s0, 32, v18
	v_dual_lshlrev_b32 v28, 2, v16 :: v_dual_bitop2_b32 v3, 8, v5 bitop3:0x14
	v_lshl_add_u64 v[10:11], v[10:11], 2, s[18:19]
	v_lshl_add_u64 v[12:13], v[12:13], 2, s[18:19]
	s_delay_alu instid0(VALU_DEP_4) | instskip(NEXT) | instid1(VALU_DEP_4)
	v_cndmask_b32_e64 v16, v5, v18, s0
	v_cmp_gt_i32_e64 s0, 32, v3
	v_mov_b32_e32 v33, 1
	v_add_nc_u64_e32 v[8:9], v[10:11], v[8:9]
	v_add_nc_u64_e32 v[0:1], v[12:13], v[0:1]
	v_mov_b64_e32 v[12:13], 0
	v_cndmask_b32_e64 v3, v5, v3, s0
	v_dual_lshlrev_b32 v29, 2, v15 :: v_dual_lshlrev_b32 v30, 2, v16
	s_and_b32 s24, s2, vcc_lo
	s_mov_b64 s[2:3], 0xffffffff
	s_delay_alu instid0(VALU_DEP_2)
	v_dual_lshlrev_b32 v31, 2, v3 :: v_dual_mov_b32 v3, 0
	s_ashr_i32 s18, s9, 31
	s_sub_co_i32 s25, 0, s8
	s_mov_b32 s26, 0
	s_branch .LBB20_10
.LBB20_8:                               ;   in Loop: Header=BB20_10 Depth=1
	s_wait_xcnt 0x0
	s_or_b32 exec_lo, exec_lo, s19
	v_mov_b32_e32 v5, 1
.LBB20_9:                               ;   in Loop: Header=BB20_10 Depth=1
	s_or_b32 exec_lo, exec_lo, s0
	ds_bpermute_b32 v12, v29, v10
	ds_bpermute_b32 v13, v29, v11
	s_wait_storecnt_dscnt 0x0
	v_add_nc_u32_e32 v2, v5, v2
	v_min_i64 v[10:11], v[12:13], v[10:11]
	ds_bpermute_b32 v12, v30, v10
	ds_bpermute_b32 v13, v30, v11
	s_wait_dscnt 0x0
	v_min_i64 v[10:11], v[12:13], v[10:11]
	ds_bpermute_b32 v12, v31, v10
	ds_bpermute_b32 v13, v31, v11
	s_wait_dscnt 0x0
	;; [unrolled: 4-line block ×5, first 2 shown]
	v_min_i64 v[10:11], v[12:13], v[10:11]
	ds_bpermute_b32 v12, v32, v10
	s_wait_dscnt 0x0
	v_dual_ashrrev_i32 v13, 31, v12 :: v_dual_mov_b32 v3, v12
	s_delay_alu instid0(VALU_DEP_1) | instskip(SKIP_1) | instid1(SALU_CYCLE_1)
	v_cmp_le_i64_e32 vcc_lo, s[6:7], v[12:13]
	s_or_b32 s26, vcc_lo, s26
	s_and_not1_b32 exec_lo, exec_lo, s26
	s_cbranch_execz .LBB20_28
.LBB20_10:                              ; =>This Loop Header: Depth=1
                                        ;     Child Loop BB20_13 Depth 2
	v_mov_b64_e32 v[10:11], s[6:7]
	v_dual_mov_b32 v5, v23 :: v_dual_add_nc_u32 v14, v14, v6
	s_mov_b32 s27, exec_lo
	ds_store_b8 v22, v4 offset:1024
	ds_store_b32 v26, v4
	s_wait_dscnt 0x0
	v_cmpx_lt_i32_e64 v14, v23
	s_cbranch_execz .LBB20_22
; %bb.11:                               ;   in Loop: Header=BB20_10 Depth=1
	v_mul_u64_e32 v[16:17], s[8:9], v[12:13]
	v_mov_b64_e32 v[10:11], s[6:7]
	v_mov_b32_e32 v17, v23
	s_mov_b32 s28, 0
	s_branch .LBB20_13
.LBB20_12:                              ;   in Loop: Header=BB20_13 Depth=2
	s_wait_xcnt 0x0
	s_or_b32 exec_lo, exec_lo, s0
	v_dual_mov_b32 v17, v5 :: v_dual_add_nc_u32 v14, 8, v14
	s_xor_b32 s19, vcc_lo, -1
	s_delay_alu instid0(VALU_DEP_1) | instskip(SKIP_1) | instid1(SALU_CYCLE_1)
	v_cmp_ge_i32_e64 s0, v14, v23
	s_or_b32 s0, s19, s0
	s_and_b32 s0, exec_lo, s0
	s_delay_alu instid0(SALU_CYCLE_1) | instskip(NEXT) | instid1(SALU_CYCLE_1)
	s_or_b32 s28, s0, s28
	s_and_not1_b32 exec_lo, exec_lo, s28
	s_cbranch_execz .LBB20_21
.LBB20_13:                              ;   Parent Loop BB20_10 Depth=1
                                        ; =>  This Inner Loop Header: Depth=2
	global_load_b64 v[18:19], v14, s[14:15] scale_offset
                                        ; implicit-def: $vgpr20_vgpr21
	s_mov_b32 s0, exec_lo
	s_wait_loadcnt 0x0
	v_sub_nc_u64_e64 v[18:19], v[18:19], s[10:11]
	s_delay_alu instid0(VALU_DEP_1) | instskip(SKIP_1) | instid1(VALU_DEP_1)
	v_or_b32_e32 v5, s9, v19
	s_wait_xcnt 0x0
	v_cmpx_ne_u64_e32 0, v[4:5]
	s_xor_b32 s29, exec_lo, s0
	s_cbranch_execz .LBB20_15
; %bb.14:                               ;   in Loop: Header=BB20_13 Depth=2
	s_mov_b32 s19, s18
	v_dual_mov_b32 v37, v4 :: v_dual_ashrrev_i32 v20, 31, v19
	s_add_nc_u64 s[20:21], s[8:9], s[18:19]
	v_mov_b32_e32 v45, v4
	s_xor_b64 s[20:21], s[20:21], s[18:19]
	s_delay_alu instid0(VALU_DEP_2) | instskip(SKIP_3) | instid1(VALU_DEP_1)
	v_mov_b32_e32 v21, v20
	s_cvt_f32_u32 s0, s20
	s_cvt_f32_u32 s19, s21
	s_sub_nc_u64 s[34:35], 0, s[20:21]
	v_add_nc_u64_e32 v[34:35], v[18:19], v[20:21]
	s_delay_alu instid0(SALU_CYCLE_1) | instskip(SKIP_1) | instid1(SALU_CYCLE_2)
	s_fmamk_f32 s0, s19, 0x4f800000, s0
	v_mov_b32_e32 v41, v4
	v_s_rcp_f32 s0, s0
	s_delay_alu instid0(VALU_DEP_2) | instskip(NEXT) | instid1(VALU_DEP_3)
	v_xor_b32_e32 v36, v34, v20
	v_xor_b32_e32 v40, v35, v20
	;; [unrolled: 1-line block ×3, first 2 shown]
	s_delay_alu instid0(TRANS32_DEP_1) | instskip(NEXT) | instid1(SALU_CYCLE_3)
	s_mul_f32 s0, s0, 0x5f7ffffc
	s_mul_f32 s19, s0, 0x2f800000
	s_delay_alu instid0(SALU_CYCLE_3) | instskip(NEXT) | instid1(SALU_CYCLE_3)
	s_trunc_f32 s19, s19
	s_fmamk_f32 s0, s19, 0xcf800000, s0
	s_cvt_u32_f32 s31, s19
	s_delay_alu instid0(SALU_CYCLE_2) | instskip(NEXT) | instid1(SALU_CYCLE_3)
	s_cvt_u32_f32 s30, s0
	s_mul_u64 s[36:37], s[34:35], s[30:31]
	s_delay_alu instid0(SALU_CYCLE_1)
	s_mul_hi_u32 s39, s30, s37
	s_mul_i32 s38, s30, s37
	s_mul_hi_u32 s0, s30, s36
	s_mul_i32 s33, s31, s36
	s_add_nc_u64 s[38:39], s[0:1], s[38:39]
	s_mul_hi_u32 s19, s31, s36
	s_mul_hi_u32 s40, s31, s37
	s_add_co_u32 s0, s38, s33
	s_add_co_ci_u32 s0, s39, s19
	s_mul_i32 s36, s31, s37
	s_add_co_ci_u32 s37, s40, 0
	s_delay_alu instid0(SALU_CYCLE_1) | instskip(NEXT) | instid1(SALU_CYCLE_1)
	s_add_nc_u64 s[36:37], s[0:1], s[36:37]
	s_add_co_u32 s30, s30, s36
	s_cselect_b32 s0, -1, 0
	s_delay_alu instid0(SALU_CYCLE_1) | instskip(SKIP_1) | instid1(SALU_CYCLE_1)
	s_cmp_lg_u32 s0, 0
	s_add_co_ci_u32 s31, s31, s37
	s_mul_u64 s[34:35], s[34:35], s[30:31]
	s_delay_alu instid0(SALU_CYCLE_1)
	s_mul_hi_u32 s37, s30, s35
	s_mul_i32 s36, s30, s35
	s_mul_hi_u32 s0, s30, s34
	s_mul_i32 s33, s31, s34
	s_add_nc_u64 s[36:37], s[0:1], s[36:37]
	s_mul_hi_u32 s19, s31, s34
	s_mul_hi_u32 s38, s31, s35
	s_add_co_u32 s0, s36, s33
	s_add_co_ci_u32 s0, s37, s19
	s_mul_i32 s34, s31, s35
	s_add_co_ci_u32 s35, s38, 0
	s_delay_alu instid0(SALU_CYCLE_1) | instskip(NEXT) | instid1(SALU_CYCLE_1)
	s_add_nc_u64 s[34:35], s[0:1], s[34:35]
	s_add_co_u32 s30, s30, s34
	s_cselect_b32 s0, -1, 0
	v_mul_hi_u32 v44, v36, s30
	s_cmp_lg_u32 s0, 0
	s_add_co_ci_u32 s0, s31, s35
	s_and_b64 s[34:35], s[30:31], s[2:3]
	v_mul_u64_e32 v[38:39], s[0:1], v[36:37]
	v_mul_u64_e32 v[34:35], s[34:35], v[40:41]
	;; [unrolled: 1-line block ×3, first 2 shown]
	s_delay_alu instid0(VALU_DEP_3) | instskip(NEXT) | instid1(VALU_DEP_1)
	v_add_nc_u64_e32 v[38:39], v[44:45], v[38:39]
	v_add_co_u32 v5, vcc_lo, v38, v34
	s_delay_alu instid0(VALU_DEP_2) | instskip(NEXT) | instid1(VALU_DEP_4)
	v_add_co_ci_u32_e32 v44, vcc_lo, v39, v35, vcc_lo
	v_add_co_ci_u32_e32 v43, vcc_lo, 0, v43, vcc_lo
	s_delay_alu instid0(VALU_DEP_1) | instskip(NEXT) | instid1(VALU_DEP_1)
	v_add_nc_u64_e32 v[34:35], v[44:45], v[42:43]
	v_mul_u64_e32 v[38:39], s[20:21], v[34:35]
	s_delay_alu instid0(VALU_DEP_1) | instskip(NEXT) | instid1(VALU_DEP_2)
	v_sub_nc_u32_e32 v5, v40, v39
	v_sub_co_u32 v15, vcc_lo, v36, v38
	s_delay_alu instid0(VALU_DEP_1) | instskip(NEXT) | instid1(VALU_DEP_3)
	v_sub_co_ci_u32_e64 v21, null, v40, v39, vcc_lo
	v_subrev_co_ci_u32_e64 v5, null, s21, v5, vcc_lo
	s_delay_alu instid0(VALU_DEP_3) | instskip(SKIP_1) | instid1(VALU_DEP_3)
	v_sub_co_u32 v19, s0, v15, s20
	v_add_nc_u64_e32 v[38:39], 1, v[34:35]
	v_subrev_co_ci_u32_e64 v5, null, 0, v5, s0
	s_delay_alu instid0(VALU_DEP_3) | instskip(SKIP_1) | instid1(VALU_DEP_3)
	v_cmp_le_u32_e32 vcc_lo, s20, v19
	v_cndmask_b32_e64 v19, 0, -1, vcc_lo
	v_cmp_le_u32_e32 vcc_lo, s21, v5
	v_cndmask_b32_e64 v36, 0, -1, vcc_lo
	;; [unrolled: 2-line block ×4, first 2 shown]
	v_cmp_eq_u32_e32 vcc_lo, s21, v5
	v_cndmask_b32_e32 v5, v36, v19, vcc_lo
	v_cmp_eq_u32_e32 vcc_lo, s21, v21
	v_add_nc_u64_e32 v[36:37], 2, v[34:35]
	v_mov_b32_e32 v21, v20
	v_cndmask_b32_e32 v15, v40, v15, vcc_lo
	v_cmp_ne_u32_e32 vcc_lo, 0, v5
	s_delay_alu instid0(VALU_DEP_2) | instskip(SKIP_1) | instid1(VALU_DEP_1)
	v_cmp_ne_u32_e64 s0, 0, v15
	v_dual_cndmask_b32 v5, v39, v37, vcc_lo :: v_dual_cndmask_b32 v15, v38, v36, vcc_lo
	v_dual_cndmask_b32 v5, v35, v5, s0 :: v_dual_cndmask_b32 v15, v34, v15, s0
	s_delay_alu instid0(VALU_DEP_1) | instskip(NEXT) | instid1(VALU_DEP_2)
	v_xor_b32_e32 v35, v5, v20
	v_xor_b32_e32 v34, v15, v20
	s_delay_alu instid0(VALU_DEP_1)
	v_sub_nc_u64_e32 v[20:21], v[34:35], v[20:21]
.LBB20_15:                              ;   in Loop: Header=BB20_13 Depth=2
	s_and_not1_saveexec_b32 s0, s29
	s_cbranch_execz .LBB20_17
; %bb.16:                               ;   in Loop: Header=BB20_13 Depth=2
	v_cvt_f32_u32_e32 v5, s8
	v_mov_b32_e32 v21, v4
	s_delay_alu instid0(VALU_DEP_2) | instskip(SKIP_1) | instid1(TRANS32_DEP_1)
	v_rcp_iflag_f32_e32 v5, v5
	v_nop
	v_mul_f32_e32 v5, 0x4f7ffffe, v5
	s_delay_alu instid0(VALU_DEP_1) | instskip(NEXT) | instid1(VALU_DEP_1)
	v_cvt_u32_f32_e32 v5, v5
	v_mul_lo_u32 v15, s25, v5
	s_delay_alu instid0(VALU_DEP_1) | instskip(NEXT) | instid1(VALU_DEP_1)
	v_mul_hi_u32 v15, v5, v15
	v_add_nc_u32_e32 v5, v5, v15
	s_delay_alu instid0(VALU_DEP_1) | instskip(NEXT) | instid1(VALU_DEP_1)
	v_mul_hi_u32 v5, v18, v5
	v_mul_lo_u32 v15, v5, s8
	s_delay_alu instid0(VALU_DEP_1) | instskip(NEXT) | instid1(VALU_DEP_1)
	v_sub_nc_u32_e32 v15, v18, v15
	v_subrev_nc_u32_e32 v20, s8, v15
	v_cmp_le_u32_e32 vcc_lo, s8, v15
	s_delay_alu instid0(VALU_DEP_2) | instskip(NEXT) | instid1(VALU_DEP_1)
	v_dual_add_nc_u32 v19, 1, v5 :: v_dual_cndmask_b32 v15, v15, v20, vcc_lo
	v_cndmask_b32_e32 v5, v5, v19, vcc_lo
	s_delay_alu instid0(VALU_DEP_2) | instskip(NEXT) | instid1(VALU_DEP_2)
	v_cmp_le_u32_e32 vcc_lo, s8, v15
	v_add_nc_u32_e32 v19, 1, v5
	s_delay_alu instid0(VALU_DEP_1)
	v_cndmask_b32_e32 v20, v5, v19, vcc_lo
.LBB20_17:                              ;   in Loop: Header=BB20_13 Depth=2
	s_or_b32 exec_lo, exec_lo, s0
	s_delay_alu instid0(VALU_DEP_1) | instskip(SKIP_2) | instid1(SALU_CYCLE_1)
	v_cmp_ne_u64_e64 s0, v[20:21], v[12:13]
	v_cmp_eq_u64_e32 vcc_lo, v[20:21], v[12:13]
	s_and_saveexec_b32 s19, s0
	s_xor_b32 s0, exec_lo, s19
; %bb.18:                               ;   in Loop: Header=BB20_13 Depth=2
	v_min_i64 v[10:11], v[20:21], v[10:11]
                                        ; implicit-def: $vgpr18_vgpr19
                                        ; implicit-def: $vgpr17
; %bb.19:                               ;   in Loop: Header=BB20_13 Depth=2
	s_or_saveexec_b32 s0, s0
	v_mov_b32_e32 v5, v14
	s_xor_b32 exec_lo, exec_lo, s0
	s_cbranch_execz .LBB20_12
; %bb.20:                               ;   in Loop: Header=BB20_13 Depth=2
	v_dual_ashrrev_i32 v15, 31, v14 :: v_dual_sub_nc_u32 v5, v18, v16
	s_delay_alu instid0(VALU_DEP_1) | instskip(NEXT) | instid1(VALU_DEP_2)
	v_lshl_add_u64 v[20:21], v[14:15], 2, s[16:17]
	v_lshl_add_u32 v18, v5, 2, v24
	v_mov_b32_e32 v5, v17
	global_load_b32 v15, v[20:21], off
	ds_store_b8 v22, v33 offset:1024
	s_wait_loadcnt 0x0
	ds_store_b32 v18, v15
	s_branch .LBB20_12
.LBB20_21:                              ;   in Loop: Header=BB20_10 Depth=1
	s_or_b32 exec_lo, exec_lo, s28
.LBB20_22:                              ;   in Loop: Header=BB20_10 Depth=1
	s_delay_alu instid0(SALU_CYCLE_1)
	s_or_b32 exec_lo, exec_lo, s27
	ds_bpermute_b32 v12, v7, v5
	s_wait_dscnt 0x0
	ds_load_u8 v13, v22 offset:1024
	v_min_i32_e32 v5, v12, v5
	ds_bpermute_b32 v12, v27, v5
	s_wait_dscnt 0x0
	v_min_i32_e32 v5, v12, v5
	ds_bpermute_b32 v12, v28, v5
	s_wait_dscnt 0x0
	v_min_i32_e32 v5, v12, v5
	ds_bpermute_b32 v14, v25, v5
	v_and_b32_e32 v5, 1, v13
	s_delay_alu instid0(VALU_DEP_1)
	v_cmp_eq_u32_e32 vcc_lo, 1, v5
	v_mov_b32_e32 v5, 0
	s_and_saveexec_b32 s0, vcc_lo
	s_cbranch_execz .LBB20_9
; %bb.23:                               ;   in Loop: Header=BB20_10 Depth=1
	v_add_nc_u32_e32 v12, s22, v3
	s_delay_alu instid0(VALU_DEP_1)
	v_ashrrev_i32_e32 v13, 31, v12
	global_store_b64 v2, v[12:13], s[4:5] scale_offset
	s_wait_xcnt 0x0
	s_and_saveexec_b32 s19, s24
	s_cbranch_execz .LBB20_8
; %bb.24:                               ;   in Loop: Header=BB20_10 Depth=1
	v_ashrrev_i32_e32 v3, 31, v2
	s_and_b32 vcc_lo, exec_lo, s23
	s_delay_alu instid0(VALU_DEP_1)
	v_mul_u64_e32 v[12:13], s[12:13], v[2:3]
	ds_load_b32 v3, v26
	s_cbranch_vccz .LBB20_26
; %bb.25:                               ;   in Loop: Header=BB20_10 Depth=1
	v_lshl_add_u64 v[16:17], v[12:13], 2, v[0:1]
	s_wait_dscnt 0x0
	global_store_b32 v[16:17], v3, off
	s_cbranch_execnz .LBB20_8
	s_branch .LBB20_27
.LBB20_26:                              ;   in Loop: Header=BB20_10 Depth=1
.LBB20_27:                              ;   in Loop: Header=BB20_10 Depth=1
	v_lshl_add_u64 v[12:13], v[12:13], 2, v[8:9]
	s_wait_dscnt 0x0
	global_store_b32 v[12:13], v3, off
	s_branch .LBB20_8
.LBB20_28:
	s_endpgm
	.section	.rodata,"a",@progbits
	.p2align	6, 0x0
	.amdhsa_kernel _ZN9rocsparseL42csr2bsr_wavefront_per_row_multipass_kernelILj256ELj64ELj8EiilEEv20rocsparse_direction_T4_S2_S2_S2_S2_21rocsparse_index_base_PKT2_PKT3_PKS2_S3_PS4_PS7_PS2_
		.amdhsa_group_segment_fixed_size 1028
		.amdhsa_private_segment_fixed_size 0
		.amdhsa_kernarg_size 112
		.amdhsa_user_sgpr_count 2
		.amdhsa_user_sgpr_dispatch_ptr 0
		.amdhsa_user_sgpr_queue_ptr 0
		.amdhsa_user_sgpr_kernarg_segment_ptr 1
		.amdhsa_user_sgpr_dispatch_id 0
		.amdhsa_user_sgpr_kernarg_preload_length 0
		.amdhsa_user_sgpr_kernarg_preload_offset 0
		.amdhsa_user_sgpr_private_segment_size 0
		.amdhsa_wavefront_size32 1
		.amdhsa_uses_dynamic_stack 0
		.amdhsa_enable_private_segment 0
		.amdhsa_system_sgpr_workgroup_id_x 1
		.amdhsa_system_sgpr_workgroup_id_y 0
		.amdhsa_system_sgpr_workgroup_id_z 0
		.amdhsa_system_sgpr_workgroup_info 0
		.amdhsa_system_vgpr_workitem_id 0
		.amdhsa_next_free_vgpr 46
		.amdhsa_next_free_sgpr 41
		.amdhsa_named_barrier_count 0
		.amdhsa_reserve_vcc 1
		.amdhsa_float_round_mode_32 0
		.amdhsa_float_round_mode_16_64 0
		.amdhsa_float_denorm_mode_32 3
		.amdhsa_float_denorm_mode_16_64 3
		.amdhsa_fp16_overflow 0
		.amdhsa_memory_ordered 1
		.amdhsa_forward_progress 1
		.amdhsa_inst_pref_size 18
		.amdhsa_round_robin_scheduling 0
		.amdhsa_exception_fp_ieee_invalid_op 0
		.amdhsa_exception_fp_denorm_src 0
		.amdhsa_exception_fp_ieee_div_zero 0
		.amdhsa_exception_fp_ieee_overflow 0
		.amdhsa_exception_fp_ieee_underflow 0
		.amdhsa_exception_fp_ieee_inexact 0
		.amdhsa_exception_int_div_zero 0
	.end_amdhsa_kernel
	.section	.text._ZN9rocsparseL42csr2bsr_wavefront_per_row_multipass_kernelILj256ELj64ELj8EiilEEv20rocsparse_direction_T4_S2_S2_S2_S2_21rocsparse_index_base_PKT2_PKT3_PKS2_S3_PS4_PS7_PS2_,"axG",@progbits,_ZN9rocsparseL42csr2bsr_wavefront_per_row_multipass_kernelILj256ELj64ELj8EiilEEv20rocsparse_direction_T4_S2_S2_S2_S2_21rocsparse_index_base_PKT2_PKT3_PKS2_S3_PS4_PS7_PS2_,comdat
.Lfunc_end20:
	.size	_ZN9rocsparseL42csr2bsr_wavefront_per_row_multipass_kernelILj256ELj64ELj8EiilEEv20rocsparse_direction_T4_S2_S2_S2_S2_21rocsparse_index_base_PKT2_PKT3_PKS2_S3_PS4_PS7_PS2_, .Lfunc_end20-_ZN9rocsparseL42csr2bsr_wavefront_per_row_multipass_kernelILj256ELj64ELj8EiilEEv20rocsparse_direction_T4_S2_S2_S2_S2_21rocsparse_index_base_PKT2_PKT3_PKS2_S3_PS4_PS7_PS2_
                                        ; -- End function
	.set _ZN9rocsparseL42csr2bsr_wavefront_per_row_multipass_kernelILj256ELj64ELj8EiilEEv20rocsparse_direction_T4_S2_S2_S2_S2_21rocsparse_index_base_PKT2_PKT3_PKS2_S3_PS4_PS7_PS2_.num_vgpr, 46
	.set _ZN9rocsparseL42csr2bsr_wavefront_per_row_multipass_kernelILj256ELj64ELj8EiilEEv20rocsparse_direction_T4_S2_S2_S2_S2_21rocsparse_index_base_PKT2_PKT3_PKS2_S3_PS4_PS7_PS2_.num_agpr, 0
	.set _ZN9rocsparseL42csr2bsr_wavefront_per_row_multipass_kernelILj256ELj64ELj8EiilEEv20rocsparse_direction_T4_S2_S2_S2_S2_21rocsparse_index_base_PKT2_PKT3_PKS2_S3_PS4_PS7_PS2_.numbered_sgpr, 41
	.set _ZN9rocsparseL42csr2bsr_wavefront_per_row_multipass_kernelILj256ELj64ELj8EiilEEv20rocsparse_direction_T4_S2_S2_S2_S2_21rocsparse_index_base_PKT2_PKT3_PKS2_S3_PS4_PS7_PS2_.num_named_barrier, 0
	.set _ZN9rocsparseL42csr2bsr_wavefront_per_row_multipass_kernelILj256ELj64ELj8EiilEEv20rocsparse_direction_T4_S2_S2_S2_S2_21rocsparse_index_base_PKT2_PKT3_PKS2_S3_PS4_PS7_PS2_.private_seg_size, 0
	.set _ZN9rocsparseL42csr2bsr_wavefront_per_row_multipass_kernelILj256ELj64ELj8EiilEEv20rocsparse_direction_T4_S2_S2_S2_S2_21rocsparse_index_base_PKT2_PKT3_PKS2_S3_PS4_PS7_PS2_.uses_vcc, 1
	.set _ZN9rocsparseL42csr2bsr_wavefront_per_row_multipass_kernelILj256ELj64ELj8EiilEEv20rocsparse_direction_T4_S2_S2_S2_S2_21rocsparse_index_base_PKT2_PKT3_PKS2_S3_PS4_PS7_PS2_.uses_flat_scratch, 0
	.set _ZN9rocsparseL42csr2bsr_wavefront_per_row_multipass_kernelILj256ELj64ELj8EiilEEv20rocsparse_direction_T4_S2_S2_S2_S2_21rocsparse_index_base_PKT2_PKT3_PKS2_S3_PS4_PS7_PS2_.has_dyn_sized_stack, 0
	.set _ZN9rocsparseL42csr2bsr_wavefront_per_row_multipass_kernelILj256ELj64ELj8EiilEEv20rocsparse_direction_T4_S2_S2_S2_S2_21rocsparse_index_base_PKT2_PKT3_PKS2_S3_PS4_PS7_PS2_.has_recursion, 0
	.set _ZN9rocsparseL42csr2bsr_wavefront_per_row_multipass_kernelILj256ELj64ELj8EiilEEv20rocsparse_direction_T4_S2_S2_S2_S2_21rocsparse_index_base_PKT2_PKT3_PKS2_S3_PS4_PS7_PS2_.has_indirect_call, 0
	.section	.AMDGPU.csdata,"",@progbits
; Kernel info:
; codeLenInByte = 2200
; TotalNumSgprs: 43
; NumVgprs: 46
; ScratchSize: 0
; MemoryBound: 0
; FloatMode: 240
; IeeeMode: 1
; LDSByteSize: 1028 bytes/workgroup (compile time only)
; SGPRBlocks: 0
; VGPRBlocks: 2
; NumSGPRsForWavesPerEU: 43
; NumVGPRsForWavesPerEU: 46
; NamedBarCnt: 0
; Occupancy: 16
; WaveLimiterHint : 0
; COMPUTE_PGM_RSRC2:SCRATCH_EN: 0
; COMPUTE_PGM_RSRC2:USER_SGPR: 2
; COMPUTE_PGM_RSRC2:TRAP_HANDLER: 0
; COMPUTE_PGM_RSRC2:TGID_X_EN: 1
; COMPUTE_PGM_RSRC2:TGID_Y_EN: 0
; COMPUTE_PGM_RSRC2:TGID_Z_EN: 0
; COMPUTE_PGM_RSRC2:TIDIG_COMP_CNT: 0
	.section	.text._ZN9rocsparseL42csr2bsr_wavefront_per_row_multipass_kernelILj256ELj32ELj8EiilEEv20rocsparse_direction_T4_S2_S2_S2_S2_21rocsparse_index_base_PKT2_PKT3_PKS2_S3_PS4_PS7_PS2_,"axG",@progbits,_ZN9rocsparseL42csr2bsr_wavefront_per_row_multipass_kernelILj256ELj32ELj8EiilEEv20rocsparse_direction_T4_S2_S2_S2_S2_21rocsparse_index_base_PKT2_PKT3_PKS2_S3_PS4_PS7_PS2_,comdat
	.globl	_ZN9rocsparseL42csr2bsr_wavefront_per_row_multipass_kernelILj256ELj32ELj8EiilEEv20rocsparse_direction_T4_S2_S2_S2_S2_21rocsparse_index_base_PKT2_PKT3_PKS2_S3_PS4_PS7_PS2_ ; -- Begin function _ZN9rocsparseL42csr2bsr_wavefront_per_row_multipass_kernelILj256ELj32ELj8EiilEEv20rocsparse_direction_T4_S2_S2_S2_S2_21rocsparse_index_base_PKT2_PKT3_PKS2_S3_PS4_PS7_PS2_
	.p2align	8
	.type	_ZN9rocsparseL42csr2bsr_wavefront_per_row_multipass_kernelILj256ELj32ELj8EiilEEv20rocsparse_direction_T4_S2_S2_S2_S2_21rocsparse_index_base_PKT2_PKT3_PKS2_S3_PS4_PS7_PS2_,@function
_ZN9rocsparseL42csr2bsr_wavefront_per_row_multipass_kernelILj256ELj32ELj8EiilEEv20rocsparse_direction_T4_S2_S2_S2_S2_21rocsparse_index_base_PKT2_PKT3_PKS2_S3_PS4_PS7_PS2_: ; @_ZN9rocsparseL42csr2bsr_wavefront_per_row_multipass_kernelILj256ELj32ELj8EiilEEv20rocsparse_direction_T4_S2_S2_S2_S2_21rocsparse_index_base_PKT2_PKT3_PKS2_S3_PS4_PS7_PS2_
; %bb.0:
	s_bfe_u32 s2, ttmp6, 0x4000c
	s_clause 0x1
	s_load_b96 s[8:10], s[0:1], 0x28
	s_load_b64 s[14:15], s[0:1], 0x40
	s_add_co_i32 s2, s2, 1
	s_and_b32 s3, ttmp6, 15
	s_mul_i32 s2, ttmp9, s2
	s_getreg_b32 s4, hwreg(HW_REG_IB_STS2, 6, 4)
	s_add_co_i32 s3, s3, s2
	s_cmp_eq_u32 s4, 0
	v_dual_mov_b32 v27, 0 :: v_dual_lshrrev_b32 v26, 5, v0
	s_cselect_b32 s12, ttmp9, s3
	v_bfe_u32 v6, v0, 2, 3
	s_ashr_i32 s13, s12, 31
	v_mov_b32_e32 v20, 0
	s_lshl_b64 s[2:3], s[12:13], 3
	s_delay_alu instid0(SALU_CYCLE_1) | instskip(SKIP_2) | instid1(VALU_DEP_1)
	v_dual_mov_b32 v7, v27 :: v_dual_bitop2_b32 v1, s2, v26 bitop3:0x54
	s_load_b128 s[4:7], s[0:1], 0x18
	s_wait_kmcnt 0x0
	v_mad_nc_u64_u32 v[2:3], v1, s8, v[6:7]
	s_delay_alu instid0(VALU_DEP_1) | instskip(SKIP_1) | instid1(VALU_DEP_1)
	v_mad_u32 v3, s3, s8, v3
	s_load_b64 s[2:3], s[0:1], 0x8
	v_mad_u32 v3, v1, s9, v3
	s_wait_kmcnt 0x0
	s_delay_alu instid0(VALU_DEP_1) | instskip(SKIP_2) | instid1(SALU_CYCLE_1)
	v_cmp_gt_i64_e32 vcc_lo, s[2:3], v[2:3]
	v_cmp_gt_i64_e64 s2, s[8:9], v[6:7]
	s_and_b32 s3, s2, vcc_lo
	s_and_saveexec_b32 s11, s3
	s_cbranch_execz .LBB21_2
; %bb.1:
	v_lshl_add_u64 v[4:5], v[2:3], 2, s[14:15]
	global_load_b32 v1, v[4:5], off
	s_wait_loadcnt 0x0
	v_subrev_nc_u32_e32 v20, s10, v1
.LBB21_2:
	s_or_b32 exec_lo, exec_lo, s11
	s_and_saveexec_b32 s11, s3
	s_cbranch_execz .LBB21_4
; %bb.3:
	v_lshl_add_u64 v[2:3], v[2:3], 2, s[14:15]
	global_load_b32 v1, v[2:3], off offset:4
	s_wait_loadcnt 0x0
	v_subrev_nc_u32_e32 v27, s10, v1
.LBB21_4:
	s_or_b32 exec_lo, exec_lo, s11
	s_load_b32 s24, s[0:1], 0x50
	v_mov_b32_e32 v5, 0
	v_lshl_or_b32 v4, s12, 3, v26
	s_mov_b32 s3, exec_lo
	s_delay_alu instid0(VALU_DEP_2) | instskip(NEXT) | instid1(VALU_DEP_2)
	v_mov_b32_e32 v2, v5
	v_cmpx_gt_i64_e64 s[4:5], v[4:5]
	s_cbranch_execz .LBB21_6
; %bb.5:
	s_load_b64 s[4:5], s[0:1], 0x60
	s_wait_kmcnt 0x0
	v_lshl_add_u64 v[2:3], v[4:5], 2, s[4:5]
	global_load_b32 v1, v[2:3], off
	s_wait_loadcnt 0x0
	v_subrev_nc_u32_e32 v2, s24, v1
.LBB21_6:
	s_or_b32 exec_lo, exec_lo, s3
	v_cmp_lt_i64_e64 s3, s[6:7], 1
	s_and_b32 vcc_lo, exec_lo, s3
	s_cbranch_vccnz .LBB21_33
; %bb.7:
	s_clause 0x1
	s_load_b64 s[18:19], s[0:1], 0x58
	s_load_b64 s[4:5], s[0:1], 0x68
	v_dual_lshlrev_b32 v8, 2, v6 :: v_dual_mov_b32 v4, 0
	v_dual_lshlrev_b32 v1, 5, v6 :: v_dual_bitop2_b32 v0, 3, v0 bitop3:0x40
	v_mbcnt_lo_u32_b32 v3, -1, 0
	v_mul_u64_e32 v[12:13], s[8:9], v[6:7]
	s_delay_alu instid0(VALU_DEP_4) | instskip(NEXT) | instid1(VALU_DEP_4)
	v_mov_b32_e32 v9, v4
	v_lshl_or_b32 v28, v26, 8, v1
	s_clause 0x2
	s_load_b64 s[14:15], s[0:1], 0x48
	s_load_b64 s[16:17], s[0:1], 0x38
	s_load_b32 s20, s[0:1], 0x0
	v_xor_b32_e32 v1, 2, v3
	v_xor_b32_e32 v16, 8, v3
	v_lshl_or_b32 v32, v3, 2, 12
	v_lshl_or_b32 v29, v0, 2, v28
	v_dual_mov_b32 v36, 1 :: v_dual_mov_b32 v37, 0
	v_cmp_gt_i32_e32 vcc_lo, 32, v1
	v_xor_b32_e32 v5, 1, v3
	s_mov_b32 s3, 0
	s_wait_kmcnt 0x0
	v_add_nc_u64_e32 v[6:7], s[18:19], v[8:9]
	v_dual_cndmask_b32 v8, v3, v1, vcc_lo :: v_dual_bitop2_b32 v14, 4, v0 bitop3:0x54
	v_cmp_gt_i32_e32 vcc_lo, 32, v5
	v_dual_mov_b32 v1, v4 :: v_dual_mov_b32 v15, v4
	s_mul_u64 s[12:13], s[8:9], s[8:9]
	s_mov_b32 s11, s3
	v_dual_cndmask_b32 v5, v3, v5 :: v_dual_lshlrev_b32 v30, 2, v8
	s_delay_alu instid0(VALU_DEP_2) | instskip(SKIP_2) | instid1(VALU_DEP_4)
	v_mul_u64_e32 v[8:9], s[8:9], v[0:1]
	v_mul_u64_e32 v[10:11], s[8:9], v[14:15]
	v_cmp_gt_u64_e64 s0, s[8:9], v[14:15]
	v_dual_lshlrev_b32 v31, 2, v5 :: v_dual_bitop2_b32 v5, 16, v3 bitop3:0x14
	s_cmp_lg_u32 s20, 0
	s_mov_b32 s28, 0
	s_cselect_b32 s1, -1, 0
	s_ashr_i32 s20, s9, 31
	v_cmp_gt_i32_e32 vcc_lo, 32, v5
	v_lshl_add_u64 v[12:13], v[12:13], 2, s[18:19]
	s_and_b32 s26, s2, s0
	s_mov_b64 s[18:19], 0xffffffff
	s_sub_co_i32 s27, 0, s8
	v_dual_cndmask_b32 v5, v3, v5, vcc_lo :: v_dual_bitop2_b32 v17, 4, v3 bitop3:0x14
	v_cmp_gt_i32_e32 vcc_lo, 32, v16
	v_dual_mov_b32 v35, 0x7c :: v_dual_cndmask_b32 v16, v3, v16
	s_delay_alu instid0(VALU_DEP_3) | instskip(NEXT) | instid1(VALU_DEP_2)
	v_cmp_gt_i32_e32 vcc_lo, 32, v17
	v_dual_lshlrev_b32 v33, 2, v16 :: v_dual_cndmask_b32 v3, v3, v17, vcc_lo
	v_cmp_gt_u64_e32 vcc_lo, s[8:9], v[0:1]
	v_mov_b64_e32 v[16:17], 0
	s_delay_alu instid0(VALU_DEP_3)
	v_dual_lshlrev_b32 v1, 2, v5 :: v_dual_lshlrev_b32 v34, 2, v3
	s_and_b32 s25, s2, vcc_lo
	s_branch .LBB21_10
.LBB21_8:                               ;   in Loop: Header=BB21_10 Depth=1
	s_wait_xcnt 0x0
	s_or_b32 exec_lo, exec_lo, s2
	s_wait_dscnt 0x0
	v_mov_b32_e32 v3, 1
.LBB21_9:                               ;   in Loop: Header=BB21_10 Depth=1
	s_or_b32 exec_lo, exec_lo, s0
	ds_bpermute_b32 v16, v1, v14
	ds_bpermute_b32 v17, v1, v15
	s_wait_storecnt_dscnt 0x0
	v_add_nc_u32_e32 v2, v3, v2
	v_min_i64 v[14:15], v[16:17], v[14:15]
	ds_bpermute_b32 v16, v33, v14
	ds_bpermute_b32 v17, v33, v15
	s_wait_dscnt 0x0
	v_min_i64 v[14:15], v[16:17], v[14:15]
	ds_bpermute_b32 v16, v34, v14
	ds_bpermute_b32 v17, v34, v15
	s_wait_dscnt 0x0
	;; [unrolled: 4-line block ×4, first 2 shown]
	v_min_i64 v[14:15], v[16:17], v[14:15]
	ds_bpermute_b32 v16, v35, v14
	s_wait_dscnt 0x0
	v_dual_ashrrev_i32 v17, 31, v16 :: v_dual_mov_b32 v37, v16
	s_delay_alu instid0(VALU_DEP_1) | instskip(SKIP_1) | instid1(SALU_CYCLE_1)
	v_cmp_le_i64_e32 vcc_lo, s[6:7], v[16:17]
	s_or_b32 s28, vcc_lo, s28
	s_and_not1_b32 exec_lo, exec_lo, s28
	s_cbranch_execz .LBB21_33
.LBB21_10:                              ; =>This Loop Header: Depth=1
                                        ;     Child Loop BB21_13 Depth 2
	v_mov_b64_e32 v[14:15], s[6:7]
	v_dual_mov_b32 v5, v27 :: v_dual_add_nc_u32 v18, v20, v0
	s_mov_b32 s29, exec_lo
	ds_store_b8 v26, v4 offset:2048
	ds_store_2addr_b32 v29, v4, v4 offset1:4
	s_wait_dscnt 0x0
	v_cmpx_lt_i32_e64 v18, v27
	s_cbranch_execz .LBB21_22
; %bb.11:                               ;   in Loop: Header=BB21_10 Depth=1
	v_mul_u64_e32 v[20:21], s[8:9], v[16:17]
	v_mov_b64_e32 v[14:15], s[6:7]
	v_mov_b32_e32 v3, v27
	s_mov_b32 s30, 0
	s_branch .LBB21_13
.LBB21_12:                              ;   in Loop: Header=BB21_13 Depth=2
	s_wait_xcnt 0x0
	s_or_b32 exec_lo, exec_lo, s0
	v_dual_mov_b32 v3, v5 :: v_dual_add_nc_u32 v18, 4, v18
	s_xor_b32 s2, vcc_lo, -1
	s_delay_alu instid0(VALU_DEP_1) | instskip(SKIP_1) | instid1(SALU_CYCLE_1)
	v_cmp_ge_i32_e64 s0, v18, v27
	s_or_b32 s0, s2, s0
	s_and_b32 s0, exec_lo, s0
	s_delay_alu instid0(SALU_CYCLE_1) | instskip(NEXT) | instid1(SALU_CYCLE_1)
	s_or_b32 s30, s0, s30
	s_and_not1_b32 exec_lo, exec_lo, s30
	s_cbranch_execz .LBB21_21
.LBB21_13:                              ;   Parent Loop BB21_10 Depth=1
                                        ; =>  This Inner Loop Header: Depth=2
	global_load_b64 v[22:23], v18, s[14:15] scale_offset
                                        ; implicit-def: $vgpr24_vgpr25
	s_mov_b32 s0, exec_lo
	s_wait_loadcnt 0x0
	v_sub_nc_u64_e64 v[22:23], v[22:23], s[10:11]
	s_delay_alu instid0(VALU_DEP_1) | instskip(SKIP_1) | instid1(VALU_DEP_1)
	v_or_b32_e32 v5, s9, v23
	s_wait_xcnt 0x0
	v_cmpx_ne_u64_e32 0, v[4:5]
	s_xor_b32 s31, exec_lo, s0
	s_cbranch_execz .LBB21_15
; %bb.14:                               ;   in Loop: Header=BB21_13 Depth=2
	s_mov_b32 s21, s20
	v_dual_mov_b32 v41, v4 :: v_dual_ashrrev_i32 v24, 31, v23
	s_add_nc_u64 s[22:23], s[8:9], s[20:21]
	v_mov_b32_e32 v49, v4
	s_xor_b64 s[22:23], s[22:23], s[20:21]
	s_delay_alu instid0(VALU_DEP_2) | instskip(SKIP_3) | instid1(VALU_DEP_1)
	v_mov_b32_e32 v25, v24
	s_cvt_f32_u32 s0, s22
	s_cvt_f32_u32 s2, s23
	s_sub_nc_u64 s[36:37], 0, s[22:23]
	v_add_nc_u64_e32 v[38:39], v[22:23], v[24:25]
	s_delay_alu instid0(SALU_CYCLE_1) | instskip(SKIP_1) | instid1(SALU_CYCLE_2)
	s_fmamk_f32 s0, s2, 0x4f800000, s0
	v_mov_b32_e32 v45, v4
	v_s_rcp_f32 s0, s0
	s_delay_alu instid0(VALU_DEP_2) | instskip(NEXT) | instid1(VALU_DEP_3)
	v_xor_b32_e32 v40, v38, v24
	v_xor_b32_e32 v44, v39, v24
	s_delay_alu instid0(TRANS32_DEP_1) | instskip(NEXT) | instid1(SALU_CYCLE_3)
	s_mul_f32 s0, s0, 0x5f7ffffc
	s_mul_f32 s2, s0, 0x2f800000
	s_delay_alu instid0(SALU_CYCLE_3) | instskip(NEXT) | instid1(SALU_CYCLE_3)
	s_trunc_f32 s2, s2
	s_fmamk_f32 s0, s2, 0xcf800000, s0
	s_cvt_u32_f32 s35, s2
	s_delay_alu instid0(SALU_CYCLE_2) | instskip(NEXT) | instid1(SALU_CYCLE_3)
	s_cvt_u32_f32 s34, s0
	s_mul_u64 s[38:39], s[36:37], s[34:35]
	s_delay_alu instid0(SALU_CYCLE_1)
	s_mul_hi_u32 s41, s34, s39
	s_mul_i32 s40, s34, s39
	s_mul_hi_u32 s2, s34, s38
	s_mul_i32 s21, s35, s38
	s_add_nc_u64 s[40:41], s[2:3], s[40:41]
	s_mul_hi_u32 s0, s35, s38
	s_mul_hi_u32 s33, s35, s39
	s_add_co_u32 s2, s40, s21
	s_add_co_ci_u32 s2, s41, s0
	s_mul_i32 s38, s35, s39
	s_add_co_ci_u32 s39, s33, 0
	s_delay_alu instid0(SALU_CYCLE_1) | instskip(NEXT) | instid1(SALU_CYCLE_1)
	s_add_nc_u64 s[38:39], s[2:3], s[38:39]
	s_add_co_u32 s34, s34, s38
	s_cselect_b32 s0, -1, 0
	s_delay_alu instid0(SALU_CYCLE_1) | instskip(SKIP_1) | instid1(SALU_CYCLE_1)
	s_cmp_lg_u32 s0, 0
	s_add_co_ci_u32 s35, s35, s39
	s_mul_u64 s[36:37], s[36:37], s[34:35]
	s_delay_alu instid0(SALU_CYCLE_1)
	s_mul_hi_u32 s39, s34, s37
	s_mul_i32 s38, s34, s37
	s_mul_hi_u32 s2, s34, s36
	s_mul_i32 s21, s35, s36
	s_add_nc_u64 s[38:39], s[2:3], s[38:39]
	s_mul_hi_u32 s0, s35, s36
	s_mul_hi_u32 s33, s35, s37
	s_add_co_u32 s2, s38, s21
	s_add_co_ci_u32 s2, s39, s0
	s_mul_i32 s36, s35, s37
	s_add_co_ci_u32 s37, s33, 0
	s_delay_alu instid0(SALU_CYCLE_1) | instskip(NEXT) | instid1(SALU_CYCLE_1)
	s_add_nc_u64 s[36:37], s[2:3], s[36:37]
	s_add_co_u32 s0, s34, s36
	s_cselect_b32 s2, -1, 0
	v_mul_hi_u32 v48, v40, s0
	s_cmp_lg_u32 s2, 0
	s_add_co_ci_u32 s2, s35, s37
	s_and_b64 s[34:35], s[0:1], s[18:19]
	v_mul_u64_e32 v[42:43], s[2:3], v[40:41]
	v_mul_u64_e32 v[38:39], s[34:35], v[44:45]
	v_mul_u64_e32 v[46:47], s[2:3], v[44:45]
	s_delay_alu instid0(VALU_DEP_3) | instskip(NEXT) | instid1(VALU_DEP_1)
	v_add_nc_u64_e32 v[42:43], v[48:49], v[42:43]
	v_add_co_u32 v5, vcc_lo, v42, v38
	s_delay_alu instid0(VALU_DEP_2) | instskip(NEXT) | instid1(VALU_DEP_4)
	v_add_co_ci_u32_e32 v48, vcc_lo, v43, v39, vcc_lo
	v_add_co_ci_u32_e32 v47, vcc_lo, 0, v47, vcc_lo
	s_delay_alu instid0(VALU_DEP_1) | instskip(NEXT) | instid1(VALU_DEP_1)
	v_add_nc_u64_e32 v[38:39], v[48:49], v[46:47]
	v_mul_u64_e32 v[42:43], s[22:23], v[38:39]
	s_delay_alu instid0(VALU_DEP_1) | instskip(SKIP_1) | instid1(VALU_DEP_3)
	v_sub_co_u32 v19, vcc_lo, v40, v42
	v_add_nc_u64_e32 v[40:41], 2, v[38:39]
	v_sub_nc_u32_e32 v5, v44, v43
	v_sub_co_ci_u32_e64 v23, null, v44, v43, vcc_lo
	s_delay_alu instid0(VALU_DEP_4) | instskip(NEXT) | instid1(VALU_DEP_3)
	v_sub_co_u32 v21, s0, v19, s22
	v_subrev_co_ci_u32_e64 v5, null, s23, v5, vcc_lo
	v_add_nc_u64_e32 v[42:43], 1, v[38:39]
	s_delay_alu instid0(VALU_DEP_3) | instskip(NEXT) | instid1(VALU_DEP_3)
	v_cmp_le_u32_e32 vcc_lo, s22, v21
	v_subrev_co_ci_u32_e64 v5, null, 0, v5, s0
	v_cndmask_b32_e64 v21, 0, -1, vcc_lo
	s_delay_alu instid0(VALU_DEP_2)
	v_cmp_le_u32_e32 vcc_lo, s23, v5
	v_cndmask_b32_e64 v25, 0, -1, vcc_lo
	v_cmp_le_u32_e32 vcc_lo, s22, v19
	v_cndmask_b32_e64 v19, 0, -1, vcc_lo
	;; [unrolled: 2-line block ×3, first 2 shown]
	v_cmp_eq_u32_e32 vcc_lo, s23, v5
	v_cndmask_b32_e32 v5, v25, v21, vcc_lo
	v_cmp_eq_u32_e32 vcc_lo, s23, v23
	s_delay_alu instid0(VALU_DEP_4) | instskip(NEXT) | instid1(VALU_DEP_3)
	v_cndmask_b32_e32 v19, v44, v19, vcc_lo
	v_cmp_ne_u32_e32 vcc_lo, 0, v5
	v_cndmask_b32_e32 v5, v43, v41, vcc_lo
	s_delay_alu instid0(VALU_DEP_3) | instskip(SKIP_1) | instid1(VALU_DEP_2)
	v_cmp_ne_u32_e64 s0, 0, v19
	v_cndmask_b32_e32 v19, v42, v40, vcc_lo
	v_dual_cndmask_b32 v5, v39, v5, s0 :: v_dual_bitop2_b32 v24, s20, v24 bitop3:0x14
	s_delay_alu instid0(VALU_DEP_1) | instskip(NEXT) | instid1(VALU_DEP_2)
	v_dual_cndmask_b32 v19, v38, v19, s0 :: v_dual_mov_b32 v25, v24
	v_xor_b32_e32 v39, v5, v24
	s_delay_alu instid0(VALU_DEP_2) | instskip(NEXT) | instid1(VALU_DEP_1)
	v_xor_b32_e32 v38, v19, v24
	v_sub_nc_u64_e32 v[24:25], v[38:39], v[24:25]
.LBB21_15:                              ;   in Loop: Header=BB21_13 Depth=2
	s_and_not1_saveexec_b32 s0, s31
	s_cbranch_execz .LBB21_17
; %bb.16:                               ;   in Loop: Header=BB21_13 Depth=2
	v_cvt_f32_u32_e32 v5, s8
	v_mov_b32_e32 v25, v4
	s_delay_alu instid0(VALU_DEP_2) | instskip(SKIP_1) | instid1(TRANS32_DEP_1)
	v_rcp_iflag_f32_e32 v5, v5
	v_nop
	v_mul_f32_e32 v5, 0x4f7ffffe, v5
	s_delay_alu instid0(VALU_DEP_1) | instskip(NEXT) | instid1(VALU_DEP_1)
	v_cvt_u32_f32_e32 v5, v5
	v_mul_lo_u32 v19, s27, v5
	s_delay_alu instid0(VALU_DEP_1) | instskip(NEXT) | instid1(VALU_DEP_1)
	v_mul_hi_u32 v19, v5, v19
	v_add_nc_u32_e32 v5, v5, v19
	s_delay_alu instid0(VALU_DEP_1) | instskip(NEXT) | instid1(VALU_DEP_1)
	v_mul_hi_u32 v5, v22, v5
	v_mul_lo_u32 v19, v5, s8
	s_delay_alu instid0(VALU_DEP_1) | instskip(NEXT) | instid1(VALU_DEP_1)
	v_sub_nc_u32_e32 v19, v22, v19
	v_subrev_nc_u32_e32 v23, s8, v19
	v_cmp_le_u32_e32 vcc_lo, s8, v19
	s_delay_alu instid0(VALU_DEP_2) | instskip(NEXT) | instid1(VALU_DEP_1)
	v_dual_add_nc_u32 v21, 1, v5 :: v_dual_cndmask_b32 v19, v19, v23, vcc_lo
	v_cndmask_b32_e32 v5, v5, v21, vcc_lo
	s_delay_alu instid0(VALU_DEP_2) | instskip(NEXT) | instid1(VALU_DEP_2)
	v_cmp_le_u32_e32 vcc_lo, s8, v19
	v_add_nc_u32_e32 v21, 1, v5
	s_delay_alu instid0(VALU_DEP_1)
	v_cndmask_b32_e32 v24, v5, v21, vcc_lo
.LBB21_17:                              ;   in Loop: Header=BB21_13 Depth=2
	s_or_b32 exec_lo, exec_lo, s0
	s_delay_alu instid0(VALU_DEP_1) | instskip(SKIP_2) | instid1(SALU_CYCLE_1)
	v_cmp_ne_u64_e64 s0, v[24:25], v[16:17]
	v_cmp_eq_u64_e32 vcc_lo, v[24:25], v[16:17]
	s_and_saveexec_b32 s2, s0
	s_xor_b32 s0, exec_lo, s2
; %bb.18:                               ;   in Loop: Header=BB21_13 Depth=2
	v_min_i64 v[14:15], v[24:25], v[14:15]
                                        ; implicit-def: $vgpr22_vgpr23
                                        ; implicit-def: $vgpr3
; %bb.19:                               ;   in Loop: Header=BB21_13 Depth=2
	s_or_saveexec_b32 s0, s0
	v_mov_b32_e32 v5, v18
	s_xor_b32 exec_lo, exec_lo, s0
	s_cbranch_execz .LBB21_12
; %bb.20:                               ;   in Loop: Header=BB21_13 Depth=2
	v_dual_ashrrev_i32 v19, 31, v18 :: v_dual_sub_nc_u32 v5, v22, v20
	s_delay_alu instid0(VALU_DEP_1) | instskip(NEXT) | instid1(VALU_DEP_2)
	v_lshl_add_u64 v[24:25], v[18:19], 2, s[16:17]
	v_lshl_add_u32 v21, v5, 2, v28
	v_mov_b32_e32 v5, v3
	global_load_b32 v19, v[24:25], off
	ds_store_b8 v26, v36 offset:2048
	s_wait_loadcnt 0x0
	ds_store_b32 v21, v19
	s_branch .LBB21_12
.LBB21_21:                              ;   in Loop: Header=BB21_10 Depth=1
	s_or_b32 exec_lo, exec_lo, s30
.LBB21_22:                              ;   in Loop: Header=BB21_10 Depth=1
	s_delay_alu instid0(SALU_CYCLE_1)
	s_or_b32 exec_lo, exec_lo, s29
	ds_bpermute_b32 v3, v30, v5
	s_wait_dscnt 0x0
	ds_load_u8 v16, v26 offset:2048
	v_min_i32_e32 v3, v3, v5
	ds_bpermute_b32 v5, v31, v3
	s_wait_dscnt 0x0
	v_min_i32_e32 v3, v5, v3
	ds_bpermute_b32 v20, v32, v3
	v_and_b32_e32 v3, 1, v16
	s_delay_alu instid0(VALU_DEP_1)
	v_cmp_eq_u32_e32 vcc_lo, 1, v3
	v_mov_b32_e32 v3, 0
	s_and_saveexec_b32 s0, vcc_lo
	s_cbranch_execz .LBB21_9
; %bb.23:                               ;   in Loop: Header=BB21_10 Depth=1
	v_dual_ashrrev_i32 v3, 31, v2 :: v_dual_add_nc_u32 v22, s24, v37
	s_delay_alu instid0(VALU_DEP_1) | instskip(NEXT) | instid1(VALU_DEP_2)
	v_mul_u64_e32 v[16:17], s[12:13], v[2:3]
	v_ashrrev_i32_e32 v23, 31, v22
	global_store_b64 v2, v[22:23], s[4:5] scale_offset
	v_lshlrev_b64_e32 v[16:17], 2, v[16:17]
	s_delay_alu instid0(VALU_DEP_1)
	v_add_nc_u64_e32 v[18:19], v[6:7], v[16:17]
	v_add_nc_u64_e32 v[16:17], v[12:13], v[16:17]
	s_wait_xcnt 0x0
	s_and_saveexec_b32 s2, s25
	s_cbranch_execz .LBB21_27
; %bb.24:                               ;   in Loop: Header=BB21_10 Depth=1
	ds_load_b32 v3, v29
	s_and_b32 vcc_lo, exec_lo, s1
	s_cbranch_vccz .LBB21_30
; %bb.25:                               ;   in Loop: Header=BB21_10 Depth=1
	v_lshl_add_u64 v[22:23], v[8:9], 2, v[18:19]
	s_wait_dscnt 0x0
	global_store_b32 v[22:23], v3, off
	s_cbranch_execnz .LBB21_27
.LBB21_26:                              ;   in Loop: Header=BB21_10 Depth=1
	s_wait_xcnt 0x0
	v_dual_mov_b32 v23, v4 :: v_dual_lshlrev_b32 v22, 2, v0
	s_delay_alu instid0(VALU_DEP_1)
	v_add_nc_u64_e32 v[22:23], v[16:17], v[22:23]
	s_wait_dscnt 0x0
	global_store_b32 v[22:23], v3, off
.LBB21_27:                              ;   in Loop: Header=BB21_10 Depth=1
	s_wait_xcnt 0x0
	s_or_b32 exec_lo, exec_lo, s2
	s_and_saveexec_b32 s2, s26
	s_cbranch_execz .LBB21_8
; %bb.28:                               ;   in Loop: Header=BB21_10 Depth=1
	s_and_not1_b32 vcc_lo, exec_lo, s1
	s_cbranch_vccnz .LBB21_31
; %bb.29:                               ;   in Loop: Header=BB21_10 Depth=1
	s_wait_dscnt 0x0
	ds_load_b32 v3, v29 offset:16
	v_lshl_add_u64 v[18:19], v[10:11], 2, v[18:19]
	s_wait_dscnt 0x0
	global_store_b32 v[18:19], v3, off
	s_cbranch_execnz .LBB21_8
	s_branch .LBB21_32
.LBB21_30:                              ;   in Loop: Header=BB21_10 Depth=1
	s_branch .LBB21_26
.LBB21_31:                              ;   in Loop: Header=BB21_10 Depth=1
.LBB21_32:                              ;   in Loop: Header=BB21_10 Depth=1
	s_wait_dscnt 0x0
	s_wait_xcnt 0x0
	ds_load_b32 v3, v29 offset:16
	v_dual_mov_b32 v19, v4 :: v_dual_lshlrev_b32 v18, 2, v0
	s_delay_alu instid0(VALU_DEP_1)
	v_add_nc_u64_e32 v[16:17], v[16:17], v[18:19]
	s_wait_dscnt 0x0
	global_store_b32 v[16:17], v3, off offset:16
	s_branch .LBB21_8
.LBB21_33:
	s_endpgm
	.section	.rodata,"a",@progbits
	.p2align	6, 0x0
	.amdhsa_kernel _ZN9rocsparseL42csr2bsr_wavefront_per_row_multipass_kernelILj256ELj32ELj8EiilEEv20rocsparse_direction_T4_S2_S2_S2_S2_21rocsparse_index_base_PKT2_PKT3_PKS2_S3_PS4_PS7_PS2_
		.amdhsa_group_segment_fixed_size 2056
		.amdhsa_private_segment_fixed_size 0
		.amdhsa_kernarg_size 112
		.amdhsa_user_sgpr_count 2
		.amdhsa_user_sgpr_dispatch_ptr 0
		.amdhsa_user_sgpr_queue_ptr 0
		.amdhsa_user_sgpr_kernarg_segment_ptr 1
		.amdhsa_user_sgpr_dispatch_id 0
		.amdhsa_user_sgpr_kernarg_preload_length 0
		.amdhsa_user_sgpr_kernarg_preload_offset 0
		.amdhsa_user_sgpr_private_segment_size 0
		.amdhsa_wavefront_size32 1
		.amdhsa_uses_dynamic_stack 0
		.amdhsa_enable_private_segment 0
		.amdhsa_system_sgpr_workgroup_id_x 1
		.amdhsa_system_sgpr_workgroup_id_y 0
		.amdhsa_system_sgpr_workgroup_id_z 0
		.amdhsa_system_sgpr_workgroup_info 0
		.amdhsa_system_vgpr_workitem_id 0
		.amdhsa_next_free_vgpr 50
		.amdhsa_next_free_sgpr 42
		.amdhsa_named_barrier_count 0
		.amdhsa_reserve_vcc 1
		.amdhsa_float_round_mode_32 0
		.amdhsa_float_round_mode_16_64 0
		.amdhsa_float_denorm_mode_32 3
		.amdhsa_float_denorm_mode_16_64 3
		.amdhsa_fp16_overflow 0
		.amdhsa_memory_ordered 1
		.amdhsa_forward_progress 1
		.amdhsa_inst_pref_size 18
		.amdhsa_round_robin_scheduling 0
		.amdhsa_exception_fp_ieee_invalid_op 0
		.amdhsa_exception_fp_denorm_src 0
		.amdhsa_exception_fp_ieee_div_zero 0
		.amdhsa_exception_fp_ieee_overflow 0
		.amdhsa_exception_fp_ieee_underflow 0
		.amdhsa_exception_fp_ieee_inexact 0
		.amdhsa_exception_int_div_zero 0
	.end_amdhsa_kernel
	.section	.text._ZN9rocsparseL42csr2bsr_wavefront_per_row_multipass_kernelILj256ELj32ELj8EiilEEv20rocsparse_direction_T4_S2_S2_S2_S2_21rocsparse_index_base_PKT2_PKT3_PKS2_S3_PS4_PS7_PS2_,"axG",@progbits,_ZN9rocsparseL42csr2bsr_wavefront_per_row_multipass_kernelILj256ELj32ELj8EiilEEv20rocsparse_direction_T4_S2_S2_S2_S2_21rocsparse_index_base_PKT2_PKT3_PKS2_S3_PS4_PS7_PS2_,comdat
.Lfunc_end21:
	.size	_ZN9rocsparseL42csr2bsr_wavefront_per_row_multipass_kernelILj256ELj32ELj8EiilEEv20rocsparse_direction_T4_S2_S2_S2_S2_21rocsparse_index_base_PKT2_PKT3_PKS2_S3_PS4_PS7_PS2_, .Lfunc_end21-_ZN9rocsparseL42csr2bsr_wavefront_per_row_multipass_kernelILj256ELj32ELj8EiilEEv20rocsparse_direction_T4_S2_S2_S2_S2_21rocsparse_index_base_PKT2_PKT3_PKS2_S3_PS4_PS7_PS2_
                                        ; -- End function
	.set _ZN9rocsparseL42csr2bsr_wavefront_per_row_multipass_kernelILj256ELj32ELj8EiilEEv20rocsparse_direction_T4_S2_S2_S2_S2_21rocsparse_index_base_PKT2_PKT3_PKS2_S3_PS4_PS7_PS2_.num_vgpr, 50
	.set _ZN9rocsparseL42csr2bsr_wavefront_per_row_multipass_kernelILj256ELj32ELj8EiilEEv20rocsparse_direction_T4_S2_S2_S2_S2_21rocsparse_index_base_PKT2_PKT3_PKS2_S3_PS4_PS7_PS2_.num_agpr, 0
	.set _ZN9rocsparseL42csr2bsr_wavefront_per_row_multipass_kernelILj256ELj32ELj8EiilEEv20rocsparse_direction_T4_S2_S2_S2_S2_21rocsparse_index_base_PKT2_PKT3_PKS2_S3_PS4_PS7_PS2_.numbered_sgpr, 42
	.set _ZN9rocsparseL42csr2bsr_wavefront_per_row_multipass_kernelILj256ELj32ELj8EiilEEv20rocsparse_direction_T4_S2_S2_S2_S2_21rocsparse_index_base_PKT2_PKT3_PKS2_S3_PS4_PS7_PS2_.num_named_barrier, 0
	.set _ZN9rocsparseL42csr2bsr_wavefront_per_row_multipass_kernelILj256ELj32ELj8EiilEEv20rocsparse_direction_T4_S2_S2_S2_S2_21rocsparse_index_base_PKT2_PKT3_PKS2_S3_PS4_PS7_PS2_.private_seg_size, 0
	.set _ZN9rocsparseL42csr2bsr_wavefront_per_row_multipass_kernelILj256ELj32ELj8EiilEEv20rocsparse_direction_T4_S2_S2_S2_S2_21rocsparse_index_base_PKT2_PKT3_PKS2_S3_PS4_PS7_PS2_.uses_vcc, 1
	.set _ZN9rocsparseL42csr2bsr_wavefront_per_row_multipass_kernelILj256ELj32ELj8EiilEEv20rocsparse_direction_T4_S2_S2_S2_S2_21rocsparse_index_base_PKT2_PKT3_PKS2_S3_PS4_PS7_PS2_.uses_flat_scratch, 0
	.set _ZN9rocsparseL42csr2bsr_wavefront_per_row_multipass_kernelILj256ELj32ELj8EiilEEv20rocsparse_direction_T4_S2_S2_S2_S2_21rocsparse_index_base_PKT2_PKT3_PKS2_S3_PS4_PS7_PS2_.has_dyn_sized_stack, 0
	.set _ZN9rocsparseL42csr2bsr_wavefront_per_row_multipass_kernelILj256ELj32ELj8EiilEEv20rocsparse_direction_T4_S2_S2_S2_S2_21rocsparse_index_base_PKT2_PKT3_PKS2_S3_PS4_PS7_PS2_.has_recursion, 0
	.set _ZN9rocsparseL42csr2bsr_wavefront_per_row_multipass_kernelILj256ELj32ELj8EiilEEv20rocsparse_direction_T4_S2_S2_S2_S2_21rocsparse_index_base_PKT2_PKT3_PKS2_S3_PS4_PS7_PS2_.has_indirect_call, 0
	.section	.AMDGPU.csdata,"",@progbits
; Kernel info:
; codeLenInByte = 2272
; TotalNumSgprs: 44
; NumVgprs: 50
; ScratchSize: 0
; MemoryBound: 0
; FloatMode: 240
; IeeeMode: 1
; LDSByteSize: 2056 bytes/workgroup (compile time only)
; SGPRBlocks: 0
; VGPRBlocks: 3
; NumSGPRsForWavesPerEU: 44
; NumVGPRsForWavesPerEU: 50
; NamedBarCnt: 0
; Occupancy: 16
; WaveLimiterHint : 0
; COMPUTE_PGM_RSRC2:SCRATCH_EN: 0
; COMPUTE_PGM_RSRC2:USER_SGPR: 2
; COMPUTE_PGM_RSRC2:TRAP_HANDLER: 0
; COMPUTE_PGM_RSRC2:TGID_X_EN: 1
; COMPUTE_PGM_RSRC2:TGID_Y_EN: 0
; COMPUTE_PGM_RSRC2:TGID_Z_EN: 0
; COMPUTE_PGM_RSRC2:TIDIG_COMP_CNT: 0
	.section	.text._ZN9rocsparseL42csr2bsr_wavefront_per_row_multipass_kernelILj256ELj64ELj16EiilEEv20rocsparse_direction_T4_S2_S2_S2_S2_21rocsparse_index_base_PKT2_PKT3_PKS2_S3_PS4_PS7_PS2_,"axG",@progbits,_ZN9rocsparseL42csr2bsr_wavefront_per_row_multipass_kernelILj256ELj64ELj16EiilEEv20rocsparse_direction_T4_S2_S2_S2_S2_21rocsparse_index_base_PKT2_PKT3_PKS2_S3_PS4_PS7_PS2_,comdat
	.globl	_ZN9rocsparseL42csr2bsr_wavefront_per_row_multipass_kernelILj256ELj64ELj16EiilEEv20rocsparse_direction_T4_S2_S2_S2_S2_21rocsparse_index_base_PKT2_PKT3_PKS2_S3_PS4_PS7_PS2_ ; -- Begin function _ZN9rocsparseL42csr2bsr_wavefront_per_row_multipass_kernelILj256ELj64ELj16EiilEEv20rocsparse_direction_T4_S2_S2_S2_S2_21rocsparse_index_base_PKT2_PKT3_PKS2_S3_PS4_PS7_PS2_
	.p2align	8
	.type	_ZN9rocsparseL42csr2bsr_wavefront_per_row_multipass_kernelILj256ELj64ELj16EiilEEv20rocsparse_direction_T4_S2_S2_S2_S2_21rocsparse_index_base_PKT2_PKT3_PKS2_S3_PS4_PS7_PS2_,@function
_ZN9rocsparseL42csr2bsr_wavefront_per_row_multipass_kernelILj256ELj64ELj16EiilEEv20rocsparse_direction_T4_S2_S2_S2_S2_21rocsparse_index_base_PKT2_PKT3_PKS2_S3_PS4_PS7_PS2_: ; @_ZN9rocsparseL42csr2bsr_wavefront_per_row_multipass_kernelILj256ELj64ELj16EiilEEv20rocsparse_direction_T4_S2_S2_S2_S2_21rocsparse_index_base_PKT2_PKT3_PKS2_S3_PS4_PS7_PS2_
; %bb.0:
	s_bfe_u32 s2, ttmp6, 0x4000c
	s_clause 0x1
	s_load_b96 s[8:10], s[0:1], 0x28
	s_load_b64 s[14:15], s[0:1], 0x40
	s_add_co_i32 s2, s2, 1
	s_and_b32 s3, ttmp6, 15
	s_mul_i32 s2, ttmp9, s2
	s_getreg_b32 s4, hwreg(HW_REG_IB_STS2, 6, 4)
	s_add_co_i32 s3, s3, s2
	s_cmp_eq_u32 s4, 0
	v_dual_mov_b32 v31, 0 :: v_dual_lshrrev_b32 v30, 6, v0
	s_cselect_b32 s12, ttmp9, s3
	v_bfe_u32 v6, v0, 2, 4
	s_ashr_i32 s13, s12, 31
	v_mov_b32_e32 v24, 0
	s_lshl_b64 s[2:3], s[12:13], 2
	s_delay_alu instid0(SALU_CYCLE_1) | instskip(SKIP_2) | instid1(VALU_DEP_1)
	v_dual_mov_b32 v7, v31 :: v_dual_bitop2_b32 v1, s2, v30 bitop3:0x54
	s_load_b128 s[4:7], s[0:1], 0x18
	s_wait_kmcnt 0x0
	v_mad_nc_u64_u32 v[2:3], v1, s8, v[6:7]
	s_delay_alu instid0(VALU_DEP_1) | instskip(SKIP_1) | instid1(VALU_DEP_1)
	v_mad_u32 v3, s3, s8, v3
	s_load_b64 s[2:3], s[0:1], 0x8
	v_mad_u32 v3, v1, s9, v3
	s_wait_kmcnt 0x0
	s_delay_alu instid0(VALU_DEP_1) | instskip(SKIP_2) | instid1(SALU_CYCLE_1)
	v_cmp_gt_i64_e32 vcc_lo, s[2:3], v[2:3]
	v_cmp_gt_i64_e64 s2, s[8:9], v[6:7]
	s_and_b32 s3, s2, vcc_lo
	s_and_saveexec_b32 s11, s3
	s_cbranch_execz .LBB22_2
; %bb.1:
	v_lshl_add_u64 v[4:5], v[2:3], 2, s[14:15]
	global_load_b32 v1, v[4:5], off
	s_wait_loadcnt 0x0
	v_subrev_nc_u32_e32 v24, s10, v1
.LBB22_2:
	s_or_b32 exec_lo, exec_lo, s11
	s_and_saveexec_b32 s11, s3
	s_cbranch_execz .LBB22_4
; %bb.3:
	v_lshl_add_u64 v[2:3], v[2:3], 2, s[14:15]
	global_load_b32 v1, v[2:3], off offset:4
	s_wait_loadcnt 0x0
	v_subrev_nc_u32_e32 v31, s10, v1
.LBB22_4:
	s_or_b32 exec_lo, exec_lo, s11
	s_load_b32 s24, s[0:1], 0x50
	v_mov_b32_e32 v5, 0
	v_lshl_or_b32 v4, s12, 2, v30
	s_mov_b32 s3, exec_lo
	s_delay_alu instid0(VALU_DEP_2) | instskip(NEXT) | instid1(VALU_DEP_2)
	v_mov_b32_e32 v2, v5
	v_cmpx_gt_i64_e64 s[4:5], v[4:5]
	s_cbranch_execz .LBB22_6
; %bb.5:
	s_load_b64 s[4:5], s[0:1], 0x60
	s_wait_kmcnt 0x0
	v_lshl_add_u64 v[2:3], v[4:5], 2, s[4:5]
	global_load_b32 v1, v[2:3], off
	s_wait_loadcnt 0x0
	v_subrev_nc_u32_e32 v2, s24, v1
.LBB22_6:
	s_or_b32 exec_lo, exec_lo, s3
	v_cmp_lt_i64_e64 s3, s[6:7], 1
	s_and_b32 vcc_lo, exec_lo, s3
	s_cbranch_vccnz .LBB22_43
; %bb.7:
	v_dual_lshlrev_b32 v8, 2, v6 :: v_dual_lshlrev_b32 v1, 6, v6
	v_mbcnt_lo_u32_b32 v3, -1, 0
	v_dual_mov_b32 v4, 0 :: v_dual_bitop2_b32 v0, 3, v0 bitop3:0x40
	s_clause 0x1
	s_load_b64 s[20:21], s[0:1], 0x58
	s_load_b64 s[4:5], s[0:1], 0x68
	v_lshl_or_b32 v32, v30, 10, v1
	v_dual_mov_b32 v9, v4 :: v_dual_bitop2_b32 v1, 2, v3 bitop3:0x14
	v_mul_u64_e32 v[16:17], s[8:9], v[6:7]
	v_dual_mov_b32 v19, v4 :: v_dual_bitop2_b32 v18, 4, v0 bitop3:0x54
	s_delay_alu instid0(VALU_DEP_3) | instskip(SKIP_4) | instid1(VALU_DEP_4)
	v_cmp_gt_i32_e32 vcc_lo, 32, v1
	v_xor_b32_e32 v5, 1, v3
	v_dual_mov_b32 v21, v4 :: v_dual_bitop2_b32 v20, 8, v0 bitop3:0x54
	v_dual_mov_b32 v23, v4 :: v_dual_bitop2_b32 v22, 12, v0 bitop3:0x54
	v_cndmask_b32_e32 v1, v3, v1, vcc_lo
	v_cmp_gt_i32_e32 vcc_lo, 32, v5
	v_mul_u64_e32 v[10:11], s[8:9], v[18:19]
	v_mul_u64_e32 v[12:13], s[8:9], v[20:21]
	;; [unrolled: 1-line block ×3, first 2 shown]
	v_lshlrev_b32_e32 v34, 2, v1
	v_dual_cndmask_b32 v5, v3, v5, vcc_lo :: v_dual_bitop2_b32 v1, 32, v3 bitop3:0x54
	s_wait_kmcnt 0x0
	v_add_nc_u64_e32 v[6:7], s[20:21], v[8:9]
	s_clause 0x2
	s_load_b64 s[14:15], s[0:1], 0x48
	s_load_b64 s[16:17], s[0:1], 0x38
	s_load_b32 s3, s[0:1], 0x0
	v_lshl_or_b32 v36, v3, 2, 12
	v_lshlrev_b32_e32 v35, 2, v5
	v_cmp_gt_i32_e32 vcc_lo, 32, v1
	s_wait_xcnt 0x0
	v_cmp_gt_u64_e64 s0, s[8:9], v[18:19]
	v_cmp_gt_u64_e64 s1, s[8:9], v[20:21]
	v_mov_b64_e32 v[20:21], 0
	v_lshl_or_b32 v33, v0, 2, v32
	v_dual_cndmask_b32 v5, v3, v1, vcc_lo :: v_dual_mov_b32 v1, v4
	v_xor_b32_e32 v25, 16, v3
	v_bfrev_b32_e32 v40, 0.5
	v_dual_mov_b32 v41, 1 :: v_dual_mov_b32 v42, 0
	s_delay_alu instid0(VALU_DEP_4)
	v_mul_u64_e32 v[8:9], s[8:9], v[0:1]
	v_lshlrev_b32_e32 v37, 2, v5
	v_cmp_gt_i32_e32 vcc_lo, 32, v25
	v_xor_b32_e32 v26, 8, v3
	v_lshl_add_u64 v[16:17], v[16:17], 2, s[20:21]
	s_mov_b32 s11, 0
	s_wait_kmcnt 0x0
	s_cmp_lg_u32 s3, 0
	v_dual_cndmask_b32 v25, v3, v25, vcc_lo :: v_dual_bitop2_b32 v27, 4, v3 bitop3:0x14
	v_cmp_gt_i32_e32 vcc_lo, 32, v26
	v_cmp_gt_u64_e64 s3, s[8:9], v[22:23]
	s_mul_u64 s[12:13], s[8:9], s[8:9]
	v_lshlrev_b32_e32 v38, 2, v25
	s_mov_b32 s18, s10
	v_cndmask_b32_e32 v5, v3, v26, vcc_lo
	v_cmp_gt_i32_e32 vcc_lo, 32, v27
	s_mov_b32 s19, s11
	s_cselect_b32 s25, -1, 0
	s_and_b32 s27, s2, s0
	s_and_b32 s1, s2, s1
	v_cndmask_b32_e32 v3, v3, v27, vcc_lo
	v_cmp_gt_u64_e32 vcc_lo, s[8:9], v[0:1]
	v_lshlrev_b32_e32 v1, 2, v5
	s_and_b32 s28, s2, s3
	s_ashr_i32 s20, s9, 31
	v_lshlrev_b32_e32 v39, 2, v3
	s_sub_co_i32 s29, 0, s8
	s_mov_b32 s30, 0
	s_and_b32 s26, s2, vcc_lo
	s_mov_b64 s[2:3], 0xffffffff
	s_branch .LBB22_10
.LBB22_8:                               ;   in Loop: Header=BB22_10 Depth=1
	s_wait_xcnt 0x0
	s_or_b32 exec_lo, exec_lo, s10
	s_wait_dscnt 0x0
	v_mov_b32_e32 v3, 1
.LBB22_9:                               ;   in Loop: Header=BB22_10 Depth=1
	s_or_b32 exec_lo, exec_lo, s0
	ds_bpermute_b32 v20, v37, v18
	ds_bpermute_b32 v21, v37, v19
	s_wait_storecnt_dscnt 0x0
	v_add_nc_u32_e32 v2, v3, v2
	v_min_i64 v[18:19], v[20:21], v[18:19]
	ds_bpermute_b32 v20, v38, v18
	ds_bpermute_b32 v21, v38, v19
	s_wait_dscnt 0x0
	v_min_i64 v[18:19], v[20:21], v[18:19]
	ds_bpermute_b32 v20, v1, v18
	ds_bpermute_b32 v21, v1, v19
	s_wait_dscnt 0x0
	v_min_i64 v[18:19], v[20:21], v[18:19]
	ds_bpermute_b32 v20, v39, v18
	ds_bpermute_b32 v21, v39, v19
	s_wait_dscnt 0x0
	v_min_i64 v[18:19], v[20:21], v[18:19]
	ds_bpermute_b32 v20, v34, v18
	ds_bpermute_b32 v21, v34, v19
	s_wait_dscnt 0x0
	v_min_i64 v[18:19], v[20:21], v[18:19]
	ds_bpermute_b32 v20, v35, v18
	ds_bpermute_b32 v21, v35, v19
	s_wait_dscnt 0x0
	v_min_i64 v[18:19], v[20:21], v[18:19]
	ds_bpermute_b32 v20, v40, v18
	s_wait_dscnt 0x0
	v_dual_mov_b32 v42, v20 :: v_dual_ashrrev_i32 v21, 31, v20
	s_delay_alu instid0(VALU_DEP_1) | instskip(SKIP_1) | instid1(SALU_CYCLE_1)
	v_cmp_le_i64_e32 vcc_lo, s[6:7], v[20:21]
	s_or_b32 s30, vcc_lo, s30
	s_and_not1_b32 exec_lo, exec_lo, s30
	s_cbranch_execz .LBB22_43
.LBB22_10:                              ; =>This Loop Header: Depth=1
                                        ;     Child Loop BB22_13 Depth 2
	v_mov_b64_e32 v[18:19], s[6:7]
	v_dual_mov_b32 v5, v31 :: v_dual_add_nc_u32 v22, v24, v0
	s_mov_b32 s31, exec_lo
	ds_store_b8 v30, v4 offset:4096
	ds_store_2addr_b32 v33, v4, v4 offset1:4
	ds_store_2addr_b32 v33, v4, v4 offset0:8 offset1:12
	s_wait_dscnt 0x0
	v_cmpx_lt_i32_e64 v22, v31
	s_cbranch_execz .LBB22_22
; %bb.11:                               ;   in Loop: Header=BB22_10 Depth=1
	v_mul_u64_e32 v[24:25], s[8:9], v[20:21]
	v_mov_b64_e32 v[18:19], s[6:7]
	v_mov_b32_e32 v3, v31
	s_mov_b32 s33, 0
	s_branch .LBB22_13
.LBB22_12:                              ;   in Loop: Header=BB22_13 Depth=2
	s_wait_xcnt 0x0
	s_or_b32 exec_lo, exec_lo, s0
	v_dual_mov_b32 v3, v5 :: v_dual_add_nc_u32 v22, 4, v22
	s_xor_b32 s10, vcc_lo, -1
	s_delay_alu instid0(VALU_DEP_1) | instskip(SKIP_1) | instid1(SALU_CYCLE_1)
	v_cmp_ge_i32_e64 s0, v22, v31
	s_or_b32 s0, s10, s0
	s_and_b32 s0, exec_lo, s0
	s_delay_alu instid0(SALU_CYCLE_1) | instskip(NEXT) | instid1(SALU_CYCLE_1)
	s_or_b32 s33, s0, s33
	s_and_not1_b32 exec_lo, exec_lo, s33
	s_cbranch_execz .LBB22_21
.LBB22_13:                              ;   Parent Loop BB22_10 Depth=1
                                        ; =>  This Inner Loop Header: Depth=2
	global_load_b64 v[26:27], v22, s[14:15] scale_offset
                                        ; implicit-def: $vgpr28_vgpr29
	s_mov_b32 s0, exec_lo
	s_wait_loadcnt 0x0
	v_sub_nc_u64_e64 v[26:27], v[26:27], s[18:19]
	s_delay_alu instid0(VALU_DEP_1) | instskip(SKIP_1) | instid1(VALU_DEP_1)
	v_or_b32_e32 v5, s9, v27
	s_wait_xcnt 0x0
	v_cmpx_ne_u64_e32 0, v[4:5]
	s_xor_b32 s34, exec_lo, s0
	s_cbranch_execz .LBB22_15
; %bb.14:                               ;   in Loop: Header=BB22_13 Depth=2
	s_mov_b32 s21, s20
	v_dual_mov_b32 v47, v4 :: v_dual_ashrrev_i32 v28, 31, v27
	s_add_nc_u64 s[22:23], s[8:9], s[20:21]
	v_mov_b32_e32 v51, v4
	s_xor_b64 s[22:23], s[22:23], s[20:21]
	s_delay_alu instid0(VALU_DEP_2)
	v_mov_b32_e32 v29, v28
	s_cvt_f32_u32 s0, s22
	s_cvt_f32_u32 s10, s23
	s_sub_nc_u64 s[38:39], 0, s[22:23]
	v_mov_b32_e32 v55, v4
	v_add_nc_u64_e32 v[44:45], v[26:27], v[28:29]
	s_fmamk_f32 s0, s10, 0x4f800000, s0
	s_delay_alu instid0(SALU_CYCLE_3) | instskip(NEXT) | instid1(VALU_DEP_1)
	v_s_rcp_f32 s0, s0
	v_xor_b32_e32 v50, v45, v28
	s_delay_alu instid0(VALU_DEP_2) | instskip(NEXT) | instid1(TRANS32_DEP_1)
	v_xor_b32_e32 v46, v44, v28
	s_mul_f32 s0, s0, 0x5f7ffffc
	s_delay_alu instid0(SALU_CYCLE_3) | instskip(NEXT) | instid1(SALU_CYCLE_3)
	s_mul_f32 s10, s0, 0x2f800000
	s_trunc_f32 s10, s10
	s_delay_alu instid0(SALU_CYCLE_3) | instskip(SKIP_1) | instid1(SALU_CYCLE_2)
	s_fmamk_f32 s0, s10, 0xcf800000, s0
	s_cvt_u32_f32 s37, s10
	s_cvt_u32_f32 s36, s0
	s_delay_alu instid0(SALU_CYCLE_3) | instskip(NEXT) | instid1(SALU_CYCLE_1)
	s_mul_u64 s[40:41], s[38:39], s[36:37]
	s_mul_hi_u32 s43, s36, s41
	s_mul_i32 s42, s36, s41
	s_mul_hi_u32 s10, s36, s40
	s_mul_i32 s21, s37, s40
	s_add_nc_u64 s[42:43], s[10:11], s[42:43]
	s_mul_hi_u32 s0, s37, s40
	s_mul_hi_u32 s35, s37, s41
	s_add_co_u32 s10, s42, s21
	s_add_co_ci_u32 s10, s43, s0
	s_mul_i32 s40, s37, s41
	s_add_co_ci_u32 s41, s35, 0
	s_delay_alu instid0(SALU_CYCLE_1) | instskip(NEXT) | instid1(SALU_CYCLE_1)
	s_add_nc_u64 s[40:41], s[10:11], s[40:41]
	s_add_co_u32 s36, s36, s40
	s_cselect_b32 s0, -1, 0
	s_delay_alu instid0(SALU_CYCLE_1) | instskip(SKIP_1) | instid1(SALU_CYCLE_1)
	s_cmp_lg_u32 s0, 0
	s_add_co_ci_u32 s37, s37, s41
	s_mul_u64 s[38:39], s[38:39], s[36:37]
	s_delay_alu instid0(SALU_CYCLE_1)
	s_mul_hi_u32 s41, s36, s39
	s_mul_i32 s40, s36, s39
	s_mul_hi_u32 s10, s36, s38
	s_mul_i32 s21, s37, s38
	s_add_nc_u64 s[40:41], s[10:11], s[40:41]
	s_mul_hi_u32 s0, s37, s38
	s_mul_hi_u32 s35, s37, s39
	s_add_co_u32 s10, s40, s21
	s_add_co_ci_u32 s10, s41, s0
	s_mul_i32 s38, s37, s39
	s_add_co_ci_u32 s39, s35, 0
	s_delay_alu instid0(SALU_CYCLE_1) | instskip(NEXT) | instid1(SALU_CYCLE_1)
	s_add_nc_u64 s[38:39], s[10:11], s[38:39]
	s_add_co_u32 s0, s36, s38
	s_cselect_b32 s10, -1, 0
	v_mul_hi_u32 v54, v46, s0
	s_cmp_lg_u32 s10, 0
	s_add_co_ci_u32 s10, s37, s39
	s_and_b64 s[36:37], s[0:1], s[2:3]
	v_mul_u64_e32 v[48:49], s[10:11], v[46:47]
	v_mul_u64_e32 v[44:45], s[36:37], v[50:51]
	;; [unrolled: 1-line block ×3, first 2 shown]
	s_delay_alu instid0(VALU_DEP_3) | instskip(NEXT) | instid1(VALU_DEP_1)
	v_add_nc_u64_e32 v[48:49], v[54:55], v[48:49]
	v_add_co_u32 v5, vcc_lo, v48, v44
	s_delay_alu instid0(VALU_DEP_2) | instskip(NEXT) | instid1(VALU_DEP_4)
	v_add_co_ci_u32_e32 v54, vcc_lo, v49, v45, vcc_lo
	v_add_co_ci_u32_e32 v53, vcc_lo, 0, v53, vcc_lo
	s_delay_alu instid0(VALU_DEP_1) | instskip(NEXT) | instid1(VALU_DEP_1)
	v_add_nc_u64_e32 v[44:45], v[54:55], v[52:53]
	v_mul_u64_e32 v[48:49], s[22:23], v[44:45]
	s_delay_alu instid0(VALU_DEP_1) | instskip(NEXT) | instid1(VALU_DEP_2)
	v_sub_nc_u32_e32 v5, v50, v49
	v_sub_co_u32 v23, vcc_lo, v46, v48
	s_delay_alu instid0(VALU_DEP_1) | instskip(NEXT) | instid1(VALU_DEP_3)
	v_sub_co_ci_u32_e64 v27, null, v50, v49, vcc_lo
	v_subrev_co_ci_u32_e64 v5, null, s23, v5, vcc_lo
	s_delay_alu instid0(VALU_DEP_3) | instskip(SKIP_1) | instid1(VALU_DEP_3)
	v_sub_co_u32 v25, s0, v23, s22
	v_add_nc_u64_e32 v[46:47], 2, v[44:45]
	v_subrev_co_ci_u32_e64 v5, null, 0, v5, s0
	s_delay_alu instid0(VALU_DEP_3) | instskip(SKIP_2) | instid1(VALU_DEP_4)
	v_cmp_le_u32_e32 vcc_lo, s22, v25
	v_add_nc_u64_e32 v[48:49], 1, v[44:45]
	v_cndmask_b32_e64 v25, 0, -1, vcc_lo
	v_cmp_le_u32_e32 vcc_lo, s23, v5
	v_cndmask_b32_e64 v29, 0, -1, vcc_lo
	v_cmp_le_u32_e32 vcc_lo, s22, v23
	;; [unrolled: 2-line block ×3, first 2 shown]
	v_cndmask_b32_e64 v43, 0, -1, vcc_lo
	v_cmp_eq_u32_e32 vcc_lo, s23, v5
	v_cndmask_b32_e32 v5, v29, v25, vcc_lo
	v_cmp_eq_u32_e32 vcc_lo, s23, v27
	s_delay_alu instid0(VALU_DEP_4) | instskip(NEXT) | instid1(VALU_DEP_3)
	v_cndmask_b32_e32 v23, v43, v23, vcc_lo
	v_cmp_ne_u32_e32 vcc_lo, 0, v5
	s_delay_alu instid0(VALU_DEP_2) | instskip(SKIP_1) | instid1(VALU_DEP_1)
	v_cmp_ne_u32_e64 s0, 0, v23
	v_dual_cndmask_b32 v5, v49, v47, vcc_lo :: v_dual_cndmask_b32 v23, v48, v46, vcc_lo
	v_dual_cndmask_b32 v5, v45, v5, s0 :: v_dual_bitop2_b32 v28, s20, v28 bitop3:0x14
	s_delay_alu instid0(VALU_DEP_1) | instskip(NEXT) | instid1(VALU_DEP_1)
	v_dual_cndmask_b32 v23, v44, v23, s0 :: v_dual_bitop2_b32 v45, v5, v28 bitop3:0x14
	v_dual_mov_b32 v29, v28 :: v_dual_bitop2_b32 v44, v23, v28 bitop3:0x14
	s_delay_alu instid0(VALU_DEP_1)
	v_sub_nc_u64_e32 v[28:29], v[44:45], v[28:29]
.LBB22_15:                              ;   in Loop: Header=BB22_13 Depth=2
	s_and_not1_saveexec_b32 s0, s34
	s_cbranch_execz .LBB22_17
; %bb.16:                               ;   in Loop: Header=BB22_13 Depth=2
	v_cvt_f32_u32_e32 v5, s8
	v_mov_b32_e32 v29, v4
	s_delay_alu instid0(VALU_DEP_2) | instskip(SKIP_1) | instid1(TRANS32_DEP_1)
	v_rcp_iflag_f32_e32 v5, v5
	v_nop
	v_mul_f32_e32 v5, 0x4f7ffffe, v5
	s_delay_alu instid0(VALU_DEP_1) | instskip(NEXT) | instid1(VALU_DEP_1)
	v_cvt_u32_f32_e32 v5, v5
	v_mul_lo_u32 v23, s29, v5
	s_delay_alu instid0(VALU_DEP_1) | instskip(NEXT) | instid1(VALU_DEP_1)
	v_mul_hi_u32 v23, v5, v23
	v_add_nc_u32_e32 v5, v5, v23
	s_delay_alu instid0(VALU_DEP_1) | instskip(NEXT) | instid1(VALU_DEP_1)
	v_mul_hi_u32 v5, v26, v5
	v_mul_lo_u32 v23, v5, s8
	s_delay_alu instid0(VALU_DEP_1) | instskip(NEXT) | instid1(VALU_DEP_1)
	v_sub_nc_u32_e32 v23, v26, v23
	v_subrev_nc_u32_e32 v27, s8, v23
	v_cmp_le_u32_e32 vcc_lo, s8, v23
	s_delay_alu instid0(VALU_DEP_2) | instskip(NEXT) | instid1(VALU_DEP_1)
	v_dual_add_nc_u32 v25, 1, v5 :: v_dual_cndmask_b32 v23, v23, v27, vcc_lo
	v_cndmask_b32_e32 v5, v5, v25, vcc_lo
	s_delay_alu instid0(VALU_DEP_2) | instskip(NEXT) | instid1(VALU_DEP_2)
	v_cmp_le_u32_e32 vcc_lo, s8, v23
	v_add_nc_u32_e32 v25, 1, v5
	s_delay_alu instid0(VALU_DEP_1)
	v_cndmask_b32_e32 v28, v5, v25, vcc_lo
.LBB22_17:                              ;   in Loop: Header=BB22_13 Depth=2
	s_or_b32 exec_lo, exec_lo, s0
	s_delay_alu instid0(VALU_DEP_1) | instskip(SKIP_2) | instid1(SALU_CYCLE_1)
	v_cmp_ne_u64_e64 s0, v[28:29], v[20:21]
	v_cmp_eq_u64_e32 vcc_lo, v[28:29], v[20:21]
	s_and_saveexec_b32 s10, s0
	s_xor_b32 s0, exec_lo, s10
; %bb.18:                               ;   in Loop: Header=BB22_13 Depth=2
	v_min_i64 v[18:19], v[28:29], v[18:19]
                                        ; implicit-def: $vgpr26_vgpr27
                                        ; implicit-def: $vgpr3
; %bb.19:                               ;   in Loop: Header=BB22_13 Depth=2
	s_or_saveexec_b32 s0, s0
	v_mov_b32_e32 v5, v22
	s_xor_b32 exec_lo, exec_lo, s0
	s_cbranch_execz .LBB22_12
; %bb.20:                               ;   in Loop: Header=BB22_13 Depth=2
	v_dual_ashrrev_i32 v23, 31, v22 :: v_dual_sub_nc_u32 v5, v26, v24
	s_delay_alu instid0(VALU_DEP_1) | instskip(NEXT) | instid1(VALU_DEP_2)
	v_lshl_add_u64 v[28:29], v[22:23], 2, s[16:17]
	v_lshl_add_u32 v25, v5, 2, v32
	v_mov_b32_e32 v5, v3
	global_load_b32 v23, v[28:29], off
	ds_store_b8 v30, v41 offset:4096
	s_wait_loadcnt 0x0
	ds_store_b32 v25, v23
	s_branch .LBB22_12
.LBB22_21:                              ;   in Loop: Header=BB22_10 Depth=1
	s_or_b32 exec_lo, exec_lo, s33
.LBB22_22:                              ;   in Loop: Header=BB22_10 Depth=1
	s_delay_alu instid0(SALU_CYCLE_1)
	s_or_b32 exec_lo, exec_lo, s31
	ds_bpermute_b32 v3, v34, v5
	s_wait_dscnt 0x0
	ds_load_u8 v20, v30 offset:4096
	v_min_i32_e32 v3, v3, v5
	ds_bpermute_b32 v5, v35, v3
	s_wait_dscnt 0x0
	v_min_i32_e32 v3, v5, v3
	ds_bpermute_b32 v24, v36, v3
	v_and_b32_e32 v3, 1, v20
	s_delay_alu instid0(VALU_DEP_1)
	v_cmp_eq_u32_e32 vcc_lo, 1, v3
	v_mov_b32_e32 v3, 0
	s_and_saveexec_b32 s0, vcc_lo
	s_cbranch_execz .LBB22_9
; %bb.23:                               ;   in Loop: Header=BB22_10 Depth=1
	v_ashrrev_i32_e32 v3, 31, v2
	v_add_nc_u32_e32 v26, s24, v42
	s_delay_alu instid0(VALU_DEP_2) | instskip(NEXT) | instid1(VALU_DEP_2)
	v_mul_u64_e32 v[20:21], s[12:13], v[2:3]
	v_ashrrev_i32_e32 v27, 31, v26
	global_store_b64 v2, v[26:27], s[4:5] scale_offset
	v_lshlrev_b64_e32 v[20:21], 2, v[20:21]
	s_delay_alu instid0(VALU_DEP_1)
	v_add_nc_u64_e32 v[22:23], v[6:7], v[20:21]
	v_add_nc_u64_e32 v[20:21], v[16:17], v[20:21]
	s_wait_xcnt 0x0
	s_and_saveexec_b32 s10, s26
	s_cbranch_execz .LBB22_27
; %bb.24:                               ;   in Loop: Header=BB22_10 Depth=1
	ds_load_b32 v3, v33
	s_and_b32 vcc_lo, exec_lo, s25
	s_cbranch_vccz .LBB22_38
; %bb.25:                               ;   in Loop: Header=BB22_10 Depth=1
	v_lshl_add_u64 v[26:27], v[8:9], 2, v[22:23]
	s_wait_dscnt 0x0
	global_store_b32 v[26:27], v3, off
	s_cbranch_execnz .LBB22_27
.LBB22_26:                              ;   in Loop: Header=BB22_10 Depth=1
	s_wait_xcnt 0x0
	v_dual_mov_b32 v27, v4 :: v_dual_lshlrev_b32 v26, 2, v0
	s_delay_alu instid0(VALU_DEP_1)
	v_add_nc_u64_e32 v[26:27], v[20:21], v[26:27]
	s_wait_dscnt 0x0
	global_store_b32 v[26:27], v3, off
.LBB22_27:                              ;   in Loop: Header=BB22_10 Depth=1
	s_wait_xcnt 0x0
	s_or_b32 exec_lo, exec_lo, s10
	s_and_saveexec_b32 s10, s27
	s_cbranch_execz .LBB22_31
; %bb.28:                               ;   in Loop: Header=BB22_10 Depth=1
	s_and_not1_b32 vcc_lo, exec_lo, s25
	s_cbranch_vccnz .LBB22_39
; %bb.29:                               ;   in Loop: Header=BB22_10 Depth=1
	s_wait_dscnt 0x0
	ds_load_b32 v3, v33 offset:16
	v_lshl_add_u64 v[26:27], v[10:11], 2, v[22:23]
	s_wait_dscnt 0x0
	global_store_b32 v[26:27], v3, off
	s_cbranch_execnz .LBB22_31
.LBB22_30:                              ;   in Loop: Header=BB22_10 Depth=1
	s_wait_dscnt 0x0
	s_wait_xcnt 0x0
	ds_load_b32 v3, v33 offset:16
	v_dual_mov_b32 v27, v4 :: v_dual_lshlrev_b32 v26, 2, v0
	s_delay_alu instid0(VALU_DEP_1)
	v_add_nc_u64_e32 v[26:27], v[20:21], v[26:27]
	s_wait_dscnt 0x0
	global_store_b32 v[26:27], v3, off offset:16
.LBB22_31:                              ;   in Loop: Header=BB22_10 Depth=1
	s_wait_xcnt 0x0
	s_or_b32 exec_lo, exec_lo, s10
	s_and_saveexec_b32 s10, s1
	s_cbranch_execz .LBB22_35
; %bb.32:                               ;   in Loop: Header=BB22_10 Depth=1
	s_and_not1_b32 vcc_lo, exec_lo, s25
	s_cbranch_vccnz .LBB22_40
; %bb.33:                               ;   in Loop: Header=BB22_10 Depth=1
	s_wait_dscnt 0x0
	ds_load_b32 v3, v33 offset:32
	v_lshl_add_u64 v[26:27], v[12:13], 2, v[22:23]
	s_wait_dscnt 0x0
	global_store_b32 v[26:27], v3, off
	s_cbranch_execnz .LBB22_35
.LBB22_34:                              ;   in Loop: Header=BB22_10 Depth=1
	s_wait_dscnt 0x0
	s_wait_xcnt 0x0
	ds_load_b32 v3, v33 offset:32
	v_dual_mov_b32 v27, v4 :: v_dual_lshlrev_b32 v26, 2, v0
	s_delay_alu instid0(VALU_DEP_1)
	v_add_nc_u64_e32 v[26:27], v[20:21], v[26:27]
	s_wait_dscnt 0x0
	global_store_b32 v[26:27], v3, off offset:32
.LBB22_35:                              ;   in Loop: Header=BB22_10 Depth=1
	s_wait_xcnt 0x0
	s_or_b32 exec_lo, exec_lo, s10
	s_and_saveexec_b32 s10, s28
	s_cbranch_execz .LBB22_8
; %bb.36:                               ;   in Loop: Header=BB22_10 Depth=1
	s_and_not1_b32 vcc_lo, exec_lo, s25
	s_cbranch_vccnz .LBB22_41
; %bb.37:                               ;   in Loop: Header=BB22_10 Depth=1
	s_wait_dscnt 0x0
	ds_load_b32 v3, v33 offset:48
	v_lshl_add_u64 v[22:23], v[14:15], 2, v[22:23]
	s_wait_dscnt 0x0
	global_store_b32 v[22:23], v3, off
	s_cbranch_execnz .LBB22_8
	s_branch .LBB22_42
.LBB22_38:                              ;   in Loop: Header=BB22_10 Depth=1
	s_branch .LBB22_26
.LBB22_39:                              ;   in Loop: Header=BB22_10 Depth=1
	s_branch .LBB22_30
.LBB22_40:                              ;   in Loop: Header=BB22_10 Depth=1
	s_branch .LBB22_34
.LBB22_41:                              ;   in Loop: Header=BB22_10 Depth=1
.LBB22_42:                              ;   in Loop: Header=BB22_10 Depth=1
	s_wait_dscnt 0x0
	s_wait_xcnt 0x0
	ds_load_b32 v3, v33 offset:48
	v_dual_mov_b32 v23, v4 :: v_dual_lshlrev_b32 v22, 2, v0
	s_delay_alu instid0(VALU_DEP_1)
	v_add_nc_u64_e32 v[20:21], v[20:21], v[22:23]
	s_wait_dscnt 0x0
	global_store_b32 v[20:21], v3, off offset:48
	s_branch .LBB22_8
.LBB22_43:
	s_endpgm
	.section	.rodata,"a",@progbits
	.p2align	6, 0x0
	.amdhsa_kernel _ZN9rocsparseL42csr2bsr_wavefront_per_row_multipass_kernelILj256ELj64ELj16EiilEEv20rocsparse_direction_T4_S2_S2_S2_S2_21rocsparse_index_base_PKT2_PKT3_PKS2_S3_PS4_PS7_PS2_
		.amdhsa_group_segment_fixed_size 4100
		.amdhsa_private_segment_fixed_size 0
		.amdhsa_kernarg_size 112
		.amdhsa_user_sgpr_count 2
		.amdhsa_user_sgpr_dispatch_ptr 0
		.amdhsa_user_sgpr_queue_ptr 0
		.amdhsa_user_sgpr_kernarg_segment_ptr 1
		.amdhsa_user_sgpr_dispatch_id 0
		.amdhsa_user_sgpr_kernarg_preload_length 0
		.amdhsa_user_sgpr_kernarg_preload_offset 0
		.amdhsa_user_sgpr_private_segment_size 0
		.amdhsa_wavefront_size32 1
		.amdhsa_uses_dynamic_stack 0
		.amdhsa_enable_private_segment 0
		.amdhsa_system_sgpr_workgroup_id_x 1
		.amdhsa_system_sgpr_workgroup_id_y 0
		.amdhsa_system_sgpr_workgroup_id_z 0
		.amdhsa_system_sgpr_workgroup_info 0
		.amdhsa_system_vgpr_workitem_id 0
		.amdhsa_next_free_vgpr 56
		.amdhsa_next_free_sgpr 44
		.amdhsa_named_barrier_count 0
		.amdhsa_reserve_vcc 1
		.amdhsa_float_round_mode_32 0
		.amdhsa_float_round_mode_16_64 0
		.amdhsa_float_denorm_mode_32 3
		.amdhsa_float_denorm_mode_16_64 3
		.amdhsa_fp16_overflow 0
		.amdhsa_memory_ordered 1
		.amdhsa_forward_progress 1
		.amdhsa_inst_pref_size 21
		.amdhsa_round_robin_scheduling 0
		.amdhsa_exception_fp_ieee_invalid_op 0
		.amdhsa_exception_fp_denorm_src 0
		.amdhsa_exception_fp_ieee_div_zero 0
		.amdhsa_exception_fp_ieee_overflow 0
		.amdhsa_exception_fp_ieee_underflow 0
		.amdhsa_exception_fp_ieee_inexact 0
		.amdhsa_exception_int_div_zero 0
	.end_amdhsa_kernel
	.section	.text._ZN9rocsparseL42csr2bsr_wavefront_per_row_multipass_kernelILj256ELj64ELj16EiilEEv20rocsparse_direction_T4_S2_S2_S2_S2_21rocsparse_index_base_PKT2_PKT3_PKS2_S3_PS4_PS7_PS2_,"axG",@progbits,_ZN9rocsparseL42csr2bsr_wavefront_per_row_multipass_kernelILj256ELj64ELj16EiilEEv20rocsparse_direction_T4_S2_S2_S2_S2_21rocsparse_index_base_PKT2_PKT3_PKS2_S3_PS4_PS7_PS2_,comdat
.Lfunc_end22:
	.size	_ZN9rocsparseL42csr2bsr_wavefront_per_row_multipass_kernelILj256ELj64ELj16EiilEEv20rocsparse_direction_T4_S2_S2_S2_S2_21rocsparse_index_base_PKT2_PKT3_PKS2_S3_PS4_PS7_PS2_, .Lfunc_end22-_ZN9rocsparseL42csr2bsr_wavefront_per_row_multipass_kernelILj256ELj64ELj16EiilEEv20rocsparse_direction_T4_S2_S2_S2_S2_21rocsparse_index_base_PKT2_PKT3_PKS2_S3_PS4_PS7_PS2_
                                        ; -- End function
	.set _ZN9rocsparseL42csr2bsr_wavefront_per_row_multipass_kernelILj256ELj64ELj16EiilEEv20rocsparse_direction_T4_S2_S2_S2_S2_21rocsparse_index_base_PKT2_PKT3_PKS2_S3_PS4_PS7_PS2_.num_vgpr, 56
	.set _ZN9rocsparseL42csr2bsr_wavefront_per_row_multipass_kernelILj256ELj64ELj16EiilEEv20rocsparse_direction_T4_S2_S2_S2_S2_21rocsparse_index_base_PKT2_PKT3_PKS2_S3_PS4_PS7_PS2_.num_agpr, 0
	.set _ZN9rocsparseL42csr2bsr_wavefront_per_row_multipass_kernelILj256ELj64ELj16EiilEEv20rocsparse_direction_T4_S2_S2_S2_S2_21rocsparse_index_base_PKT2_PKT3_PKS2_S3_PS4_PS7_PS2_.numbered_sgpr, 44
	.set _ZN9rocsparseL42csr2bsr_wavefront_per_row_multipass_kernelILj256ELj64ELj16EiilEEv20rocsparse_direction_T4_S2_S2_S2_S2_21rocsparse_index_base_PKT2_PKT3_PKS2_S3_PS4_PS7_PS2_.num_named_barrier, 0
	.set _ZN9rocsparseL42csr2bsr_wavefront_per_row_multipass_kernelILj256ELj64ELj16EiilEEv20rocsparse_direction_T4_S2_S2_S2_S2_21rocsparse_index_base_PKT2_PKT3_PKS2_S3_PS4_PS7_PS2_.private_seg_size, 0
	.set _ZN9rocsparseL42csr2bsr_wavefront_per_row_multipass_kernelILj256ELj64ELj16EiilEEv20rocsparse_direction_T4_S2_S2_S2_S2_21rocsparse_index_base_PKT2_PKT3_PKS2_S3_PS4_PS7_PS2_.uses_vcc, 1
	.set _ZN9rocsparseL42csr2bsr_wavefront_per_row_multipass_kernelILj256ELj64ELj16EiilEEv20rocsparse_direction_T4_S2_S2_S2_S2_21rocsparse_index_base_PKT2_PKT3_PKS2_S3_PS4_PS7_PS2_.uses_flat_scratch, 0
	.set _ZN9rocsparseL42csr2bsr_wavefront_per_row_multipass_kernelILj256ELj64ELj16EiilEEv20rocsparse_direction_T4_S2_S2_S2_S2_21rocsparse_index_base_PKT2_PKT3_PKS2_S3_PS4_PS7_PS2_.has_dyn_sized_stack, 0
	.set _ZN9rocsparseL42csr2bsr_wavefront_per_row_multipass_kernelILj256ELj64ELj16EiilEEv20rocsparse_direction_T4_S2_S2_S2_S2_21rocsparse_index_base_PKT2_PKT3_PKS2_S3_PS4_PS7_PS2_.has_recursion, 0
	.set _ZN9rocsparseL42csr2bsr_wavefront_per_row_multipass_kernelILj256ELj64ELj16EiilEEv20rocsparse_direction_T4_S2_S2_S2_S2_21rocsparse_index_base_PKT2_PKT3_PKS2_S3_PS4_PS7_PS2_.has_indirect_call, 0
	.section	.AMDGPU.csdata,"",@progbits
; Kernel info:
; codeLenInByte = 2604
; TotalNumSgprs: 46
; NumVgprs: 56
; ScratchSize: 0
; MemoryBound: 0
; FloatMode: 240
; IeeeMode: 1
; LDSByteSize: 4100 bytes/workgroup (compile time only)
; SGPRBlocks: 0
; VGPRBlocks: 3
; NumSGPRsForWavesPerEU: 46
; NumVGPRsForWavesPerEU: 56
; NamedBarCnt: 0
; Occupancy: 16
; WaveLimiterHint : 0
; COMPUTE_PGM_RSRC2:SCRATCH_EN: 0
; COMPUTE_PGM_RSRC2:USER_SGPR: 2
; COMPUTE_PGM_RSRC2:TRAP_HANDLER: 0
; COMPUTE_PGM_RSRC2:TGID_X_EN: 1
; COMPUTE_PGM_RSRC2:TGID_Y_EN: 0
; COMPUTE_PGM_RSRC2:TGID_Z_EN: 0
; COMPUTE_PGM_RSRC2:TIDIG_COMP_CNT: 0
	.section	.text._ZN9rocsparseL42csr2bsr_wavefront_per_row_multipass_kernelILj256ELj32ELj16EiilEEv20rocsparse_direction_T4_S2_S2_S2_S2_21rocsparse_index_base_PKT2_PKT3_PKS2_S3_PS4_PS7_PS2_,"axG",@progbits,_ZN9rocsparseL42csr2bsr_wavefront_per_row_multipass_kernelILj256ELj32ELj16EiilEEv20rocsparse_direction_T4_S2_S2_S2_S2_21rocsparse_index_base_PKT2_PKT3_PKS2_S3_PS4_PS7_PS2_,comdat
	.globl	_ZN9rocsparseL42csr2bsr_wavefront_per_row_multipass_kernelILj256ELj32ELj16EiilEEv20rocsparse_direction_T4_S2_S2_S2_S2_21rocsparse_index_base_PKT2_PKT3_PKS2_S3_PS4_PS7_PS2_ ; -- Begin function _ZN9rocsparseL42csr2bsr_wavefront_per_row_multipass_kernelILj256ELj32ELj16EiilEEv20rocsparse_direction_T4_S2_S2_S2_S2_21rocsparse_index_base_PKT2_PKT3_PKS2_S3_PS4_PS7_PS2_
	.p2align	8
	.type	_ZN9rocsparseL42csr2bsr_wavefront_per_row_multipass_kernelILj256ELj32ELj16EiilEEv20rocsparse_direction_T4_S2_S2_S2_S2_21rocsparse_index_base_PKT2_PKT3_PKS2_S3_PS4_PS7_PS2_,@function
_ZN9rocsparseL42csr2bsr_wavefront_per_row_multipass_kernelILj256ELj32ELj16EiilEEv20rocsparse_direction_T4_S2_S2_S2_S2_21rocsparse_index_base_PKT2_PKT3_PKS2_S3_PS4_PS7_PS2_: ; @_ZN9rocsparseL42csr2bsr_wavefront_per_row_multipass_kernelILj256ELj32ELj16EiilEEv20rocsparse_direction_T4_S2_S2_S2_S2_21rocsparse_index_base_PKT2_PKT3_PKS2_S3_PS4_PS7_PS2_
; %bb.0:
	s_bfe_u32 s2, ttmp6, 0x4000c
	s_clause 0x1
	s_load_b96 s[12:14], s[0:1], 0x28
	s_load_b64 s[6:7], s[0:1], 0x40
	s_add_co_i32 s2, s2, 1
	s_and_b32 s3, ttmp6, 15
	s_mul_i32 s2, ttmp9, s2
	s_getreg_b32 s4, hwreg(HW_REG_IB_STS2, 6, 4)
	s_add_co_i32 s3, s3, s2
	s_cmp_eq_u32 s4, 0
	v_dual_mov_b32 v39, 0 :: v_dual_lshrrev_b32 v38, 5, v0
	s_cselect_b32 s4, ttmp9, s3
	v_bfe_u32 v8, v0, 1, 4
	s_ashr_i32 s5, s4, 31
	v_mov_b32_e32 v32, 0
	s_lshl_b64 s[2:3], s[4:5], 3
	s_delay_alu instid0(SALU_CYCLE_1) | instskip(SKIP_2) | instid1(VALU_DEP_1)
	v_dual_mov_b32 v9, v39 :: v_dual_bitop2_b32 v1, s2, v38 bitop3:0x54
	s_load_b128 s[8:11], s[0:1], 0x18
	s_wait_kmcnt 0x0
	v_mad_nc_u64_u32 v[2:3], v1, s12, v[8:9]
	s_delay_alu instid0(VALU_DEP_1) | instskip(SKIP_1) | instid1(VALU_DEP_1)
	v_mad_u32 v3, s3, s12, v3
	s_load_b64 s[2:3], s[0:1], 0x8
	v_mad_u32 v3, v1, s13, v3
	s_wait_kmcnt 0x0
	s_delay_alu instid0(VALU_DEP_1) | instskip(SKIP_2) | instid1(SALU_CYCLE_1)
	v_cmp_gt_i64_e32 vcc_lo, s[2:3], v[2:3]
	v_cmp_gt_i64_e64 s2, s[12:13], v[8:9]
	s_and_b32 s3, s2, vcc_lo
	s_and_saveexec_b32 s5, s3
	s_cbranch_execz .LBB23_2
; %bb.1:
	v_lshl_add_u64 v[4:5], v[2:3], 2, s[6:7]
	global_load_b32 v1, v[4:5], off
	s_wait_loadcnt 0x0
	v_subrev_nc_u32_e32 v32, s14, v1
.LBB23_2:
	s_or_b32 exec_lo, exec_lo, s5
	s_and_saveexec_b32 s5, s3
	s_cbranch_execz .LBB23_4
; %bb.3:
	v_lshl_add_u64 v[2:3], v[2:3], 2, s[6:7]
	global_load_b32 v1, v[2:3], off offset:4
	s_wait_loadcnt 0x0
	v_subrev_nc_u32_e32 v39, s14, v1
.LBB23_4:
	s_or_b32 exec_lo, exec_lo, s5
	s_load_b32 s24, s[0:1], 0x50
	v_mov_b32_e32 v5, 0
	v_lshl_or_b32 v4, s4, 3, v38
	s_mov_b32 s3, exec_lo
	s_delay_alu instid0(VALU_DEP_2) | instskip(NEXT) | instid1(VALU_DEP_2)
	v_mov_b32_e32 v2, v5
	v_cmpx_gt_i64_e64 s[8:9], v[4:5]
	s_cbranch_execz .LBB23_6
; %bb.5:
	s_load_b64 s[4:5], s[0:1], 0x60
	s_wait_kmcnt 0x0
	v_lshl_add_u64 v[2:3], v[4:5], 2, s[4:5]
	global_load_b32 v1, v[2:3], off
	s_wait_loadcnt 0x0
	v_subrev_nc_u32_e32 v2, s24, v1
.LBB23_6:
	s_or_b32 exec_lo, exec_lo, s3
	v_cmp_lt_i64_e64 s3, s[10:11], 1
	s_and_b32 vcc_lo, exec_lo, s3
	s_cbranch_vccnz .LBB23_63
; %bb.7:
	v_mbcnt_lo_u32_b32 v3, -1, 0
	v_dual_lshlrev_b32 v1, 6, v8 :: v_dual_lshlrev_b32 v6, 2, v8
	v_mov_b32_e32 v4, 0
	v_mul_u64_e32 v[24:25], s[12:13], v[8:9]
	s_delay_alu instid0(VALU_DEP_4) | instskip(NEXT) | instid1(VALU_DEP_4)
	v_xor_b32_e32 v5, 1, v3
	v_lshl_or_b32 v40, v38, 10, v1
	s_delay_alu instid0(VALU_DEP_4) | instskip(SKIP_1) | instid1(VALU_DEP_4)
	v_dual_mov_b32 v7, v4 :: v_dual_bitop2_b32 v0, 1, v0 bitop3:0x40
	v_lshl_or_b32 v43, v3, 2, 4
	v_cmp_gt_i32_e32 vcc_lo, 32, v5
	s_delay_alu instid0(VALU_DEP_3) | instskip(SKIP_4) | instid1(VALU_DEP_3)
	v_dual_mov_b32 v27, v4 :: v_dual_bitop2_b32 v26, 2, v0 bitop3:0x54
	v_dual_mov_b32 v29, v4 :: v_dual_bitop2_b32 v28, 4, v0 bitop3:0x54
	v_dual_cndmask_b32 v1, v3, v5, vcc_lo :: v_dual_bitop2_b32 v5, 8, v3 bitop3:0x14
	v_dual_mov_b32 v35, v4 :: v_dual_bitop2_b32 v30, 6, v0 bitop3:0x54
	v_dual_mov_b32 v37, v4 :: v_dual_bitop2_b32 v34, 8, v0 bitop3:0x54
	v_dual_lshlrev_b32 v42, 2, v1 :: v_dual_bitop2_b32 v1, 16, v3 bitop3:0x14
	v_dual_mov_b32 v51, v4 :: v_dual_bitop2_b32 v36, 10, v0 bitop3:0x54
	v_dual_mov_b32 v53, v4 :: v_dual_bitop2_b32 v50, 12, v0 bitop3:0x54
	s_delay_alu instid0(VALU_DEP_3)
	v_cmp_gt_i32_e32 vcc_lo, 32, v1
	v_xor_b32_e32 v8, 4, v3
	v_mul_u64_e32 v[10:11], s[12:13], v[26:27]
	v_mul_u64_e32 v[12:13], s[12:13], v[28:29]
	;; [unrolled: 1-line block ×3, first 2 shown]
	v_cndmask_b32_e32 v33, v3, v1, vcc_lo
	v_cmp_gt_i32_e32 vcc_lo, 32, v5
	v_or_b32_e32 v52, 14, v0
	v_mul_u64_e32 v[18:19], s[12:13], v[36:37]
	v_mul_u64_e32 v[20:21], s[12:13], v[50:51]
	v_lshlrev_b32_e32 v44, 2, v33
	v_cndmask_b32_e32 v5, v3, v5, vcc_lo
	v_cmp_gt_i32_e32 vcc_lo, 32, v8
	v_mov_b32_e32 v1, v4
	v_mul_u64_e32 v[22:23], s[12:13], v[52:53]
	s_clause 0x4
	s_load_b64 s[4:5], s[0:1], 0x58
	s_load_b64 s[8:9], s[0:1], 0x48
	s_load_b64 s[16:17], s[0:1], 0x38
	s_load_b32 s3, s[0:1], 0x0
	s_load_b64 s[18:19], s[0:1], 0x68
	s_wait_xcnt 0x0
	v_cmp_gt_u64_e64 s0, s[12:13], v[26:27]
	v_dual_cndmask_b32 v46, v3, v8, vcc_lo :: v_dual_bitop2_b32 v8, 2, v3 bitop3:0x14
	v_cmp_gt_u64_e64 s1, s[12:13], v[28:29]
	v_cmp_gt_u64_e64 s6, s[12:13], v[50:51]
	;; [unrolled: 1-line block ×3, first 2 shown]
	v_mov_b64_e32 v[28:29], 0
	v_cmp_gt_i32_e32 vcc_lo, 32, v8
	v_mov_b32_e32 v31, v4
	v_lshl_or_b32 v41, v0, 2, v40
	v_dual_lshlrev_b32 v45, 2, v5 :: v_dual_lshlrev_b32 v46, 2, v46
	v_cndmask_b32_e32 v3, v3, v8, vcc_lo
	v_mul_u64_e32 v[8:9], s[12:13], v[0:1]
	v_mul_u64_e32 v[14:15], s[12:13], v[30:31]
	s_wait_kmcnt 0x0
	v_add_nc_u64_e32 v[6:7], s[4:5], v[6:7]
	v_lshl_add_u64 v[24:25], v[24:25], 2, s[4:5]
	v_cmp_gt_u64_e32 vcc_lo, s[12:13], v[0:1]
	s_cmp_lg_u32 s3, 0
	v_cmp_gt_u64_e64 s3, s[12:13], v[30:31]
	v_cmp_gt_u64_e64 s4, s[12:13], v[34:35]
	v_cmp_gt_u64_e64 s5, s[12:13], v[36:37]
	v_dual_mov_b32 v48, 0x7c :: v_dual_lshlrev_b32 v47, 2, v3
	v_dual_mov_b32 v1, 1 :: v_dual_mov_b32 v49, 0
	s_mov_b32 s15, 0
	s_mul_u64 s[20:21], s[12:13], s[12:13]
	s_mov_b32 s22, s14
	s_mov_b32 s23, s15
	s_cselect_b32 s25, -1, 0
	s_and_b32 s26, s2, vcc_lo
	s_and_b32 s27, s2, s0
	s_and_b32 s1, s2, s1
	;; [unrolled: 1-line block ×7, first 2 shown]
	s_mov_b64 s[2:3], 0xffffffff
	s_ashr_i32 s4, s13, 31
	s_sub_co_i32 s34, 0, s12
	s_mov_b32 s35, 0
	s_branch .LBB23_10
.LBB23_8:                               ;   in Loop: Header=BB23_10 Depth=1
	s_wait_xcnt 0x0
	s_or_b32 exec_lo, exec_lo, s5
	s_wait_dscnt 0x0
	v_mov_b32_e32 v3, 1
.LBB23_9:                               ;   in Loop: Header=BB23_10 Depth=1
	s_or_b32 exec_lo, exec_lo, s0
	ds_bpermute_b32 v28, v44, v26
	ds_bpermute_b32 v29, v44, v27
	s_wait_storecnt_dscnt 0x0
	v_add_nc_u32_e32 v2, v3, v2
	v_min_i64 v[26:27], v[28:29], v[26:27]
	ds_bpermute_b32 v28, v45, v26
	ds_bpermute_b32 v29, v45, v27
	s_wait_dscnt 0x0
	v_min_i64 v[26:27], v[28:29], v[26:27]
	ds_bpermute_b32 v28, v46, v26
	ds_bpermute_b32 v29, v46, v27
	s_wait_dscnt 0x0
	;; [unrolled: 4-line block ×4, first 2 shown]
	v_min_i64 v[26:27], v[28:29], v[26:27]
	ds_bpermute_b32 v28, v48, v26
	s_wait_dscnt 0x0
	v_dual_ashrrev_i32 v29, 31, v28 :: v_dual_mov_b32 v49, v28
	s_delay_alu instid0(VALU_DEP_1) | instskip(SKIP_1) | instid1(SALU_CYCLE_1)
	v_cmp_le_i64_e32 vcc_lo, s[10:11], v[28:29]
	s_or_b32 s35, vcc_lo, s35
	s_and_not1_b32 exec_lo, exec_lo, s35
	s_cbranch_execz .LBB23_63
.LBB23_10:                              ; =>This Loop Header: Depth=1
                                        ;     Child Loop BB23_13 Depth 2
	v_mov_b64_e32 v[26:27], s[10:11]
	v_dual_mov_b32 v5, v39 :: v_dual_add_nc_u32 v30, v32, v0
	s_mov_b32 s36, exec_lo
	ds_store_b8 v38, v4 offset:8192
	ds_store_2addr_b32 v41, v4, v4 offset1:2
	ds_store_2addr_b32 v41, v4, v4 offset0:4 offset1:6
	ds_store_2addr_b32 v41, v4, v4 offset0:8 offset1:10
	;; [unrolled: 1-line block ×3, first 2 shown]
	s_wait_dscnt 0x0
	v_cmpx_lt_i32_e64 v30, v39
	s_cbranch_execz .LBB23_22
; %bb.11:                               ;   in Loop: Header=BB23_10 Depth=1
	v_mul_u64_e32 v[32:33], s[12:13], v[28:29]
	v_mov_b64_e32 v[26:27], s[10:11]
	v_mov_b32_e32 v3, v39
	s_mov_b32 s37, 0
	s_branch .LBB23_13
.LBB23_12:                              ;   in Loop: Header=BB23_13 Depth=2
	s_wait_xcnt 0x0
	s_or_b32 exec_lo, exec_lo, s0
	v_dual_mov_b32 v3, v5 :: v_dual_add_nc_u32 v30, 2, v30
	s_xor_b32 s5, vcc_lo, -1
	s_delay_alu instid0(VALU_DEP_1) | instskip(SKIP_1) | instid1(SALU_CYCLE_1)
	v_cmp_ge_i32_e64 s0, v30, v39
	s_or_b32 s0, s5, s0
	s_and_b32 s0, exec_lo, s0
	s_delay_alu instid0(SALU_CYCLE_1) | instskip(NEXT) | instid1(SALU_CYCLE_1)
	s_or_b32 s37, s0, s37
	s_and_not1_b32 exec_lo, exec_lo, s37
	s_cbranch_execz .LBB23_21
.LBB23_13:                              ;   Parent Loop BB23_10 Depth=1
                                        ; =>  This Inner Loop Header: Depth=2
	global_load_b64 v[34:35], v30, s[8:9] scale_offset
                                        ; implicit-def: $vgpr36_vgpr37
	s_mov_b32 s0, exec_lo
	s_wait_loadcnt 0x0
	v_sub_nc_u64_e64 v[34:35], v[34:35], s[22:23]
	s_delay_alu instid0(VALU_DEP_1) | instskip(SKIP_1) | instid1(VALU_DEP_1)
	v_or_b32_e32 v5, s13, v35
	s_wait_xcnt 0x0
	v_cmpx_ne_u64_e32 0, v[4:5]
	s_xor_b32 s38, exec_lo, s0
	s_cbranch_execz .LBB23_15
; %bb.14:                               ;   in Loop: Header=BB23_13 Depth=2
	s_mov_b32 s5, s4
	v_dual_mov_b32 v53, v4 :: v_dual_ashrrev_i32 v36, 31, v35
	s_add_nc_u64 s[6:7], s[12:13], s[4:5]
	v_mov_b32_e32 v61, v4
	s_xor_b64 s[6:7], s[6:7], s[4:5]
	s_delay_alu instid0(VALU_DEP_2) | instskip(SKIP_3) | instid1(VALU_DEP_1)
	v_mov_b32_e32 v37, v36
	s_cvt_f32_u32 s0, s6
	s_cvt_f32_u32 s5, s7
	s_sub_nc_u64 s[42:43], 0, s[6:7]
	v_add_nc_u64_e32 v[50:51], v[34:35], v[36:37]
	s_delay_alu instid0(SALU_CYCLE_1) | instskip(SKIP_1) | instid1(SALU_CYCLE_2)
	s_fmamk_f32 s0, s5, 0x4f800000, s0
	v_mov_b32_e32 v57, v4
	v_s_rcp_f32 s0, s0
	s_delay_alu instid0(VALU_DEP_2) | instskip(NEXT) | instid1(VALU_DEP_3)
	v_xor_b32_e32 v52, v50, v36
	v_xor_b32_e32 v56, v51, v36
	s_delay_alu instid0(TRANS32_DEP_1) | instskip(NEXT) | instid1(SALU_CYCLE_3)
	s_mul_f32 s0, s0, 0x5f7ffffc
	s_mul_f32 s5, s0, 0x2f800000
	s_delay_alu instid0(SALU_CYCLE_3) | instskip(NEXT) | instid1(SALU_CYCLE_3)
	s_trunc_f32 s5, s5
	s_fmamk_f32 s0, s5, 0xcf800000, s0
	s_cvt_u32_f32 s41, s5
	s_delay_alu instid0(SALU_CYCLE_2) | instskip(NEXT) | instid1(SALU_CYCLE_3)
	s_cvt_u32_f32 s40, s0
	s_mul_u64 s[44:45], s[42:43], s[40:41]
	s_delay_alu instid0(SALU_CYCLE_1)
	s_mul_hi_u32 s47, s40, s45
	s_mul_i32 s46, s40, s45
	s_mul_hi_u32 s14, s40, s44
	s_mul_i32 s5, s41, s44
	s_add_nc_u64 s[46:47], s[14:15], s[46:47]
	s_mul_hi_u32 s0, s41, s44
	s_mul_hi_u32 s39, s41, s45
	s_add_co_u32 s5, s46, s5
	s_add_co_ci_u32 s14, s47, s0
	s_mul_i32 s44, s41, s45
	s_add_co_ci_u32 s45, s39, 0
	s_delay_alu instid0(SALU_CYCLE_1) | instskip(NEXT) | instid1(SALU_CYCLE_1)
	s_add_nc_u64 s[44:45], s[14:15], s[44:45]
	s_add_co_u32 s40, s40, s44
	s_cselect_b32 s0, -1, 0
	s_delay_alu instid0(SALU_CYCLE_1) | instskip(SKIP_1) | instid1(SALU_CYCLE_1)
	s_cmp_lg_u32 s0, 0
	s_add_co_ci_u32 s41, s41, s45
	s_mul_u64 s[42:43], s[42:43], s[40:41]
	s_delay_alu instid0(SALU_CYCLE_1)
	s_mul_hi_u32 s45, s40, s43
	s_mul_i32 s44, s40, s43
	s_mul_hi_u32 s14, s40, s42
	s_mul_i32 s5, s41, s42
	s_add_nc_u64 s[44:45], s[14:15], s[44:45]
	s_mul_hi_u32 s0, s41, s42
	s_mul_hi_u32 s39, s41, s43
	s_add_co_u32 s5, s44, s5
	s_add_co_ci_u32 s14, s45, s0
	s_mul_i32 s42, s41, s43
	s_add_co_ci_u32 s43, s39, 0
	s_delay_alu instid0(SALU_CYCLE_1) | instskip(NEXT) | instid1(SALU_CYCLE_1)
	s_add_nc_u64 s[42:43], s[14:15], s[42:43]
	s_add_co_u32 s0, s40, s42
	s_cselect_b32 s5, -1, 0
	v_mul_hi_u32 v60, v52, s0
	s_cmp_lg_u32 s5, 0
	s_add_co_ci_u32 s14, s41, s43
	s_and_b64 s[40:41], s[0:1], s[2:3]
	v_mul_u64_e32 v[54:55], s[14:15], v[52:53]
	v_mul_u64_e32 v[50:51], s[40:41], v[56:57]
	;; [unrolled: 1-line block ×3, first 2 shown]
	s_delay_alu instid0(VALU_DEP_3) | instskip(NEXT) | instid1(VALU_DEP_1)
	v_add_nc_u64_e32 v[54:55], v[60:61], v[54:55]
	v_add_co_u32 v5, vcc_lo, v54, v50
	s_delay_alu instid0(VALU_DEP_2) | instskip(NEXT) | instid1(VALU_DEP_4)
	v_add_co_ci_u32_e32 v60, vcc_lo, v55, v51, vcc_lo
	v_add_co_ci_u32_e32 v59, vcc_lo, 0, v59, vcc_lo
	s_delay_alu instid0(VALU_DEP_1) | instskip(NEXT) | instid1(VALU_DEP_1)
	v_add_nc_u64_e32 v[50:51], v[60:61], v[58:59]
	v_mul_u64_e32 v[54:55], s[6:7], v[50:51]
	s_delay_alu instid0(VALU_DEP_1) | instskip(SKIP_1) | instid1(VALU_DEP_3)
	v_sub_co_u32 v31, vcc_lo, v52, v54
	v_add_nc_u64_e32 v[52:53], 2, v[50:51]
	v_sub_nc_u32_e32 v5, v56, v55
	v_sub_co_ci_u32_e64 v35, null, v56, v55, vcc_lo
	s_delay_alu instid0(VALU_DEP_4) | instskip(NEXT) | instid1(VALU_DEP_3)
	v_sub_co_u32 v33, s0, v31, s6
	v_subrev_co_ci_u32_e64 v5, null, s7, v5, vcc_lo
	v_add_nc_u64_e32 v[54:55], 1, v[50:51]
	s_delay_alu instid0(VALU_DEP_3) | instskip(NEXT) | instid1(VALU_DEP_3)
	v_cmp_le_u32_e32 vcc_lo, s6, v33
	v_subrev_co_ci_u32_e64 v5, null, 0, v5, s0
	v_cndmask_b32_e64 v33, 0, -1, vcc_lo
	s_delay_alu instid0(VALU_DEP_2)
	v_cmp_le_u32_e32 vcc_lo, s7, v5
	v_cndmask_b32_e64 v37, 0, -1, vcc_lo
	v_cmp_le_u32_e32 vcc_lo, s6, v31
	v_cndmask_b32_e64 v31, 0, -1, vcc_lo
	;; [unrolled: 2-line block ×3, first 2 shown]
	v_cmp_eq_u32_e32 vcc_lo, s7, v5
	v_cndmask_b32_e32 v5, v37, v33, vcc_lo
	v_cmp_eq_u32_e32 vcc_lo, s7, v35
	s_delay_alu instid0(VALU_DEP_4) | instskip(NEXT) | instid1(VALU_DEP_3)
	v_cndmask_b32_e32 v31, v56, v31, vcc_lo
	v_cmp_ne_u32_e32 vcc_lo, 0, v5
	v_cndmask_b32_e32 v5, v55, v53, vcc_lo
	s_delay_alu instid0(VALU_DEP_3) | instskip(SKIP_1) | instid1(VALU_DEP_2)
	v_cmp_ne_u32_e64 s0, 0, v31
	v_cndmask_b32_e32 v31, v54, v52, vcc_lo
	v_dual_cndmask_b32 v5, v51, v5, s0 :: v_dual_bitop2_b32 v36, s4, v36 bitop3:0x14
	s_delay_alu instid0(VALU_DEP_1) | instskip(NEXT) | instid1(VALU_DEP_2)
	v_dual_cndmask_b32 v31, v50, v31, s0 :: v_dual_mov_b32 v37, v36
	v_xor_b32_e32 v51, v5, v36
	s_delay_alu instid0(VALU_DEP_2) | instskip(NEXT) | instid1(VALU_DEP_1)
	v_xor_b32_e32 v50, v31, v36
	v_sub_nc_u64_e32 v[36:37], v[50:51], v[36:37]
.LBB23_15:                              ;   in Loop: Header=BB23_13 Depth=2
	s_and_not1_saveexec_b32 s0, s38
	s_cbranch_execz .LBB23_17
; %bb.16:                               ;   in Loop: Header=BB23_13 Depth=2
	v_cvt_f32_u32_e32 v5, s12
	v_mov_b32_e32 v37, v4
	s_delay_alu instid0(VALU_DEP_2) | instskip(SKIP_1) | instid1(TRANS32_DEP_1)
	v_rcp_iflag_f32_e32 v5, v5
	v_nop
	v_mul_f32_e32 v5, 0x4f7ffffe, v5
	s_delay_alu instid0(VALU_DEP_1) | instskip(NEXT) | instid1(VALU_DEP_1)
	v_cvt_u32_f32_e32 v5, v5
	v_mul_lo_u32 v31, s34, v5
	s_delay_alu instid0(VALU_DEP_1) | instskip(NEXT) | instid1(VALU_DEP_1)
	v_mul_hi_u32 v31, v5, v31
	v_add_nc_u32_e32 v5, v5, v31
	s_delay_alu instid0(VALU_DEP_1) | instskip(NEXT) | instid1(VALU_DEP_1)
	v_mul_hi_u32 v5, v34, v5
	v_mul_lo_u32 v31, v5, s12
	s_delay_alu instid0(VALU_DEP_1) | instskip(NEXT) | instid1(VALU_DEP_1)
	v_sub_nc_u32_e32 v31, v34, v31
	v_subrev_nc_u32_e32 v35, s12, v31
	v_cmp_le_u32_e32 vcc_lo, s12, v31
	s_delay_alu instid0(VALU_DEP_2) | instskip(NEXT) | instid1(VALU_DEP_1)
	v_dual_add_nc_u32 v33, 1, v5 :: v_dual_cndmask_b32 v31, v31, v35, vcc_lo
	v_cndmask_b32_e32 v5, v5, v33, vcc_lo
	s_delay_alu instid0(VALU_DEP_2) | instskip(NEXT) | instid1(VALU_DEP_2)
	v_cmp_le_u32_e32 vcc_lo, s12, v31
	v_add_nc_u32_e32 v33, 1, v5
	s_delay_alu instid0(VALU_DEP_1)
	v_cndmask_b32_e32 v36, v5, v33, vcc_lo
.LBB23_17:                              ;   in Loop: Header=BB23_13 Depth=2
	s_or_b32 exec_lo, exec_lo, s0
	s_delay_alu instid0(VALU_DEP_1) | instskip(SKIP_2) | instid1(SALU_CYCLE_1)
	v_cmp_ne_u64_e64 s0, v[36:37], v[28:29]
	v_cmp_eq_u64_e32 vcc_lo, v[36:37], v[28:29]
	s_and_saveexec_b32 s5, s0
	s_xor_b32 s0, exec_lo, s5
; %bb.18:                               ;   in Loop: Header=BB23_13 Depth=2
	v_min_i64 v[26:27], v[36:37], v[26:27]
                                        ; implicit-def: $vgpr34_vgpr35
                                        ; implicit-def: $vgpr3
; %bb.19:                               ;   in Loop: Header=BB23_13 Depth=2
	s_or_saveexec_b32 s0, s0
	v_mov_b32_e32 v5, v30
	s_xor_b32 exec_lo, exec_lo, s0
	s_cbranch_execz .LBB23_12
; %bb.20:                               ;   in Loop: Header=BB23_13 Depth=2
	v_dual_ashrrev_i32 v31, 31, v30 :: v_dual_sub_nc_u32 v5, v34, v32
	s_delay_alu instid0(VALU_DEP_1) | instskip(NEXT) | instid1(VALU_DEP_2)
	v_lshl_add_u64 v[36:37], v[30:31], 2, s[16:17]
	v_lshl_add_u32 v33, v5, 2, v40
	v_mov_b32_e32 v5, v3
	global_load_b32 v31, v[36:37], off
	ds_store_b8 v38, v1 offset:8192
	s_wait_loadcnt 0x0
	ds_store_b32 v33, v31
	s_branch .LBB23_12
.LBB23_21:                              ;   in Loop: Header=BB23_10 Depth=1
	s_or_b32 exec_lo, exec_lo, s37
.LBB23_22:                              ;   in Loop: Header=BB23_10 Depth=1
	s_delay_alu instid0(SALU_CYCLE_1)
	s_or_b32 exec_lo, exec_lo, s36
	ds_bpermute_b32 v3, v42, v5
	s_wait_dscnt 0x0
	ds_load_u8 v28, v38 offset:8192
	v_min_i32_e32 v3, v3, v5
	ds_bpermute_b32 v32, v43, v3
	s_wait_dscnt 0x1
	v_and_b32_e32 v3, 1, v28
	s_delay_alu instid0(VALU_DEP_1)
	v_cmp_eq_u32_e32 vcc_lo, 1, v3
	v_mov_b32_e32 v3, 0
	s_and_saveexec_b32 s0, vcc_lo
	s_cbranch_execz .LBB23_9
; %bb.23:                               ;   in Loop: Header=BB23_10 Depth=1
	v_dual_ashrrev_i32 v3, 31, v2 :: v_dual_add_nc_u32 v34, s24, v49
	s_delay_alu instid0(VALU_DEP_1) | instskip(NEXT) | instid1(VALU_DEP_2)
	v_mul_u64_e32 v[28:29], s[20:21], v[2:3]
	v_ashrrev_i32_e32 v35, 31, v34
	global_store_b64 v2, v[34:35], s[18:19] scale_offset
	v_lshlrev_b64_e32 v[28:29], 2, v[28:29]
	s_delay_alu instid0(VALU_DEP_1)
	v_add_nc_u64_e32 v[30:31], v[6:7], v[28:29]
	v_add_nc_u64_e32 v[28:29], v[24:25], v[28:29]
	s_wait_xcnt 0x0
	s_and_saveexec_b32 s5, s26
	s_cbranch_execz .LBB23_27
; %bb.24:                               ;   in Loop: Header=BB23_10 Depth=1
	ds_load_b32 v3, v41
	s_and_b32 vcc_lo, exec_lo, s25
	s_cbranch_vccz .LBB23_54
; %bb.25:                               ;   in Loop: Header=BB23_10 Depth=1
	v_lshl_add_u64 v[34:35], v[8:9], 2, v[30:31]
	s_wait_dscnt 0x0
	global_store_b32 v[34:35], v3, off
	s_cbranch_execnz .LBB23_27
.LBB23_26:                              ;   in Loop: Header=BB23_10 Depth=1
	s_wait_xcnt 0x0
	v_dual_mov_b32 v35, v4 :: v_dual_lshlrev_b32 v34, 2, v0
	s_delay_alu instid0(VALU_DEP_1)
	v_add_nc_u64_e32 v[34:35], v[28:29], v[34:35]
	s_wait_dscnt 0x0
	global_store_b32 v[34:35], v3, off
.LBB23_27:                              ;   in Loop: Header=BB23_10 Depth=1
	s_wait_xcnt 0x0
	s_or_b32 exec_lo, exec_lo, s5
	s_and_saveexec_b32 s5, s27
	s_cbranch_execz .LBB23_31
; %bb.28:                               ;   in Loop: Header=BB23_10 Depth=1
	s_and_not1_b32 vcc_lo, exec_lo, s25
	s_cbranch_vccnz .LBB23_55
; %bb.29:                               ;   in Loop: Header=BB23_10 Depth=1
	s_wait_dscnt 0x0
	ds_load_b32 v3, v41 offset:8
	v_lshl_add_u64 v[34:35], v[10:11], 2, v[30:31]
	s_wait_dscnt 0x0
	global_store_b32 v[34:35], v3, off
	s_cbranch_execnz .LBB23_31
.LBB23_30:                              ;   in Loop: Header=BB23_10 Depth=1
	s_wait_dscnt 0x0
	s_wait_xcnt 0x0
	ds_load_b32 v3, v41 offset:8
	v_dual_mov_b32 v35, v4 :: v_dual_lshlrev_b32 v34, 2, v0
	s_delay_alu instid0(VALU_DEP_1)
	v_add_nc_u64_e32 v[34:35], v[28:29], v[34:35]
	s_wait_dscnt 0x0
	global_store_b32 v[34:35], v3, off offset:8
.LBB23_31:                              ;   in Loop: Header=BB23_10 Depth=1
	s_wait_xcnt 0x0
	s_or_b32 exec_lo, exec_lo, s5
	s_and_saveexec_b32 s5, s1
	s_cbranch_execz .LBB23_35
; %bb.32:                               ;   in Loop: Header=BB23_10 Depth=1
	s_and_not1_b32 vcc_lo, exec_lo, s25
	s_cbranch_vccnz .LBB23_56
; %bb.33:                               ;   in Loop: Header=BB23_10 Depth=1
	s_wait_dscnt 0x0
	ds_load_b32 v3, v41 offset:16
	v_lshl_add_u64 v[34:35], v[12:13], 2, v[30:31]
	s_wait_dscnt 0x0
	global_store_b32 v[34:35], v3, off
	s_cbranch_execnz .LBB23_35
.LBB23_34:                              ;   in Loop: Header=BB23_10 Depth=1
	s_wait_dscnt 0x0
	s_wait_xcnt 0x0
	ds_load_b32 v3, v41 offset:16
	v_dual_mov_b32 v35, v4 :: v_dual_lshlrev_b32 v34, 2, v0
	s_delay_alu instid0(VALU_DEP_1)
	v_add_nc_u64_e32 v[34:35], v[28:29], v[34:35]
	s_wait_dscnt 0x0
	global_store_b32 v[34:35], v3, off offset:16
.LBB23_35:                              ;   in Loop: Header=BB23_10 Depth=1
	s_wait_xcnt 0x0
	s_or_b32 exec_lo, exec_lo, s5
	s_and_saveexec_b32 s5, s28
	s_cbranch_execz .LBB23_39
; %bb.36:                               ;   in Loop: Header=BB23_10 Depth=1
	s_and_not1_b32 vcc_lo, exec_lo, s25
	s_cbranch_vccnz .LBB23_57
; %bb.37:                               ;   in Loop: Header=BB23_10 Depth=1
	s_wait_dscnt 0x0
	ds_load_b32 v3, v41 offset:24
	v_lshl_add_u64 v[34:35], v[14:15], 2, v[30:31]
	s_wait_dscnt 0x0
	global_store_b32 v[34:35], v3, off
	s_cbranch_execnz .LBB23_39
.LBB23_38:                              ;   in Loop: Header=BB23_10 Depth=1
	s_wait_dscnt 0x0
	s_wait_xcnt 0x0
	ds_load_b32 v3, v41 offset:24
	v_dual_mov_b32 v35, v4 :: v_dual_lshlrev_b32 v34, 2, v0
	s_delay_alu instid0(VALU_DEP_1)
	v_add_nc_u64_e32 v[34:35], v[28:29], v[34:35]
	s_wait_dscnt 0x0
	global_store_b32 v[34:35], v3, off offset:24
.LBB23_39:                              ;   in Loop: Header=BB23_10 Depth=1
	s_wait_xcnt 0x0
	s_or_b32 exec_lo, exec_lo, s5
	s_and_saveexec_b32 s5, s29
	s_cbranch_execz .LBB23_43
; %bb.40:                               ;   in Loop: Header=BB23_10 Depth=1
	s_and_not1_b32 vcc_lo, exec_lo, s25
	s_cbranch_vccnz .LBB23_58
; %bb.41:                               ;   in Loop: Header=BB23_10 Depth=1
	s_wait_dscnt 0x0
	ds_load_b32 v3, v41 offset:32
	v_lshl_add_u64 v[34:35], v[16:17], 2, v[30:31]
	s_wait_dscnt 0x0
	global_store_b32 v[34:35], v3, off
	s_cbranch_execnz .LBB23_43
.LBB23_42:                              ;   in Loop: Header=BB23_10 Depth=1
	s_wait_dscnt 0x0
	s_wait_xcnt 0x0
	ds_load_b32 v3, v41 offset:32
	v_dual_mov_b32 v35, v4 :: v_dual_lshlrev_b32 v34, 2, v0
	s_delay_alu instid0(VALU_DEP_1)
	v_add_nc_u64_e32 v[34:35], v[28:29], v[34:35]
	s_wait_dscnt 0x0
	global_store_b32 v[34:35], v3, off offset:32
.LBB23_43:                              ;   in Loop: Header=BB23_10 Depth=1
	s_wait_xcnt 0x0
	s_or_b32 exec_lo, exec_lo, s5
	s_and_saveexec_b32 s5, s30
	s_cbranch_execz .LBB23_47
; %bb.44:                               ;   in Loop: Header=BB23_10 Depth=1
	s_and_not1_b32 vcc_lo, exec_lo, s25
	s_cbranch_vccnz .LBB23_59
; %bb.45:                               ;   in Loop: Header=BB23_10 Depth=1
	s_wait_dscnt 0x0
	ds_load_b32 v3, v41 offset:40
	v_lshl_add_u64 v[34:35], v[18:19], 2, v[30:31]
	s_wait_dscnt 0x0
	global_store_b32 v[34:35], v3, off
	s_cbranch_execnz .LBB23_47
.LBB23_46:                              ;   in Loop: Header=BB23_10 Depth=1
	s_wait_dscnt 0x0
	s_wait_xcnt 0x0
	ds_load_b32 v3, v41 offset:40
	v_dual_mov_b32 v35, v4 :: v_dual_lshlrev_b32 v34, 2, v0
	s_delay_alu instid0(VALU_DEP_1)
	v_add_nc_u64_e32 v[34:35], v[28:29], v[34:35]
	s_wait_dscnt 0x0
	global_store_b32 v[34:35], v3, off offset:40
.LBB23_47:                              ;   in Loop: Header=BB23_10 Depth=1
	s_wait_xcnt 0x0
	s_or_b32 exec_lo, exec_lo, s5
	s_and_saveexec_b32 s5, s31
	s_cbranch_execz .LBB23_51
; %bb.48:                               ;   in Loop: Header=BB23_10 Depth=1
	s_and_not1_b32 vcc_lo, exec_lo, s25
	s_cbranch_vccnz .LBB23_60
; %bb.49:                               ;   in Loop: Header=BB23_10 Depth=1
	s_wait_dscnt 0x0
	ds_load_b32 v3, v41 offset:48
	v_lshl_add_u64 v[34:35], v[20:21], 2, v[30:31]
	s_wait_dscnt 0x0
	global_store_b32 v[34:35], v3, off
	s_cbranch_execnz .LBB23_51
.LBB23_50:                              ;   in Loop: Header=BB23_10 Depth=1
	s_wait_dscnt 0x0
	s_wait_xcnt 0x0
	ds_load_b32 v3, v41 offset:48
	v_dual_mov_b32 v35, v4 :: v_dual_lshlrev_b32 v34, 2, v0
	s_delay_alu instid0(VALU_DEP_1)
	v_add_nc_u64_e32 v[34:35], v[28:29], v[34:35]
	s_wait_dscnt 0x0
	global_store_b32 v[34:35], v3, off offset:48
.LBB23_51:                              ;   in Loop: Header=BB23_10 Depth=1
	s_wait_xcnt 0x0
	s_or_b32 exec_lo, exec_lo, s5
	s_and_saveexec_b32 s5, s33
	s_cbranch_execz .LBB23_8
; %bb.52:                               ;   in Loop: Header=BB23_10 Depth=1
	s_and_not1_b32 vcc_lo, exec_lo, s25
	s_cbranch_vccnz .LBB23_61
; %bb.53:                               ;   in Loop: Header=BB23_10 Depth=1
	s_wait_dscnt 0x0
	ds_load_b32 v3, v41 offset:56
	v_lshl_add_u64 v[30:31], v[22:23], 2, v[30:31]
	s_wait_dscnt 0x0
	global_store_b32 v[30:31], v3, off
	s_cbranch_execnz .LBB23_8
	s_branch .LBB23_62
.LBB23_54:                              ;   in Loop: Header=BB23_10 Depth=1
	s_branch .LBB23_26
.LBB23_55:                              ;   in Loop: Header=BB23_10 Depth=1
	s_branch .LBB23_30
.LBB23_56:                              ;   in Loop: Header=BB23_10 Depth=1
	s_branch .LBB23_34
.LBB23_57:                              ;   in Loop: Header=BB23_10 Depth=1
	s_branch .LBB23_38
.LBB23_58:                              ;   in Loop: Header=BB23_10 Depth=1
	s_branch .LBB23_42
.LBB23_59:                              ;   in Loop: Header=BB23_10 Depth=1
	s_branch .LBB23_46
.LBB23_60:                              ;   in Loop: Header=BB23_10 Depth=1
	s_branch .LBB23_50
.LBB23_61:                              ;   in Loop: Header=BB23_10 Depth=1
.LBB23_62:                              ;   in Loop: Header=BB23_10 Depth=1
	s_wait_dscnt 0x0
	s_wait_xcnt 0x0
	ds_load_b32 v3, v41 offset:56
	v_dual_mov_b32 v31, v4 :: v_dual_lshlrev_b32 v30, 2, v0
	s_delay_alu instid0(VALU_DEP_1)
	v_add_nc_u64_e32 v[28:29], v[28:29], v[30:31]
	s_wait_dscnt 0x0
	global_store_b32 v[28:29], v3, off offset:56
	s_branch .LBB23_8
.LBB23_63:
	s_endpgm
	.section	.rodata,"a",@progbits
	.p2align	6, 0x0
	.amdhsa_kernel _ZN9rocsparseL42csr2bsr_wavefront_per_row_multipass_kernelILj256ELj32ELj16EiilEEv20rocsparse_direction_T4_S2_S2_S2_S2_21rocsparse_index_base_PKT2_PKT3_PKS2_S3_PS4_PS7_PS2_
		.amdhsa_group_segment_fixed_size 8200
		.amdhsa_private_segment_fixed_size 0
		.amdhsa_kernarg_size 112
		.amdhsa_user_sgpr_count 2
		.amdhsa_user_sgpr_dispatch_ptr 0
		.amdhsa_user_sgpr_queue_ptr 0
		.amdhsa_user_sgpr_kernarg_segment_ptr 1
		.amdhsa_user_sgpr_dispatch_id 0
		.amdhsa_user_sgpr_kernarg_preload_length 0
		.amdhsa_user_sgpr_kernarg_preload_offset 0
		.amdhsa_user_sgpr_private_segment_size 0
		.amdhsa_wavefront_size32 1
		.amdhsa_uses_dynamic_stack 0
		.amdhsa_enable_private_segment 0
		.amdhsa_system_sgpr_workgroup_id_x 1
		.amdhsa_system_sgpr_workgroup_id_y 0
		.amdhsa_system_sgpr_workgroup_id_z 0
		.amdhsa_system_sgpr_workgroup_info 0
		.amdhsa_system_vgpr_workitem_id 0
		.amdhsa_next_free_vgpr 62
		.amdhsa_next_free_sgpr 48
		.amdhsa_named_barrier_count 0
		.amdhsa_reserve_vcc 1
		.amdhsa_float_round_mode_32 0
		.amdhsa_float_round_mode_16_64 0
		.amdhsa_float_denorm_mode_32 3
		.amdhsa_float_denorm_mode_16_64 3
		.amdhsa_fp16_overflow 0
		.amdhsa_memory_ordered 1
		.amdhsa_forward_progress 1
		.amdhsa_inst_pref_size 25
		.amdhsa_round_robin_scheduling 0
		.amdhsa_exception_fp_ieee_invalid_op 0
		.amdhsa_exception_fp_denorm_src 0
		.amdhsa_exception_fp_ieee_div_zero 0
		.amdhsa_exception_fp_ieee_overflow 0
		.amdhsa_exception_fp_ieee_underflow 0
		.amdhsa_exception_fp_ieee_inexact 0
		.amdhsa_exception_int_div_zero 0
	.end_amdhsa_kernel
	.section	.text._ZN9rocsparseL42csr2bsr_wavefront_per_row_multipass_kernelILj256ELj32ELj16EiilEEv20rocsparse_direction_T4_S2_S2_S2_S2_21rocsparse_index_base_PKT2_PKT3_PKS2_S3_PS4_PS7_PS2_,"axG",@progbits,_ZN9rocsparseL42csr2bsr_wavefront_per_row_multipass_kernelILj256ELj32ELj16EiilEEv20rocsparse_direction_T4_S2_S2_S2_S2_21rocsparse_index_base_PKT2_PKT3_PKS2_S3_PS4_PS7_PS2_,comdat
.Lfunc_end23:
	.size	_ZN9rocsparseL42csr2bsr_wavefront_per_row_multipass_kernelILj256ELj32ELj16EiilEEv20rocsparse_direction_T4_S2_S2_S2_S2_21rocsparse_index_base_PKT2_PKT3_PKS2_S3_PS4_PS7_PS2_, .Lfunc_end23-_ZN9rocsparseL42csr2bsr_wavefront_per_row_multipass_kernelILj256ELj32ELj16EiilEEv20rocsparse_direction_T4_S2_S2_S2_S2_21rocsparse_index_base_PKT2_PKT3_PKS2_S3_PS4_PS7_PS2_
                                        ; -- End function
	.set _ZN9rocsparseL42csr2bsr_wavefront_per_row_multipass_kernelILj256ELj32ELj16EiilEEv20rocsparse_direction_T4_S2_S2_S2_S2_21rocsparse_index_base_PKT2_PKT3_PKS2_S3_PS4_PS7_PS2_.num_vgpr, 62
	.set _ZN9rocsparseL42csr2bsr_wavefront_per_row_multipass_kernelILj256ELj32ELj16EiilEEv20rocsparse_direction_T4_S2_S2_S2_S2_21rocsparse_index_base_PKT2_PKT3_PKS2_S3_PS4_PS7_PS2_.num_agpr, 0
	.set _ZN9rocsparseL42csr2bsr_wavefront_per_row_multipass_kernelILj256ELj32ELj16EiilEEv20rocsparse_direction_T4_S2_S2_S2_S2_21rocsparse_index_base_PKT2_PKT3_PKS2_S3_PS4_PS7_PS2_.numbered_sgpr, 48
	.set _ZN9rocsparseL42csr2bsr_wavefront_per_row_multipass_kernelILj256ELj32ELj16EiilEEv20rocsparse_direction_T4_S2_S2_S2_S2_21rocsparse_index_base_PKT2_PKT3_PKS2_S3_PS4_PS7_PS2_.num_named_barrier, 0
	.set _ZN9rocsparseL42csr2bsr_wavefront_per_row_multipass_kernelILj256ELj32ELj16EiilEEv20rocsparse_direction_T4_S2_S2_S2_S2_21rocsparse_index_base_PKT2_PKT3_PKS2_S3_PS4_PS7_PS2_.private_seg_size, 0
	.set _ZN9rocsparseL42csr2bsr_wavefront_per_row_multipass_kernelILj256ELj32ELj16EiilEEv20rocsparse_direction_T4_S2_S2_S2_S2_21rocsparse_index_base_PKT2_PKT3_PKS2_S3_PS4_PS7_PS2_.uses_vcc, 1
	.set _ZN9rocsparseL42csr2bsr_wavefront_per_row_multipass_kernelILj256ELj32ELj16EiilEEv20rocsparse_direction_T4_S2_S2_S2_S2_21rocsparse_index_base_PKT2_PKT3_PKS2_S3_PS4_PS7_PS2_.uses_flat_scratch, 0
	.set _ZN9rocsparseL42csr2bsr_wavefront_per_row_multipass_kernelILj256ELj32ELj16EiilEEv20rocsparse_direction_T4_S2_S2_S2_S2_21rocsparse_index_base_PKT2_PKT3_PKS2_S3_PS4_PS7_PS2_.has_dyn_sized_stack, 0
	.set _ZN9rocsparseL42csr2bsr_wavefront_per_row_multipass_kernelILj256ELj32ELj16EiilEEv20rocsparse_direction_T4_S2_S2_S2_S2_21rocsparse_index_base_PKT2_PKT3_PKS2_S3_PS4_PS7_PS2_.has_recursion, 0
	.set _ZN9rocsparseL42csr2bsr_wavefront_per_row_multipass_kernelILj256ELj32ELj16EiilEEv20rocsparse_direction_T4_S2_S2_S2_S2_21rocsparse_index_base_PKT2_PKT3_PKS2_S3_PS4_PS7_PS2_.has_indirect_call, 0
	.section	.AMDGPU.csdata,"",@progbits
; Kernel info:
; codeLenInByte = 3148
; TotalNumSgprs: 50
; NumVgprs: 62
; ScratchSize: 0
; MemoryBound: 0
; FloatMode: 240
; IeeeMode: 1
; LDSByteSize: 8200 bytes/workgroup (compile time only)
; SGPRBlocks: 0
; VGPRBlocks: 3
; NumSGPRsForWavesPerEU: 50
; NumVGPRsForWavesPerEU: 62
; NamedBarCnt: 0
; Occupancy: 16
; WaveLimiterHint : 0
; COMPUTE_PGM_RSRC2:SCRATCH_EN: 0
; COMPUTE_PGM_RSRC2:USER_SGPR: 2
; COMPUTE_PGM_RSRC2:TRAP_HANDLER: 0
; COMPUTE_PGM_RSRC2:TGID_X_EN: 1
; COMPUTE_PGM_RSRC2:TGID_Y_EN: 0
; COMPUTE_PGM_RSRC2:TGID_Z_EN: 0
; COMPUTE_PGM_RSRC2:TIDIG_COMP_CNT: 0
	.section	.text._ZN9rocsparseL38csr2bsr_block_per_row_multipass_kernelILj256ELj32EiilEEv20rocsparse_direction_T3_S2_S2_S2_S2_21rocsparse_index_base_PKT1_PKT2_PKS2_S3_PS4_PS7_PS2_,"axG",@progbits,_ZN9rocsparseL38csr2bsr_block_per_row_multipass_kernelILj256ELj32EiilEEv20rocsparse_direction_T3_S2_S2_S2_S2_21rocsparse_index_base_PKT1_PKT2_PKS2_S3_PS4_PS7_PS2_,comdat
	.globl	_ZN9rocsparseL38csr2bsr_block_per_row_multipass_kernelILj256ELj32EiilEEv20rocsparse_direction_T3_S2_S2_S2_S2_21rocsparse_index_base_PKT1_PKT2_PKS2_S3_PS4_PS7_PS2_ ; -- Begin function _ZN9rocsparseL38csr2bsr_block_per_row_multipass_kernelILj256ELj32EiilEEv20rocsparse_direction_T3_S2_S2_S2_S2_21rocsparse_index_base_PKT1_PKT2_PKS2_S3_PS4_PS7_PS2_
	.p2align	8
	.type	_ZN9rocsparseL38csr2bsr_block_per_row_multipass_kernelILj256ELj32EiilEEv20rocsparse_direction_T3_S2_S2_S2_S2_21rocsparse_index_base_PKT1_PKT2_PKS2_S3_PS4_PS7_PS2_,@function
_ZN9rocsparseL38csr2bsr_block_per_row_multipass_kernelILj256ELj32EiilEEv20rocsparse_direction_T3_S2_S2_S2_S2_21rocsparse_index_base_PKT1_PKT2_PKS2_S3_PS4_PS7_PS2_: ; @_ZN9rocsparseL38csr2bsr_block_per_row_multipass_kernelILj256ELj32EiilEEv20rocsparse_direction_T3_S2_S2_S2_S2_21rocsparse_index_base_PKT1_PKT2_PKS2_S3_PS4_PS7_PS2_
; %bb.0:
	s_clause 0x1
	s_load_b128 s[12:15], s[0:1], 0x20
	s_load_b64 s[6:7], s[0:1], 0x8
	s_bfe_u32 s3, ttmp6, 0x4000c
	v_dual_mov_b32 v28, 0 :: v_dual_lshrrev_b32 v6, 3, v0
	s_add_co_i32 s3, s3, 1
	s_and_b32 s2, ttmp6, 15
	s_mul_i32 s3, ttmp9, s3
	s_getreg_b32 s4, hwreg(HW_REG_IB_STS2, 6, 4)
	v_dual_mov_b32 v7, v28 :: v_dual_mov_b32 v22, 0
	s_add_co_i32 s2, s2, s3
	s_cmp_eq_u32 s4, 0
	s_clause 0x1
	s_load_b32 s20, s[0:1], 0x30
	s_load_b64 s[4:5], s[0:1], 0x40
	s_cselect_b32 s2, ttmp9, s2
	s_delay_alu instid0(SALU_CYCLE_1)
	s_ashr_i32 s3, s2, 31
	s_wait_kmcnt 0x0
	v_mad_nc_u64_u32 v[2:3], s14, s2, v[6:7]
	s_mul_i32 s8, s14, s3
	s_mul_i32 s9, s15, s2
	s_delay_alu instid0(VALU_DEP_1) | instid1(SALU_CYCLE_1)
	v_add3_u32 v3, s8, s9, v3
	v_cmp_gt_i64_e64 s8, s[14:15], v[6:7]
	s_delay_alu instid0(VALU_DEP_2) | instskip(SKIP_1) | instid1(SALU_CYCLE_1)
	v_cmp_gt_i64_e32 vcc_lo, s[6:7], v[2:3]
	s_and_b32 s6, s8, vcc_lo
	s_and_saveexec_b32 s7, s6
	s_cbranch_execnz .LBB24_3
; %bb.1:
	s_or_b32 exec_lo, exec_lo, s7
	s_and_saveexec_b32 s7, s6
	s_cbranch_execnz .LBB24_4
.LBB24_2:
	s_or_b32 exec_lo, exec_lo, s7
	v_cmp_lt_i64_e64 s4, s[12:13], 1
	s_and_b32 vcc_lo, exec_lo, s4
	s_cbranch_vccz .LBB24_5
	s_branch .LBB24_57
.LBB24_3:
	v_lshl_add_u64 v[4:5], v[2:3], 2, s[4:5]
	global_load_b32 v1, v[4:5], off
	s_wait_loadcnt 0x0
	v_subrev_nc_u32_e32 v22, s20, v1
	s_or_b32 exec_lo, exec_lo, s7
	s_and_saveexec_b32 s7, s6
	s_cbranch_execz .LBB24_2
.LBB24_4:
	v_lshl_add_u64 v[2:3], v[2:3], 2, s[4:5]
	global_load_b32 v1, v[2:3], off offset:4
	s_wait_loadcnt 0x0
	v_subrev_nc_u32_e32 v28, s20, v1
	s_or_b32 exec_lo, exec_lo, s7
	v_cmp_lt_i64_e64 s4, s[12:13], 1
	s_and_b32 vcc_lo, exec_lo, s4
	s_cbranch_vccnz .LBB24_57
.LBB24_5:
	v_mul_u64_e32 v[12:13], s[14:15], v[6:7]
	v_mbcnt_lo_u32_b32 v1, -1, 0
	s_clause 0x1
	s_load_b128 s[4:7], s[0:1], 0x58
	s_load_b64 s[22:23], s[0:1], 0x68
	v_dual_lshlrev_b32 v10, 2, v6 :: v_dual_mov_b32 v2, 0
	v_dual_lshlrev_b32 v29, 7, v6 :: v_dual_bitop2_b32 v4, 7, v0 bitop3:0x40
	v_xor_b32_e32 v3, 4, v1
	s_delay_alu instid0(VALU_DEP_3) | instskip(SKIP_2) | instid1(VALU_DEP_4)
	v_dual_mov_b32 v21, v2 :: v_dual_bitop2_b32 v6, 2, v1 bitop3:0x14
	v_dual_mov_b32 v5, v2 :: v_dual_bitop2_b32 v7, 1, v1 bitop3:0x14
	v_mov_b32_e32 v19, v2
	v_cmp_gt_i32_e32 vcc_lo, 32, v3
	v_or_b32_e32 v26, 24, v4
	v_dual_mov_b32 v25, v2 :: v_dual_bitop2_b32 v18, 8, v4 bitop3:0x54
	v_dual_mov_b32 v27, v2 :: v_dual_bitop2_b32 v24, 16, v4 bitop3:0x54
	v_cndmask_b32_e32 v3, v1, v3, vcc_lo
	v_cmp_gt_i32_e32 vcc_lo, 32, v6
	s_clause 0x2
	s_load_b96 s[16:18], s[0:1], 0x48
	s_load_b64 s[26:27], s[0:1], 0x38
	s_load_b32 s9, s[0:1], 0x0
	s_wait_xcnt 0x0
	s_lshl_b64 s[0:1], s[2:3], 2
	v_mul_u64_e32 v[8:9], s[14:15], v[18:19]
	s_wait_kmcnt 0x0
	s_add_nc_u64 s[0:1], s[6:7], s[0:1]
	v_cndmask_b32_e32 v14, v1, v6, vcc_lo
	v_cmp_gt_i32_e32 vcc_lo, 32, v7
	s_load_b32 s0, s[0:1], 0x0
	v_dual_mov_b32 v11, v2 :: v_dual_lshlrev_b32 v20, 2, v4
	v_cmp_gt_i64_e64 s10, s[14:15], v[24:25]
	v_cndmask_b32_e32 v23, v1, v7, vcc_lo
	v_mul_u64_e32 v[6:7], s[14:15], v[4:5]
	v_dual_lshlrev_b32 v30, 2, v3 :: v_dual_lshlrev_b32 v31, 2, v14
	v_lshl_add_u64 v[16:17], v[12:13], 2, s[4:5]
	v_mul_u64_e32 v[12:13], s[14:15], v[24:25]
	v_mul_u64_e32 v[14:15], s[14:15], v[26:27]
	v_cmp_gt_i64_e32 vcc_lo, s[14:15], v[4:5]
	v_add_nc_u64_e32 v[10:11], s[4:5], v[10:11]
	v_add_nc_u64_e32 v[16:17], v[16:17], v[20:21]
	v_dual_lshlrev_b32 v32, 2, v23 :: v_dual_lshlrev_b32 v34, 3, v0
	v_lshl_or_b32 v33, v1, 2, 28
	s_wait_xcnt 0x0
	v_cmp_gt_u32_e64 s1, 64, v0
	v_cmp_gt_u32_e64 s2, 32, v0
	;; [unrolled: 1-line block ×3, first 2 shown]
	s_wait_kmcnt 0x0
	s_sub_co_i32 s28, s0, s18
	s_cmp_lg_u32 s9, 0
	v_cmp_gt_i64_e64 s9, s[14:15], v[18:19]
	s_cselect_b32 s19, -1, 0
	s_and_b32 s33, s8, vcc_lo
	v_cmp_gt_i64_e32 vcc_lo, s[14:15], v[26:27]
	v_mov_b64_e32 v[18:19], 0
	v_cmp_gt_u32_e64 s0, 0x80, v0
	v_cmp_gt_u32_e64 s4, 8, v0
	;; [unrolled: 1-line block ×4, first 2 shown]
	v_cmp_eq_u32_e64 s7, 0, v0
	v_dual_add_nc_u32 v5, v20, v29 :: v_dual_mov_b32 v35, 1
	v_mov_b32_e32 v36, 0
	s_mov_b32 s11, 0
	s_mul_u64 s[24:25], s[14:15], s[14:15]
	s_mov_b32 s21, s11
	s_and_b32 s9, s8, s9
	s_and_b32 s38, s8, s10
	s_mov_b64 s[30:31], 0xffffffff
	s_and_b32 s39, s8, vcc_lo
	s_ashr_i32 s34, s15, 31
	s_sub_co_i32 s40, 0, s14
	s_branch .LBB24_7
.LBB24_6:                               ;   in Loop: Header=BB24_7 Depth=1
	s_or_b32 exec_lo, exec_lo, s10
	s_wait_dscnt 0x0
	s_barrier_signal -1
	s_barrier_wait -1
	ds_load_b64 v[18:19], v2
	s_add_co_i32 s28, s8, s28
	s_wait_dscnt 0x0
	s_barrier_signal -1
	s_barrier_wait -1
	v_dual_mov_b32 v36, v18 :: v_dual_ashrrev_i32 v19, 31, v18
	s_delay_alu instid0(VALU_DEP_1)
	v_cmp_gt_i64_e32 vcc_lo, s[12:13], v[18:19]
	s_cbranch_vccz .LBB24_57
.LBB24_7:                               ; =>This Loop Header: Depth=1
                                        ;     Child Loop BB24_10 Depth 2
	v_mov_b64_e32 v[0:1], s[12:13]
	v_dual_mov_b32 v3, v28 :: v_dual_add_nc_u32 v20, v22, v4
	s_mov_b32 s29, exec_lo
	ds_store_b8 v2, v2 offset:4096
	ds_store_2addr_b32 v5, v2, v2 offset1:8
	ds_store_2addr_b32 v5, v2, v2 offset0:16 offset1:24
	s_wait_dscnt 0x0
	s_barrier_signal -1
	s_barrier_wait -1
	v_cmpx_lt_i32_e64 v20, v28
	s_cbranch_execz .LBB24_19
; %bb.8:                                ;   in Loop: Header=BB24_7 Depth=1
	v_mul_u64_e32 v[22:23], s[14:15], v[18:19]
	v_mov_b64_e32 v[0:1], s[12:13]
	v_mov_b32_e32 v23, v28
	s_mov_b32 s41, 0
	s_branch .LBB24_10
.LBB24_9:                               ;   in Loop: Header=BB24_10 Depth=2
	s_wait_xcnt 0x0
	s_or_b32 exec_lo, exec_lo, s8
	v_dual_mov_b32 v23, v3 :: v_dual_add_nc_u32 v20, 8, v20
	s_xor_b32 s10, vcc_lo, -1
	s_delay_alu instid0(VALU_DEP_1) | instskip(SKIP_1) | instid1(SALU_CYCLE_1)
	v_cmp_ge_i32_e64 s8, v20, v28
	s_or_b32 s8, s10, s8
	s_and_b32 s8, exec_lo, s8
	s_delay_alu instid0(SALU_CYCLE_1) | instskip(NEXT) | instid1(SALU_CYCLE_1)
	s_or_b32 s41, s8, s41
	s_and_not1_b32 exec_lo, exec_lo, s41
	s_cbranch_execz .LBB24_18
.LBB24_10:                              ;   Parent Loop BB24_7 Depth=1
                                        ; =>  This Inner Loop Header: Depth=2
	global_load_b64 v[24:25], v20, s[16:17] scale_offset
                                        ; implicit-def: $vgpr26_vgpr27
	s_mov_b32 s8, exec_lo
	s_wait_loadcnt 0x0
	v_sub_nc_u64_e64 v[24:25], v[24:25], s[20:21]
	s_delay_alu instid0(VALU_DEP_1) | instskip(SKIP_1) | instid1(VALU_DEP_1)
	v_or_b32_e32 v3, s15, v25
	s_wait_xcnt 0x0
	v_cmpx_ne_u64_e32 0, v[2:3]
	s_xor_b32 s42, exec_lo, s8
	s_cbranch_execz .LBB24_12
; %bb.11:                               ;   in Loop: Header=BB24_10 Depth=2
	s_mov_b32 s35, s34
	v_dual_mov_b32 v41, v2 :: v_dual_ashrrev_i32 v26, 31, v25
	s_add_nc_u64 s[36:37], s[14:15], s[34:35]
	v_mov_b32_e32 v45, v2
	s_xor_b64 s[36:37], s[36:37], s[34:35]
	s_delay_alu instid0(VALU_DEP_2)
	v_mov_b32_e32 v27, v26
	s_cvt_f32_u32 s8, s36
	s_cvt_f32_u32 s10, s37
	s_sub_nc_u64 s[46:47], 0, s[36:37]
	v_mov_b32_e32 v49, v2
	v_add_nc_u64_e32 v[38:39], v[24:25], v[26:27]
	s_fmamk_f32 s8, s10, 0x4f800000, s8
	s_delay_alu instid0(SALU_CYCLE_3) | instskip(NEXT) | instid1(VALU_DEP_1)
	v_s_rcp_f32 s8, s8
	v_xor_b32_e32 v44, v39, v26
	s_delay_alu instid0(VALU_DEP_2) | instskip(SKIP_1) | instid1(TRANS32_DEP_1)
	v_xor_b32_e32 v40, v38, v26
	v_xor_b32_e32 v26, s34, v26
	s_mul_f32 s8, s8, 0x5f7ffffc
	s_delay_alu instid0(SALU_CYCLE_3) | instskip(NEXT) | instid1(SALU_CYCLE_3)
	s_mul_f32 s10, s8, 0x2f800000
	s_trunc_f32 s10, s10
	s_delay_alu instid0(SALU_CYCLE_3) | instskip(SKIP_1) | instid1(SALU_CYCLE_2)
	s_fmamk_f32 s8, s10, 0xcf800000, s8
	s_cvt_u32_f32 s45, s10
	s_cvt_u32_f32 s44, s8
	s_delay_alu instid0(SALU_CYCLE_3) | instskip(NEXT) | instid1(SALU_CYCLE_1)
	s_mul_u64 s[48:49], s[46:47], s[44:45]
	s_mul_hi_u32 s51, s44, s49
	s_mul_i32 s50, s44, s49
	s_mul_hi_u32 s10, s44, s48
	s_mul_i32 s35, s45, s48
	s_add_nc_u64 s[50:51], s[10:11], s[50:51]
	s_mul_hi_u32 s8, s45, s48
	s_mul_hi_u32 s43, s45, s49
	s_add_co_u32 s10, s50, s35
	s_add_co_ci_u32 s10, s51, s8
	s_mul_i32 s48, s45, s49
	s_add_co_ci_u32 s49, s43, 0
	s_delay_alu instid0(SALU_CYCLE_1) | instskip(NEXT) | instid1(SALU_CYCLE_1)
	s_add_nc_u64 s[48:49], s[10:11], s[48:49]
	s_add_co_u32 s44, s44, s48
	s_cselect_b32 s8, -1, 0
	s_delay_alu instid0(SALU_CYCLE_1) | instskip(SKIP_1) | instid1(SALU_CYCLE_1)
	s_cmp_lg_u32 s8, 0
	s_add_co_ci_u32 s45, s45, s49
	s_mul_u64 s[46:47], s[46:47], s[44:45]
	s_delay_alu instid0(SALU_CYCLE_1)
	s_mul_hi_u32 s49, s44, s47
	s_mul_i32 s48, s44, s47
	s_mul_hi_u32 s10, s44, s46
	s_mul_i32 s35, s45, s46
	s_add_nc_u64 s[48:49], s[10:11], s[48:49]
	s_mul_hi_u32 s8, s45, s46
	s_mul_hi_u32 s43, s45, s47
	s_add_co_u32 s10, s48, s35
	s_add_co_ci_u32 s10, s49, s8
	s_mul_i32 s46, s45, s47
	s_add_co_ci_u32 s47, s43, 0
	s_delay_alu instid0(SALU_CYCLE_1) | instskip(NEXT) | instid1(SALU_CYCLE_1)
	s_add_nc_u64 s[46:47], s[10:11], s[46:47]
	s_add_co_u32 s8, s44, s46
	s_cselect_b32 s10, -1, 0
	v_mul_hi_u32 v48, v40, s8
	s_cmp_lg_u32 s10, 0
	s_add_co_ci_u32 s10, s45, s47
	s_and_b64 s[44:45], s[8:9], s[30:31]
	v_mul_u64_e32 v[42:43], s[10:11], v[40:41]
	v_mul_u64_e32 v[38:39], s[44:45], v[44:45]
	;; [unrolled: 1-line block ×3, first 2 shown]
	s_delay_alu instid0(VALU_DEP_3) | instskip(NEXT) | instid1(VALU_DEP_1)
	v_add_nc_u64_e32 v[42:43], v[48:49], v[42:43]
	v_add_co_u32 v3, vcc_lo, v42, v38
	s_delay_alu instid0(VALU_DEP_2) | instskip(NEXT) | instid1(VALU_DEP_4)
	v_add_co_ci_u32_e32 v48, vcc_lo, v43, v39, vcc_lo
	v_add_co_ci_u32_e32 v47, vcc_lo, 0, v47, vcc_lo
	s_delay_alu instid0(VALU_DEP_1) | instskip(NEXT) | instid1(VALU_DEP_1)
	v_add_nc_u64_e32 v[38:39], v[48:49], v[46:47]
	v_mul_u64_e32 v[42:43], s[36:37], v[38:39]
	s_delay_alu instid0(VALU_DEP_1) | instskip(NEXT) | instid1(VALU_DEP_2)
	v_sub_nc_u32_e32 v3, v44, v43
	v_sub_co_u32 v21, vcc_lo, v40, v42
	s_delay_alu instid0(VALU_DEP_1) | instskip(NEXT) | instid1(VALU_DEP_3)
	v_sub_co_ci_u32_e64 v27, null, v44, v43, vcc_lo
	v_subrev_co_ci_u32_e64 v3, null, s37, v3, vcc_lo
	s_delay_alu instid0(VALU_DEP_3) | instskip(SKIP_1) | instid1(VALU_DEP_3)
	v_sub_co_u32 v25, s8, v21, s36
	v_add_nc_u64_e32 v[40:41], 2, v[38:39]
	v_subrev_co_ci_u32_e64 v3, null, 0, v3, s8
	s_delay_alu instid0(VALU_DEP_3) | instskip(SKIP_2) | instid1(VALU_DEP_4)
	v_cmp_le_u32_e32 vcc_lo, s36, v25
	v_add_nc_u64_e32 v[42:43], 1, v[38:39]
	v_cndmask_b32_e64 v25, 0, -1, vcc_lo
	v_cmp_le_u32_e32 vcc_lo, s37, v3
	v_cndmask_b32_e64 v37, 0, -1, vcc_lo
	v_cmp_le_u32_e32 vcc_lo, s36, v21
	;; [unrolled: 2-line block ×3, first 2 shown]
	v_cndmask_b32_e64 v44, 0, -1, vcc_lo
	v_cmp_eq_u32_e32 vcc_lo, s37, v3
	v_cndmask_b32_e32 v3, v37, v25, vcc_lo
	v_cmp_eq_u32_e32 vcc_lo, s37, v27
	s_delay_alu instid0(VALU_DEP_4) | instskip(NEXT) | instid1(VALU_DEP_3)
	v_dual_mov_b32 v27, v26 :: v_dual_cndmask_b32 v21, v44, v21, vcc_lo
	v_cmp_ne_u32_e32 vcc_lo, 0, v3
	s_delay_alu instid0(VALU_DEP_2) | instskip(SKIP_1) | instid1(VALU_DEP_1)
	v_cmp_ne_u32_e64 s8, 0, v21
	v_dual_cndmask_b32 v3, v43, v41, vcc_lo :: v_dual_cndmask_b32 v21, v42, v40, vcc_lo
	v_dual_cndmask_b32 v3, v39, v3, s8 :: v_dual_cndmask_b32 v21, v38, v21, s8
	s_delay_alu instid0(VALU_DEP_1) | instskip(NEXT) | instid1(VALU_DEP_2)
	v_xor_b32_e32 v39, v3, v26
	v_xor_b32_e32 v38, v21, v26
	s_delay_alu instid0(VALU_DEP_1)
	v_sub_nc_u64_e32 v[26:27], v[38:39], v[26:27]
.LBB24_12:                              ;   in Loop: Header=BB24_10 Depth=2
	s_and_not1_saveexec_b32 s8, s42
	s_cbranch_execz .LBB24_14
; %bb.13:                               ;   in Loop: Header=BB24_10 Depth=2
	v_cvt_f32_u32_e32 v3, s14
	v_mov_b32_e32 v27, v2
	s_delay_alu instid0(VALU_DEP_2) | instskip(SKIP_1) | instid1(TRANS32_DEP_1)
	v_rcp_iflag_f32_e32 v3, v3
	v_nop
	v_mul_f32_e32 v3, 0x4f7ffffe, v3
	s_delay_alu instid0(VALU_DEP_1) | instskip(NEXT) | instid1(VALU_DEP_1)
	v_cvt_u32_f32_e32 v3, v3
	v_mul_lo_u32 v21, s40, v3
	s_delay_alu instid0(VALU_DEP_1) | instskip(NEXT) | instid1(VALU_DEP_1)
	v_mul_hi_u32 v21, v3, v21
	v_add_nc_u32_e32 v3, v3, v21
	s_delay_alu instid0(VALU_DEP_1) | instskip(NEXT) | instid1(VALU_DEP_1)
	v_mul_hi_u32 v3, v24, v3
	v_mul_lo_u32 v21, v3, s14
	s_delay_alu instid0(VALU_DEP_1) | instskip(NEXT) | instid1(VALU_DEP_1)
	v_sub_nc_u32_e32 v21, v24, v21
	v_subrev_nc_u32_e32 v26, s14, v21
	v_cmp_le_u32_e32 vcc_lo, s14, v21
	s_delay_alu instid0(VALU_DEP_2) | instskip(NEXT) | instid1(VALU_DEP_1)
	v_dual_add_nc_u32 v25, 1, v3 :: v_dual_cndmask_b32 v21, v21, v26, vcc_lo
	v_cndmask_b32_e32 v3, v3, v25, vcc_lo
	s_delay_alu instid0(VALU_DEP_2) | instskip(NEXT) | instid1(VALU_DEP_2)
	v_cmp_le_u32_e32 vcc_lo, s14, v21
	v_add_nc_u32_e32 v25, 1, v3
	s_delay_alu instid0(VALU_DEP_1)
	v_cndmask_b32_e32 v26, v3, v25, vcc_lo
.LBB24_14:                              ;   in Loop: Header=BB24_10 Depth=2
	s_or_b32 exec_lo, exec_lo, s8
	s_delay_alu instid0(VALU_DEP_1) | instskip(SKIP_2) | instid1(SALU_CYCLE_1)
	v_cmp_ne_u64_e64 s8, v[26:27], v[18:19]
	v_cmp_eq_u64_e32 vcc_lo, v[26:27], v[18:19]
	s_and_saveexec_b32 s10, s8
	s_xor_b32 s8, exec_lo, s10
; %bb.15:                               ;   in Loop: Header=BB24_10 Depth=2
	v_min_i64 v[0:1], v[26:27], v[0:1]
                                        ; implicit-def: $vgpr24_vgpr25
                                        ; implicit-def: $vgpr23
; %bb.16:                               ;   in Loop: Header=BB24_10 Depth=2
	s_or_saveexec_b32 s8, s8
	v_mov_b32_e32 v3, v20
	s_xor_b32 exec_lo, exec_lo, s8
	s_cbranch_execz .LBB24_9
; %bb.17:                               ;   in Loop: Header=BB24_10 Depth=2
	v_dual_ashrrev_i32 v21, 31, v20 :: v_dual_sub_nc_u32 v3, v24, v22
	s_delay_alu instid0(VALU_DEP_1) | instskip(NEXT) | instid1(VALU_DEP_2)
	v_lshl_add_u64 v[26:27], v[20:21], 2, s[26:27]
	v_lshl_add_u32 v24, v3, 2, v29
	v_mov_b32_e32 v3, v23
	global_load_b32 v21, v[26:27], off
	ds_store_b8 v2, v35 offset:4096
	s_wait_loadcnt 0x0
	ds_store_b32 v24, v21
	s_branch .LBB24_9
.LBB24_18:                              ;   in Loop: Header=BB24_7 Depth=1
	s_or_b32 exec_lo, exec_lo, s41
.LBB24_19:                              ;   in Loop: Header=BB24_7 Depth=1
	s_delay_alu instid0(SALU_CYCLE_1)
	s_or_b32 exec_lo, exec_lo, s29
	ds_bpermute_b32 v18, v30, v3
	s_wait_dscnt 0x0
	s_barrier_signal -1
	s_barrier_wait -1
	ds_load_u8 v19, v2 offset:4096
	s_mov_b32 s8, 0
	v_min_i32_e32 v3, v18, v3
	ds_bpermute_b32 v18, v31, v3
	s_wait_dscnt 0x0
	v_min_i32_e32 v3, v18, v3
	ds_bpermute_b32 v18, v32, v3
	s_wait_dscnt 0x0
	v_min_i32_e32 v3, v18, v3
	ds_bpermute_b32 v22, v33, v3
	v_and_b32_e32 v3, 1, v19
	s_delay_alu instid0(VALU_DEP_1)
	v_cmp_eq_u32_e32 vcc_lo, 0, v3
	s_cbranch_vccnz .LBB24_37
; %bb.20:                               ;   in Loop: Header=BB24_7 Depth=1
	s_ashr_i32 s29, s28, 31
	v_dual_mov_b32 v3, s28 :: v_dual_add_nc_u32 v24, s18, v36
	s_mul_u64 s[36:37], s[24:25], s[28:29]
	s_delay_alu instid0(SALU_CYCLE_1) | instskip(NEXT) | instid1(VALU_DEP_1)
	s_lshl_b64 s[36:37], s[36:37], 2
	v_ashrrev_i32_e32 v25, 31, v24
	v_add_nc_u64_e32 v[20:21], s[36:37], v[10:11]
	v_add_nc_u64_e32 v[18:19], s[36:37], v[16:17]
	global_store_b64 v3, v[24:25], s[22:23] scale_offset
	s_wait_xcnt 0x0
	s_and_saveexec_b32 s8, s33
	s_cbranch_execz .LBB24_24
; %bb.21:                               ;   in Loop: Header=BB24_7 Depth=1
	ds_load_b32 v3, v5
	s_and_b32 vcc_lo, exec_lo, s19
	s_cbranch_vccz .LBB24_53
; %bb.22:                               ;   in Loop: Header=BB24_7 Depth=1
	v_lshl_add_u64 v[24:25], v[6:7], 2, v[20:21]
	s_wait_dscnt 0x0
	global_store_b32 v[24:25], v3, off
	s_cbranch_execnz .LBB24_24
.LBB24_23:                              ;   in Loop: Header=BB24_7 Depth=1
	s_wait_dscnt 0x0
	global_store_b32 v[18:19], v3, off
.LBB24_24:                              ;   in Loop: Header=BB24_7 Depth=1
	s_wait_xcnt 0x0
	s_or_b32 exec_lo, exec_lo, s8
	s_and_saveexec_b32 s8, s9
	s_cbranch_execz .LBB24_28
; %bb.25:                               ;   in Loop: Header=BB24_7 Depth=1
	s_wait_dscnt 0x0
	ds_load_b32 v3, v5 offset:32
	s_and_not1_b32 vcc_lo, exec_lo, s19
	s_cbranch_vccnz .LBB24_54
; %bb.26:                               ;   in Loop: Header=BB24_7 Depth=1
	v_lshl_add_u64 v[24:25], v[8:9], 2, v[20:21]
	s_wait_dscnt 0x0
	global_store_b32 v[24:25], v3, off
	s_cbranch_execnz .LBB24_28
.LBB24_27:                              ;   in Loop: Header=BB24_7 Depth=1
	s_wait_dscnt 0x0
	global_store_b32 v[18:19], v3, off offset:32
.LBB24_28:                              ;   in Loop: Header=BB24_7 Depth=1
	s_wait_xcnt 0x0
	s_or_b32 exec_lo, exec_lo, s8
	s_and_saveexec_b32 s8, s38
	s_cbranch_execz .LBB24_32
; %bb.29:                               ;   in Loop: Header=BB24_7 Depth=1
	s_wait_dscnt 0x0
	ds_load_b32 v3, v5 offset:64
	s_and_not1_b32 vcc_lo, exec_lo, s19
	s_cbranch_vccnz .LBB24_55
; %bb.30:                               ;   in Loop: Header=BB24_7 Depth=1
	v_lshl_add_u64 v[24:25], v[12:13], 2, v[20:21]
	s_wait_dscnt 0x0
	global_store_b32 v[24:25], v3, off
	s_cbranch_execnz .LBB24_32
.LBB24_31:                              ;   in Loop: Header=BB24_7 Depth=1
	s_wait_dscnt 0x0
	global_store_b32 v[18:19], v3, off offset:64
.LBB24_32:                              ;   in Loop: Header=BB24_7 Depth=1
	s_wait_xcnt 0x0
	s_or_b32 exec_lo, exec_lo, s8
	s_and_saveexec_b32 s8, s39
	s_cbranch_execz .LBB24_36
; %bb.33:                               ;   in Loop: Header=BB24_7 Depth=1
	s_wait_dscnt 0x0
	ds_load_b32 v3, v5 offset:96
	s_and_not1_b32 vcc_lo, exec_lo, s19
	s_cbranch_vccnz .LBB24_56
; %bb.34:                               ;   in Loop: Header=BB24_7 Depth=1
	v_lshl_add_u64 v[20:21], v[14:15], 2, v[20:21]
	s_wait_dscnt 0x0
	global_store_b32 v[20:21], v3, off
	s_cbranch_execnz .LBB24_36
.LBB24_35:                              ;   in Loop: Header=BB24_7 Depth=1
	s_wait_dscnt 0x0
	global_store_b32 v[18:19], v3, off offset:96
.LBB24_36:                              ;   in Loop: Header=BB24_7 Depth=1
	s_wait_xcnt 0x0
	s_or_b32 exec_lo, exec_lo, s8
	s_mov_b32 s8, 1
.LBB24_37:                              ;   in Loop: Header=BB24_7 Depth=1
	s_wait_storecnt_dscnt 0x0
	s_barrier_signal -1
	s_barrier_wait -1
	ds_store_b64 v34, v[0:1]
	s_wait_dscnt 0x0
	s_barrier_signal -1
	s_barrier_wait -1
	s_and_saveexec_b32 s10, s0
	s_cbranch_execz .LBB24_39
; %bb.38:                               ;   in Loop: Header=BB24_7 Depth=1
	ds_load_2addr_stride64_b64 v[18:21], v34 offset1:2
	s_wait_dscnt 0x0
	v_min_i64 v[0:1], v[20:21], v[18:19]
	ds_store_b64 v34, v[0:1]
.LBB24_39:                              ;   in Loop: Header=BB24_7 Depth=1
	s_or_b32 exec_lo, exec_lo, s10
	s_wait_dscnt 0x0
	s_barrier_signal -1
	s_barrier_wait -1
	s_and_saveexec_b32 s10, s1
	s_cbranch_execz .LBB24_41
; %bb.40:                               ;   in Loop: Header=BB24_7 Depth=1
	ds_load_2addr_stride64_b64 v[18:21], v34 offset1:1
	s_wait_dscnt 0x0
	v_min_i64 v[0:1], v[20:21], v[18:19]
	ds_store_b64 v34, v[0:1]
.LBB24_41:                              ;   in Loop: Header=BB24_7 Depth=1
	s_or_b32 exec_lo, exec_lo, s10
	s_wait_dscnt 0x0
	s_barrier_signal -1
	s_barrier_wait -1
	s_and_saveexec_b32 s10, s2
	s_cbranch_execz .LBB24_43
; %bb.42:                               ;   in Loop: Header=BB24_7 Depth=1
	ds_load_2addr_b64 v[18:21], v34 offset1:32
	s_wait_dscnt 0x0
	v_min_i64 v[0:1], v[20:21], v[18:19]
	ds_store_b64 v34, v[0:1]
.LBB24_43:                              ;   in Loop: Header=BB24_7 Depth=1
	s_or_b32 exec_lo, exec_lo, s10
	s_wait_dscnt 0x0
	s_barrier_signal -1
	s_barrier_wait -1
	s_and_saveexec_b32 s10, s3
	s_cbranch_execz .LBB24_45
; %bb.44:                               ;   in Loop: Header=BB24_7 Depth=1
	ds_load_2addr_b64 v[18:21], v34 offset1:16
	s_wait_dscnt 0x0
	v_min_i64 v[0:1], v[20:21], v[18:19]
	ds_store_b64 v34, v[0:1]
.LBB24_45:                              ;   in Loop: Header=BB24_7 Depth=1
	;; [unrolled: 12-line block ×5, first 2 shown]
	s_or_b32 exec_lo, exec_lo, s10
	s_wait_dscnt 0x0
	s_barrier_signal -1
	s_barrier_wait -1
	s_and_saveexec_b32 s10, s7
	s_cbranch_execz .LBB24_6
; %bb.52:                               ;   in Loop: Header=BB24_7 Depth=1
	ds_load_b128 v[18:21], v2
	s_wait_dscnt 0x0
	v_min_i64 v[0:1], v[20:21], v[18:19]
	ds_store_b64 v2, v[0:1]
	s_branch .LBB24_6
.LBB24_53:                              ;   in Loop: Header=BB24_7 Depth=1
	s_branch .LBB24_23
.LBB24_54:                              ;   in Loop: Header=BB24_7 Depth=1
	s_branch .LBB24_27
.LBB24_55:                              ;   in Loop: Header=BB24_7 Depth=1
	s_branch .LBB24_31
.LBB24_56:                              ;   in Loop: Header=BB24_7 Depth=1
	s_branch .LBB24_35
.LBB24_57:
	s_endpgm
	.section	.rodata,"a",@progbits
	.p2align	6, 0x0
	.amdhsa_kernel _ZN9rocsparseL38csr2bsr_block_per_row_multipass_kernelILj256ELj32EiilEEv20rocsparse_direction_T3_S2_S2_S2_S2_21rocsparse_index_base_PKT1_PKT2_PKS2_S3_PS4_PS7_PS2_
		.amdhsa_group_segment_fixed_size 4100
		.amdhsa_private_segment_fixed_size 0
		.amdhsa_kernarg_size 112
		.amdhsa_user_sgpr_count 2
		.amdhsa_user_sgpr_dispatch_ptr 0
		.amdhsa_user_sgpr_queue_ptr 0
		.amdhsa_user_sgpr_kernarg_segment_ptr 1
		.amdhsa_user_sgpr_dispatch_id 0
		.amdhsa_user_sgpr_kernarg_preload_length 0
		.amdhsa_user_sgpr_kernarg_preload_offset 0
		.amdhsa_user_sgpr_private_segment_size 0
		.amdhsa_wavefront_size32 1
		.amdhsa_uses_dynamic_stack 0
		.amdhsa_enable_private_segment 0
		.amdhsa_system_sgpr_workgroup_id_x 1
		.amdhsa_system_sgpr_workgroup_id_y 0
		.amdhsa_system_sgpr_workgroup_id_z 0
		.amdhsa_system_sgpr_workgroup_info 0
		.amdhsa_system_vgpr_workitem_id 0
		.amdhsa_next_free_vgpr 50
		.amdhsa_next_free_sgpr 52
		.amdhsa_named_barrier_count 0
		.amdhsa_reserve_vcc 1
		.amdhsa_float_round_mode_32 0
		.amdhsa_float_round_mode_16_64 0
		.amdhsa_float_denorm_mode_32 3
		.amdhsa_float_denorm_mode_16_64 3
		.amdhsa_fp16_overflow 0
		.amdhsa_memory_ordered 1
		.amdhsa_forward_progress 1
		.amdhsa_inst_pref_size 22
		.amdhsa_round_robin_scheduling 0
		.amdhsa_exception_fp_ieee_invalid_op 0
		.amdhsa_exception_fp_denorm_src 0
		.amdhsa_exception_fp_ieee_div_zero 0
		.amdhsa_exception_fp_ieee_overflow 0
		.amdhsa_exception_fp_ieee_underflow 0
		.amdhsa_exception_fp_ieee_inexact 0
		.amdhsa_exception_int_div_zero 0
	.end_amdhsa_kernel
	.section	.text._ZN9rocsparseL38csr2bsr_block_per_row_multipass_kernelILj256ELj32EiilEEv20rocsparse_direction_T3_S2_S2_S2_S2_21rocsparse_index_base_PKT1_PKT2_PKS2_S3_PS4_PS7_PS2_,"axG",@progbits,_ZN9rocsparseL38csr2bsr_block_per_row_multipass_kernelILj256ELj32EiilEEv20rocsparse_direction_T3_S2_S2_S2_S2_21rocsparse_index_base_PKT1_PKT2_PKS2_S3_PS4_PS7_PS2_,comdat
.Lfunc_end24:
	.size	_ZN9rocsparseL38csr2bsr_block_per_row_multipass_kernelILj256ELj32EiilEEv20rocsparse_direction_T3_S2_S2_S2_S2_21rocsparse_index_base_PKT1_PKT2_PKS2_S3_PS4_PS7_PS2_, .Lfunc_end24-_ZN9rocsparseL38csr2bsr_block_per_row_multipass_kernelILj256ELj32EiilEEv20rocsparse_direction_T3_S2_S2_S2_S2_21rocsparse_index_base_PKT1_PKT2_PKS2_S3_PS4_PS7_PS2_
                                        ; -- End function
	.set _ZN9rocsparseL38csr2bsr_block_per_row_multipass_kernelILj256ELj32EiilEEv20rocsparse_direction_T3_S2_S2_S2_S2_21rocsparse_index_base_PKT1_PKT2_PKS2_S3_PS4_PS7_PS2_.num_vgpr, 50
	.set _ZN9rocsparseL38csr2bsr_block_per_row_multipass_kernelILj256ELj32EiilEEv20rocsparse_direction_T3_S2_S2_S2_S2_21rocsparse_index_base_PKT1_PKT2_PKS2_S3_PS4_PS7_PS2_.num_agpr, 0
	.set _ZN9rocsparseL38csr2bsr_block_per_row_multipass_kernelILj256ELj32EiilEEv20rocsparse_direction_T3_S2_S2_S2_S2_21rocsparse_index_base_PKT1_PKT2_PKS2_S3_PS4_PS7_PS2_.numbered_sgpr, 52
	.set _ZN9rocsparseL38csr2bsr_block_per_row_multipass_kernelILj256ELj32EiilEEv20rocsparse_direction_T3_S2_S2_S2_S2_21rocsparse_index_base_PKT1_PKT2_PKS2_S3_PS4_PS7_PS2_.num_named_barrier, 0
	.set _ZN9rocsparseL38csr2bsr_block_per_row_multipass_kernelILj256ELj32EiilEEv20rocsparse_direction_T3_S2_S2_S2_S2_21rocsparse_index_base_PKT1_PKT2_PKS2_S3_PS4_PS7_PS2_.private_seg_size, 0
	.set _ZN9rocsparseL38csr2bsr_block_per_row_multipass_kernelILj256ELj32EiilEEv20rocsparse_direction_T3_S2_S2_S2_S2_21rocsparse_index_base_PKT1_PKT2_PKS2_S3_PS4_PS7_PS2_.uses_vcc, 1
	.set _ZN9rocsparseL38csr2bsr_block_per_row_multipass_kernelILj256ELj32EiilEEv20rocsparse_direction_T3_S2_S2_S2_S2_21rocsparse_index_base_PKT1_PKT2_PKS2_S3_PS4_PS7_PS2_.uses_flat_scratch, 0
	.set _ZN9rocsparseL38csr2bsr_block_per_row_multipass_kernelILj256ELj32EiilEEv20rocsparse_direction_T3_S2_S2_S2_S2_21rocsparse_index_base_PKT1_PKT2_PKS2_S3_PS4_PS7_PS2_.has_dyn_sized_stack, 0
	.set _ZN9rocsparseL38csr2bsr_block_per_row_multipass_kernelILj256ELj32EiilEEv20rocsparse_direction_T3_S2_S2_S2_S2_21rocsparse_index_base_PKT1_PKT2_PKS2_S3_PS4_PS7_PS2_.has_recursion, 0
	.set _ZN9rocsparseL38csr2bsr_block_per_row_multipass_kernelILj256ELj32EiilEEv20rocsparse_direction_T3_S2_S2_S2_S2_21rocsparse_index_base_PKT1_PKT2_PKS2_S3_PS4_PS7_PS2_.has_indirect_call, 0
	.section	.AMDGPU.csdata,"",@progbits
; Kernel info:
; codeLenInByte = 2744
; TotalNumSgprs: 54
; NumVgprs: 50
; ScratchSize: 0
; MemoryBound: 0
; FloatMode: 240
; IeeeMode: 1
; LDSByteSize: 4100 bytes/workgroup (compile time only)
; SGPRBlocks: 0
; VGPRBlocks: 3
; NumSGPRsForWavesPerEU: 54
; NumVGPRsForWavesPerEU: 50
; NamedBarCnt: 0
; Occupancy: 16
; WaveLimiterHint : 1
; COMPUTE_PGM_RSRC2:SCRATCH_EN: 0
; COMPUTE_PGM_RSRC2:USER_SGPR: 2
; COMPUTE_PGM_RSRC2:TRAP_HANDLER: 0
; COMPUTE_PGM_RSRC2:TGID_X_EN: 1
; COMPUTE_PGM_RSRC2:TGID_Y_EN: 0
; COMPUTE_PGM_RSRC2:TGID_Z_EN: 0
; COMPUTE_PGM_RSRC2:TIDIG_COMP_CNT: 0
	.section	.text._ZN9rocsparseL38csr2bsr_block_per_row_multipass_kernelILj256ELj64EiilEEv20rocsparse_direction_T3_S2_S2_S2_S2_21rocsparse_index_base_PKT1_PKT2_PKS2_S3_PS4_PS7_PS2_,"axG",@progbits,_ZN9rocsparseL38csr2bsr_block_per_row_multipass_kernelILj256ELj64EiilEEv20rocsparse_direction_T3_S2_S2_S2_S2_21rocsparse_index_base_PKT1_PKT2_PKS2_S3_PS4_PS7_PS2_,comdat
	.globl	_ZN9rocsparseL38csr2bsr_block_per_row_multipass_kernelILj256ELj64EiilEEv20rocsparse_direction_T3_S2_S2_S2_S2_21rocsparse_index_base_PKT1_PKT2_PKS2_S3_PS4_PS7_PS2_ ; -- Begin function _ZN9rocsparseL38csr2bsr_block_per_row_multipass_kernelILj256ELj64EiilEEv20rocsparse_direction_T3_S2_S2_S2_S2_21rocsparse_index_base_PKT1_PKT2_PKS2_S3_PS4_PS7_PS2_
	.p2align	8
	.type	_ZN9rocsparseL38csr2bsr_block_per_row_multipass_kernelILj256ELj64EiilEEv20rocsparse_direction_T3_S2_S2_S2_S2_21rocsparse_index_base_PKT1_PKT2_PKS2_S3_PS4_PS7_PS2_,@function
_ZN9rocsparseL38csr2bsr_block_per_row_multipass_kernelILj256ELj64EiilEEv20rocsparse_direction_T3_S2_S2_S2_S2_21rocsparse_index_base_PKT1_PKT2_PKS2_S3_PS4_PS7_PS2_: ; @_ZN9rocsparseL38csr2bsr_block_per_row_multipass_kernelILj256ELj64EiilEEv20rocsparse_direction_T3_S2_S2_S2_S2_21rocsparse_index_base_PKT1_PKT2_PKS2_S3_PS4_PS7_PS2_
; %bb.0:
	s_clause 0x1
	s_load_b128 s[12:15], s[0:1], 0x20
	s_load_b64 s[2:3], s[0:1], 0x8
	s_bfe_u32 s5, ttmp6, 0x4000c
	s_and_b32 s4, ttmp6, 15
	s_add_co_i32 s5, s5, 1
	s_getreg_b32 s6, hwreg(HW_REG_IB_STS2, 6, 4)
	s_mul_i32 s5, ttmp9, s5
	v_dual_mov_b32 v3, 0 :: v_dual_lshrrev_b32 v2, 2, v0
	s_add_co_i32 s4, s4, s5
	s_cmp_eq_u32 s6, 0
	s_clause 0x1
	s_load_b32 s10, s[0:1], 0x30
	s_load_b64 s[6:7], s[0:1], 0x40
	s_cselect_b32 s4, ttmp9, s4
	v_mov_b32_e32 v7, v3
	s_ashr_i32 s5, s4, 31
	s_wait_kmcnt 0x0
	v_mad_nc_u64_u32 v[4:5], s14, s4, v[2:3]
	s_mul_i32 s8, s14, s5
	s_mul_i32 s9, s15, s4
	s_delay_alu instid0(VALU_DEP_1) | instid1(SALU_CYCLE_1)
	v_add3_u32 v5, s8, s9, v5
	s_delay_alu instid0(VALU_DEP_1) | instskip(SKIP_2) | instid1(SALU_CYCLE_1)
	v_cmp_gt_i64_e32 vcc_lo, s[2:3], v[4:5]
	v_cmp_gt_i64_e64 s2, s[14:15], v[2:3]
	s_and_b32 s3, s2, vcc_lo
	s_and_saveexec_b32 s8, s3
	s_cbranch_execnz .LBB25_3
; %bb.1:
	s_or_b32 exec_lo, exec_lo, s8
	s_and_saveexec_b32 s8, s3
	s_cbranch_execnz .LBB25_4
.LBB25_2:
	s_or_b32 exec_lo, exec_lo, s8
	v_cmp_lt_i64_e64 s3, s[12:13], 1
	s_and_b32 vcc_lo, exec_lo, s3
	s_cbranch_vccz .LBB25_5
	s_branch .LBB25_59
.LBB25_3:
	v_lshl_add_u64 v[6:7], v[4:5], 2, s[6:7]
	global_load_b32 v1, v[6:7], off
	s_wait_loadcnt 0x0
	v_subrev_nc_u32_e32 v7, s10, v1
	s_or_b32 exec_lo, exec_lo, s8
	s_and_saveexec_b32 s8, s3
	s_cbranch_execz .LBB25_2
.LBB25_4:
	v_lshl_add_u64 v[4:5], v[4:5], 2, s[6:7]
	global_load_b32 v1, v[4:5], off offset:4
	s_wait_loadcnt 0x0
	v_subrev_nc_u32_e32 v3, s10, v1
	s_or_b32 exec_lo, exec_lo, s8
	v_cmp_lt_i64_e64 s3, s[12:13], 1
	s_and_b32 vcc_lo, exec_lo, s3
	s_cbranch_vccnz .LBB25_59
.LBB25_5:
	s_clause 0x4
	s_load_b128 s[16:19], s[0:1], 0x58
	s_load_b64 s[24:25], s[0:1], 0x68
	s_load_b96 s[20:22], s[0:1], 0x48
	s_load_b64 s[26:27], s[0:1], 0x38
	s_load_b32 s9, s[0:1], 0x0
	s_wait_xcnt 0x0
	s_lshl_b64 s[0:1], s[4:5], 2
	v_cvt_f32_u32_e32 v1, s14
	v_dual_lshlrev_b32 v30, 8, v2 :: v_dual_bitop2_b32 v4, 3, v0 bitop3:0x40
	v_dual_mov_b32 v6, 0 :: v_dual_lshlrev_b32 v31, 3, v0
	s_delay_alu instid0(VALU_DEP_3)
	v_rcp_iflag_f32_e32 v1, v1
	v_cmp_gt_u32_e64 s3, 32, v0
	v_cmp_gt_u32_e64 s4, 16, v0
	;; [unrolled: 1-line block ×5, first 2 shown]
	v_cmp_eq_u32_e64 s8, 0, v0
	v_mbcnt_lo_u32_b32 v10, -1, 0
	v_mov_b32_e32 v5, v6
	s_wait_kmcnt 0x0
	s_add_nc_u64 s[0:1], s[18:19], s[0:1]
	v_mov_b64_e32 v[18:19], 0
	s_load_b32 s11, s[0:1], 0x0
	s_wait_xcnt 0x0
	v_cmp_gt_u32_e64 s0, 0x80, v0
	v_cmp_gt_u32_e64 s1, 64, v0
	v_dual_mul_f32 v1, 0x4f7ffffe, v1 :: v_dual_lshlrev_b32 v0, 2, v2
	v_xor_b32_e32 v14, 2, v10
	v_dual_mov_b32 v2, 1 :: v_dual_bitop2_b32 v17, 1, v10 bitop3:0x14
	v_lshlrev_b32_e32 v8, 2, v4
	s_delay_alu instid0(VALU_DEP_4) | instskip(NEXT) | instid1(VALU_DEP_4)
	v_cvt_u32_f32_e32 v16, v1
	v_cmp_gt_i32_e32 vcc_lo, 32, v14
	v_mov_b32_e32 v1, v6
	v_lshl_or_b32 v32, v10, 2, 12
	v_dual_mov_b32 v9, v6 :: v_dual_mov_b32 v11, v6
	v_cndmask_b32_e32 v21, v10, v14, vcc_lo
	v_cmp_gt_i32_e32 vcc_lo, 32, v17
	v_dual_mov_b32 v13, v6 :: v_dual_mov_b32 v15, v6
	v_or_b32_e32 v14, 48, v8
	s_wait_kmcnt 0x0
	s_sub_co_i32 s30, s11, s22
	s_cmp_lg_u32 s9, 0
	v_cndmask_b32_e32 v17, v10, v17, vcc_lo
	s_cselect_b32 s23, -1, 0
	s_sub_co_i32 s9, 0, s14
	v_dual_lshlrev_b32 v34, 2, v21 :: v_dual_bitop2_b32 v33, v30, v8 bitop3:0x54
	v_mul_lo_u32 v12, s9, v16
	v_dual_lshlrev_b32 v35, 2, v17 :: v_dual_bitop2_b32 v10, 32, v8 bitop3:0x54
	s_mov_b32 s29, 0
	s_mov_b64 s[18:19], 0xffffffff
	s_mov_b32 s11, s29
	s_lshl_b64 s[34:35], s[14:15], 2
	s_lshl_b64 s[36:37], s[14:15], 6
	s_ashr_i32 s38, s15, 31
	v_mov_b32_e32 v28, 0
	s_delay_alu instid0(VALU_DEP_3) | instskip(SKIP_1) | instid1(VALU_DEP_2)
	v_mul_hi_u32 v20, v16, v12
	v_or_b32_e32 v12, 16, v8
	v_add_nc_u32_e32 v36, v16, v20
	s_branch .LBB25_7
.LBB25_6:                               ;   in Loop: Header=BB25_7 Depth=1
	s_or_b32 exec_lo, exec_lo, s28
	s_wait_dscnt 0x0
	s_barrier_signal -1
	s_barrier_wait -1
	ds_load_b64 v[18:19], v6
	s_add_co_i32 s30, s9, s30
	s_wait_dscnt 0x0
	s_barrier_signal -1
	s_barrier_wait -1
	v_dual_mov_b32 v28, v18 :: v_dual_ashrrev_i32 v19, 31, v18
	s_delay_alu instid0(VALU_DEP_1)
	v_cmp_gt_i64_e32 vcc_lo, s[12:13], v[18:19]
	s_cbranch_vccz .LBB25_59
.LBB25_7:                               ; =>This Loop Header: Depth=1
                                        ;     Child Loop BB25_10 Depth 2
                                        ;     Child Loop BB25_22 Depth 2
	v_mov_b64_e32 v[16:17], s[12:13]
	v_add_nc_u32_e32 v20, v7, v4
	v_mov_b32_e32 v7, v3
	s_mov_b32 s31, exec_lo
	ds_store_b8 v6, v6 offset:16384
	ds_store_2addr_b32 v33, v6, v6 offset1:4
	ds_store_2addr_b32 v33, v6, v6 offset0:8 offset1:12
	ds_store_2addr_b32 v33, v6, v6 offset0:16 offset1:20
	;; [unrolled: 1-line block ×7, first 2 shown]
	s_wait_dscnt 0x0
	s_barrier_signal -1
	s_barrier_wait -1
	v_cmpx_lt_i32_e64 v20, v3
	s_cbranch_execz .LBB25_19
; %bb.8:                                ;   in Loop: Header=BB25_7 Depth=1
	v_mul_u64_e32 v[22:23], s[14:15], v[18:19]
	v_mov_b64_e32 v[16:17], s[12:13]
	v_mov_b32_e32 v23, v3
	s_mov_b32 s33, 0
	s_branch .LBB25_10
.LBB25_9:                               ;   in Loop: Header=BB25_10 Depth=2
	s_wait_xcnt 0x0
	s_or_b32 exec_lo, exec_lo, s9
	v_dual_mov_b32 v23, v7 :: v_dual_add_nc_u32 v20, 4, v20
	s_xor_b32 s28, vcc_lo, -1
	s_delay_alu instid0(VALU_DEP_1) | instskip(SKIP_1) | instid1(SALU_CYCLE_1)
	v_cmp_ge_i32_e64 s9, v20, v3
	s_or_b32 s9, s28, s9
	s_and_b32 s9, exec_lo, s9
	s_delay_alu instid0(SALU_CYCLE_1) | instskip(NEXT) | instid1(SALU_CYCLE_1)
	s_or_b32 s33, s9, s33
	s_and_not1_b32 exec_lo, exec_lo, s33
	s_cbranch_execz .LBB25_18
.LBB25_10:                              ;   Parent Loop BB25_7 Depth=1
                                        ; =>  This Inner Loop Header: Depth=2
	global_load_b64 v[24:25], v20, s[20:21] scale_offset
                                        ; implicit-def: $vgpr26_vgpr27
	s_mov_b32 s9, exec_lo
	s_wait_loadcnt 0x0
	v_sub_nc_u64_e64 v[24:25], v[24:25], s[10:11]
	s_delay_alu instid0(VALU_DEP_1) | instskip(SKIP_1) | instid1(VALU_DEP_1)
	v_or_b32_e32 v7, s15, v25
	s_wait_xcnt 0x0
	v_cmpx_ne_u64_e32 0, v[6:7]
	s_xor_b32 s42, exec_lo, s9
	s_cbranch_execz .LBB25_12
; %bb.11:                               ;   in Loop: Header=BB25_10 Depth=2
	s_mov_b32 s39, s38
	v_dual_mov_b32 v41, v6 :: v_dual_ashrrev_i32 v26, 31, v25
	s_add_nc_u64 s[40:41], s[14:15], s[38:39]
	v_mov_b32_e32 v45, v6
	s_xor_b64 s[40:41], s[40:41], s[38:39]
	s_delay_alu instid0(VALU_DEP_2)
	v_mov_b32_e32 v27, v26
	s_cvt_f32_u32 s9, s40
	s_cvt_f32_u32 s28, s41
	s_sub_nc_u64 s[46:47], 0, s[40:41]
	v_mov_b32_e32 v49, v6
	v_add_nc_u64_e32 v[38:39], v[24:25], v[26:27]
	s_fmamk_f32 s9, s28, 0x4f800000, s9
	s_delay_alu instid0(SALU_CYCLE_3) | instskip(NEXT) | instid1(VALU_DEP_1)
	v_s_rcp_f32 s9, s9
	v_xor_b32_e32 v44, v39, v26
	s_delay_alu instid0(VALU_DEP_2) | instskip(SKIP_1) | instid1(TRANS32_DEP_1)
	v_xor_b32_e32 v40, v38, v26
	v_xor_b32_e32 v26, s38, v26
	s_mul_f32 s9, s9, 0x5f7ffffc
	s_delay_alu instid0(SALU_CYCLE_3) | instskip(NEXT) | instid1(SALU_CYCLE_3)
	s_mul_f32 s28, s9, 0x2f800000
	s_trunc_f32 s28, s28
	s_delay_alu instid0(SALU_CYCLE_3) | instskip(SKIP_1) | instid1(SALU_CYCLE_2)
	s_fmamk_f32 s9, s28, 0xcf800000, s9
	s_cvt_u32_f32 s45, s28
	s_cvt_u32_f32 s44, s9
	s_delay_alu instid0(SALU_CYCLE_3) | instskip(NEXT) | instid1(SALU_CYCLE_1)
	s_mul_u64 s[48:49], s[46:47], s[44:45]
	s_mul_hi_u32 s51, s44, s49
	s_mul_i32 s50, s44, s49
	s_mul_hi_u32 s28, s44, s48
	s_mul_i32 s39, s45, s48
	s_add_nc_u64 s[50:51], s[28:29], s[50:51]
	s_mul_hi_u32 s9, s45, s48
	s_mul_hi_u32 s43, s45, s49
	s_add_co_u32 s28, s50, s39
	s_add_co_ci_u32 s28, s51, s9
	s_mul_i32 s48, s45, s49
	s_add_co_ci_u32 s49, s43, 0
	s_delay_alu instid0(SALU_CYCLE_1) | instskip(NEXT) | instid1(SALU_CYCLE_1)
	s_add_nc_u64 s[48:49], s[28:29], s[48:49]
	s_add_co_u32 s44, s44, s48
	s_cselect_b32 s9, -1, 0
	s_delay_alu instid0(SALU_CYCLE_1) | instskip(SKIP_1) | instid1(SALU_CYCLE_1)
	s_cmp_lg_u32 s9, 0
	s_add_co_ci_u32 s45, s45, s49
	s_mul_u64 s[46:47], s[46:47], s[44:45]
	s_delay_alu instid0(SALU_CYCLE_1)
	s_mul_hi_u32 s49, s44, s47
	s_mul_i32 s48, s44, s47
	s_mul_hi_u32 s28, s44, s46
	s_mul_i32 s39, s45, s46
	s_add_nc_u64 s[48:49], s[28:29], s[48:49]
	s_mul_hi_u32 s9, s45, s46
	s_mul_hi_u32 s43, s45, s47
	s_add_co_u32 s28, s48, s39
	s_add_co_ci_u32 s28, s49, s9
	s_mul_i32 s46, s45, s47
	s_add_co_ci_u32 s47, s43, 0
	s_delay_alu instid0(SALU_CYCLE_1) | instskip(NEXT) | instid1(SALU_CYCLE_1)
	s_add_nc_u64 s[46:47], s[28:29], s[46:47]
	s_add_co_u32 s44, s44, s46
	s_cselect_b32 s9, -1, 0
	v_mul_hi_u32 v48, v40, s44
	s_cmp_lg_u32 s9, 0
	s_add_co_ci_u32 s28, s45, s47
	s_and_b64 s[46:47], s[44:45], s[18:19]
	v_mul_u64_e32 v[42:43], s[28:29], v[40:41]
	v_mul_u64_e32 v[38:39], s[46:47], v[44:45]
	v_mul_u64_e32 v[46:47], s[28:29], v[44:45]
	s_delay_alu instid0(VALU_DEP_3) | instskip(NEXT) | instid1(VALU_DEP_1)
	v_add_nc_u64_e32 v[42:43], v[48:49], v[42:43]
	v_add_co_u32 v7, vcc_lo, v42, v38
	s_delay_alu instid0(VALU_DEP_2) | instskip(NEXT) | instid1(VALU_DEP_4)
	v_add_co_ci_u32_e32 v48, vcc_lo, v43, v39, vcc_lo
	v_add_co_ci_u32_e32 v47, vcc_lo, 0, v47, vcc_lo
	s_delay_alu instid0(VALU_DEP_1) | instskip(NEXT) | instid1(VALU_DEP_1)
	v_add_nc_u64_e32 v[38:39], v[48:49], v[46:47]
	v_mul_u64_e32 v[42:43], s[40:41], v[38:39]
	s_delay_alu instid0(VALU_DEP_1) | instskip(NEXT) | instid1(VALU_DEP_2)
	v_sub_nc_u32_e32 v7, v44, v43
	v_sub_co_u32 v21, vcc_lo, v40, v42
	s_delay_alu instid0(VALU_DEP_1) | instskip(NEXT) | instid1(VALU_DEP_3)
	v_sub_co_ci_u32_e64 v27, null, v44, v43, vcc_lo
	v_subrev_co_ci_u32_e64 v7, null, s41, v7, vcc_lo
	s_delay_alu instid0(VALU_DEP_3) | instskip(SKIP_1) | instid1(VALU_DEP_3)
	v_sub_co_u32 v25, s9, v21, s40
	v_add_nc_u64_e32 v[40:41], 2, v[38:39]
	v_subrev_co_ci_u32_e64 v7, null, 0, v7, s9
	s_delay_alu instid0(VALU_DEP_3) | instskip(SKIP_2) | instid1(VALU_DEP_4)
	v_cmp_le_u32_e32 vcc_lo, s40, v25
	v_add_nc_u64_e32 v[42:43], 1, v[38:39]
	v_cndmask_b32_e64 v25, 0, -1, vcc_lo
	v_cmp_le_u32_e32 vcc_lo, s41, v7
	v_cndmask_b32_e64 v29, 0, -1, vcc_lo
	v_cmp_le_u32_e32 vcc_lo, s40, v21
	v_cndmask_b32_e64 v21, 0, -1, vcc_lo
	v_cmp_le_u32_e32 vcc_lo, s41, v27
	v_cndmask_b32_e64 v37, 0, -1, vcc_lo
	v_cmp_eq_u32_e32 vcc_lo, s41, v7
	v_cndmask_b32_e32 v7, v29, v25, vcc_lo
	v_cmp_eq_u32_e32 vcc_lo, s41, v27
	s_delay_alu instid0(VALU_DEP_4) | instskip(NEXT) | instid1(VALU_DEP_3)
	v_dual_mov_b32 v27, v26 :: v_dual_cndmask_b32 v21, v37, v21, vcc_lo
	v_cmp_ne_u32_e32 vcc_lo, 0, v7
	s_delay_alu instid0(VALU_DEP_2) | instskip(SKIP_1) | instid1(VALU_DEP_1)
	v_cmp_ne_u32_e64 s9, 0, v21
	v_dual_cndmask_b32 v7, v43, v41, vcc_lo :: v_dual_cndmask_b32 v21, v42, v40, vcc_lo
	v_dual_cndmask_b32 v7, v39, v7, s9 :: v_dual_cndmask_b32 v21, v38, v21, s9
	s_delay_alu instid0(VALU_DEP_1) | instskip(NEXT) | instid1(VALU_DEP_2)
	v_xor_b32_e32 v39, v7, v26
	v_xor_b32_e32 v38, v21, v26
	s_delay_alu instid0(VALU_DEP_1)
	v_sub_nc_u64_e32 v[26:27], v[38:39], v[26:27]
.LBB25_12:                              ;   in Loop: Header=BB25_10 Depth=2
	s_and_not1_saveexec_b32 s9, s42
	s_cbranch_execz .LBB25_14
; %bb.13:                               ;   in Loop: Header=BB25_10 Depth=2
	v_mul_hi_u32 v7, v24, v36
	v_mov_b32_e32 v27, v6
	s_delay_alu instid0(VALU_DEP_2) | instskip(NEXT) | instid1(VALU_DEP_1)
	v_mul_lo_u32 v21, v7, s14
	v_dual_add_nc_u32 v25, 1, v7 :: v_dual_sub_nc_u32 v21, v24, v21
	s_delay_alu instid0(VALU_DEP_1) | instskip(SKIP_1) | instid1(VALU_DEP_2)
	v_subrev_nc_u32_e32 v26, s14, v21
	v_cmp_le_u32_e32 vcc_lo, s14, v21
	v_dual_cndmask_b32 v21, v21, v26, vcc_lo :: v_dual_cndmask_b32 v7, v7, v25, vcc_lo
	s_delay_alu instid0(VALU_DEP_1) | instskip(NEXT) | instid1(VALU_DEP_2)
	v_cmp_le_u32_e32 vcc_lo, s14, v21
	v_add_nc_u32_e32 v25, 1, v7
	s_delay_alu instid0(VALU_DEP_1)
	v_cndmask_b32_e32 v26, v7, v25, vcc_lo
.LBB25_14:                              ;   in Loop: Header=BB25_10 Depth=2
	s_or_b32 exec_lo, exec_lo, s9
	s_delay_alu instid0(VALU_DEP_1) | instskip(SKIP_2) | instid1(SALU_CYCLE_1)
	v_cmp_ne_u64_e64 s9, v[26:27], v[18:19]
	v_cmp_eq_u64_e32 vcc_lo, v[26:27], v[18:19]
	s_and_saveexec_b32 s28, s9
	s_xor_b32 s9, exec_lo, s28
; %bb.15:                               ;   in Loop: Header=BB25_10 Depth=2
	v_min_i64 v[16:17], v[26:27], v[16:17]
                                        ; implicit-def: $vgpr24_vgpr25
                                        ; implicit-def: $vgpr23
; %bb.16:                               ;   in Loop: Header=BB25_10 Depth=2
	s_or_saveexec_b32 s9, s9
	v_mov_b32_e32 v7, v20
	s_xor_b32 exec_lo, exec_lo, s9
	s_cbranch_execz .LBB25_9
; %bb.17:                               ;   in Loop: Header=BB25_10 Depth=2
	v_dual_ashrrev_i32 v21, 31, v20 :: v_dual_sub_nc_u32 v7, v24, v22
	s_delay_alu instid0(VALU_DEP_1) | instskip(NEXT) | instid1(VALU_DEP_2)
	v_lshl_add_u64 v[26:27], v[20:21], 2, s[26:27]
	v_lshl_add_u32 v24, v7, 2, v30
	v_mov_b32_e32 v7, v23
	global_load_b32 v21, v[26:27], off
	ds_store_b8 v6, v2 offset:16384
	s_wait_loadcnt 0x0
	ds_store_b32 v24, v21
	s_branch .LBB25_9
.LBB25_18:                              ;   in Loop: Header=BB25_7 Depth=1
	s_or_b32 exec_lo, exec_lo, s33
.LBB25_19:                              ;   in Loop: Header=BB25_7 Depth=1
	s_delay_alu instid0(SALU_CYCLE_1)
	s_or_b32 exec_lo, exec_lo, s31
	ds_bpermute_b32 v18, v34, v7
	s_wait_dscnt 0x0
	s_barrier_signal -1
	s_barrier_wait -1
	ds_load_u8 v19, v6 offset:16384
	s_mov_b32 s9, 0
	v_min_i32_e32 v7, v18, v7
	ds_bpermute_b32 v18, v35, v7
	s_wait_dscnt 0x0
	v_min_i32_e32 v7, v18, v7
	v_and_b32_e32 v18, 1, v19
	ds_bpermute_b32 v7, v32, v7
	v_cmp_eq_u32_e32 vcc_lo, 0, v18
	s_cbranch_vccnz .LBB25_43
; %bb.20:                               ;   in Loop: Header=BB25_7 Depth=1
	s_ashr_i32 s31, s30, 31
	v_add_nc_u32_e32 v28, s22, v28
	s_mul_u64 s[40:41], s[34:35], s[30:31]
	v_mov_b32_e32 v37, v33
	v_add_nc_u64_e32 v[38:39], s[40:41], v[10:11]
	v_add_nc_u64_e32 v[40:41], s[40:41], v[12:13]
	v_add_nc_u64_e32 v[42:43], s[40:41], v[8:9]
	v_add_nc_u64_e32 v[44:45], s[40:41], v[0:1]
	v_add_nc_u64_e32 v[46:47], s[40:41], v[14:15]
	s_mov_b64 s[40:41], 0
	v_mad_nc_u64_u32 v[18:19], s14, v38, v[0:1]
	v_mad_nc_u64_u32 v[20:21], s14, v40, v[0:1]
	;; [unrolled: 1-line block ×5, first 2 shown]
	v_mad_u32 v19, s15, v38, v19
	v_mad_u32 v21, s15, v40, v21
	;; [unrolled: 1-line block ×5, first 2 shown]
	v_dual_mov_b32 v38, s30 :: v_dual_ashrrev_i32 v29, 31, v28
	global_store_b64 v38, v[28:29], s[24:25] scale_offset
	v_mad_u32 v19, s14, v39, v19
	v_mad_u32 v21, s14, v41, v21
	;; [unrolled: 1-line block ×5, first 2 shown]
	s_branch .LBB25_22
.LBB25_21:                              ;   in Loop: Header=BB25_22 Depth=2
	s_wait_xcnt 0x0
	s_or_b32 exec_lo, exec_lo, s9
	v_add_nc_u64_e32 v[18:19], s[36:37], v[18:19]
	v_add_nc_u64_e32 v[20:21], s[36:37], v[20:21]
	;; [unrolled: 1-line block ×5, first 2 shown]
	s_add_nc_u64 s[40:41], s[40:41], 16
	v_add_nc_u32_e32 v37, 64, v37
	s_add_co_i32 s9, s40, -4
	s_delay_alu instid0(SALU_CYCLE_1)
	s_cmp_lt_u32 s9, 60
	s_cbranch_scc0 .LBB25_42
.LBB25_22:                              ;   Parent Loop BB25_7 Depth=1
                                        ; =>  This Inner Loop Header: Depth=2
	s_wait_xcnt 0x0
	s_wait_dscnt 0x0
	v_add_nc_u64_e32 v[28:29], s[40:41], v[4:5]
	s_delay_alu instid0(VALU_DEP_1) | instskip(SKIP_1) | instid1(SALU_CYCLE_1)
	v_cmp_gt_i64_e32 vcc_lo, s[14:15], v[28:29]
	s_and_b32 s28, s2, vcc_lo
	s_and_saveexec_b32 s9, s28
	s_cbranch_execz .LBB25_26
; %bb.23:                               ;   in Loop: Header=BB25_22 Depth=2
	ds_load_b32 v38, v37
	s_and_b32 vcc_lo, exec_lo, s23
	s_cbranch_vccz .LBB25_37
; %bb.24:                               ;   in Loop: Header=BB25_22 Depth=2
	v_add_nc_u64_e32 v[40:41], s[16:17], v[22:23]
	s_wait_dscnt 0x0
	global_store_b32 v[40:41], v38, off
	s_cbranch_execnz .LBB25_26
.LBB25_25:                              ;   in Loop: Header=BB25_22 Depth=2
	s_wait_xcnt 0x0
	v_add_nc_u64_e32 v[40:41], s[16:17], v[24:25]
	s_wait_dscnt 0x0
	global_store_b32 v[40:41], v38, off
.LBB25_26:                              ;   in Loop: Header=BB25_22 Depth=2
	s_wait_xcnt 0x0
	s_or_b32 exec_lo, exec_lo, s9
	s_wait_dscnt 0x0
	v_add_nc_u64_e32 v[38:39], 4, v[28:29]
	s_delay_alu instid0(VALU_DEP_1) | instskip(SKIP_1) | instid1(SALU_CYCLE_1)
	v_cmp_gt_i64_e32 vcc_lo, s[14:15], v[38:39]
	s_and_b32 s28, s2, vcc_lo
	s_and_saveexec_b32 s9, s28
	s_cbranch_execz .LBB25_30
; %bb.27:                               ;   in Loop: Header=BB25_22 Depth=2
	ds_load_b32 v38, v37 offset:16
	s_and_not1_b32 vcc_lo, exec_lo, s23
	s_cbranch_vccnz .LBB25_38
; %bb.28:                               ;   in Loop: Header=BB25_22 Depth=2
	v_add_nc_u64_e32 v[40:41], s[16:17], v[20:21]
	s_wait_dscnt 0x0
	global_store_b32 v[40:41], v38, off
	s_cbranch_execnz .LBB25_30
.LBB25_29:                              ;   in Loop: Header=BB25_22 Depth=2
	s_wait_xcnt 0x0
	v_add_nc_u64_e32 v[40:41], s[16:17], v[24:25]
	s_wait_dscnt 0x0
	global_store_b32 v[40:41], v38, off offset:16
.LBB25_30:                              ;   in Loop: Header=BB25_22 Depth=2
	s_wait_xcnt 0x0
	s_or_b32 exec_lo, exec_lo, s9
	s_wait_dscnt 0x0
	v_add_nc_u64_e32 v[38:39], 8, v[28:29]
	s_delay_alu instid0(VALU_DEP_1) | instskip(SKIP_1) | instid1(SALU_CYCLE_1)
	v_cmp_gt_i64_e32 vcc_lo, s[14:15], v[38:39]
	s_and_b32 s28, s2, vcc_lo
	s_and_saveexec_b32 s9, s28
	s_cbranch_execz .LBB25_34
; %bb.31:                               ;   in Loop: Header=BB25_22 Depth=2
	ds_load_b32 v38, v37 offset:32
	s_and_not1_b32 vcc_lo, exec_lo, s23
	s_cbranch_vccnz .LBB25_39
; %bb.32:                               ;   in Loop: Header=BB25_22 Depth=2
	v_add_nc_u64_e32 v[40:41], s[16:17], v[18:19]
	s_wait_dscnt 0x0
	global_store_b32 v[40:41], v38, off
	s_cbranch_execnz .LBB25_34
.LBB25_33:                              ;   in Loop: Header=BB25_22 Depth=2
	s_wait_xcnt 0x0
	v_add_nc_u64_e32 v[40:41], s[16:17], v[24:25]
	s_wait_dscnt 0x0
	global_store_b32 v[40:41], v38, off offset:32
.LBB25_34:                              ;   in Loop: Header=BB25_22 Depth=2
	s_wait_xcnt 0x0
	s_or_b32 exec_lo, exec_lo, s9
	v_add_nc_u64_e32 v[28:29], 12, v[28:29]
	s_delay_alu instid0(VALU_DEP_1) | instskip(SKIP_1) | instid1(SALU_CYCLE_1)
	v_cmp_gt_i64_e32 vcc_lo, s[14:15], v[28:29]
	s_and_b32 s28, s2, vcc_lo
	s_and_saveexec_b32 s9, s28
	s_cbranch_execz .LBB25_21
; %bb.35:                               ;   in Loop: Header=BB25_22 Depth=2
	ds_load_b32 v28, v37 offset:48
	s_and_not1_b32 vcc_lo, exec_lo, s23
	s_cbranch_vccnz .LBB25_40
; %bb.36:                               ;   in Loop: Header=BB25_22 Depth=2
	s_wait_dscnt 0x1
	v_add_nc_u64_e32 v[38:39], s[16:17], v[26:27]
	s_wait_dscnt 0x0
	global_store_b32 v[38:39], v28, off
	s_cbranch_execnz .LBB25_21
	s_branch .LBB25_41
.LBB25_37:                              ;   in Loop: Header=BB25_22 Depth=2
	s_branch .LBB25_25
.LBB25_38:                              ;   in Loop: Header=BB25_22 Depth=2
	s_branch .LBB25_29
.LBB25_39:                              ;   in Loop: Header=BB25_22 Depth=2
	s_branch .LBB25_33
.LBB25_40:                              ;   in Loop: Header=BB25_22 Depth=2
.LBB25_41:                              ;   in Loop: Header=BB25_22 Depth=2
	s_wait_dscnt 0x1
	s_wait_xcnt 0x0
	v_add_nc_u64_e32 v[38:39], s[16:17], v[24:25]
	s_wait_dscnt 0x0
	global_store_b32 v[38:39], v28, off offset:48
	s_branch .LBB25_21
.LBB25_42:                              ;   in Loop: Header=BB25_7 Depth=1
	s_mov_b32 s9, 1
.LBB25_43:                              ;   in Loop: Header=BB25_7 Depth=1
	s_wait_storecnt_dscnt 0x0
	s_barrier_signal -1
	s_barrier_wait -1
	ds_store_b64 v31, v[16:17]
	s_wait_dscnt 0x0
	s_barrier_signal -1
	s_barrier_wait -1
	s_and_saveexec_b32 s28, s0
	s_cbranch_execz .LBB25_45
; %bb.44:                               ;   in Loop: Header=BB25_7 Depth=1
	ds_load_2addr_stride64_b64 v[16:19], v31 offset1:2
	s_wait_dscnt 0x0
	v_min_i64 v[16:17], v[18:19], v[16:17]
	ds_store_b64 v31, v[16:17]
.LBB25_45:                              ;   in Loop: Header=BB25_7 Depth=1
	s_or_b32 exec_lo, exec_lo, s28
	s_wait_dscnt 0x0
	s_barrier_signal -1
	s_barrier_wait -1
	s_and_saveexec_b32 s28, s1
	s_cbranch_execz .LBB25_47
; %bb.46:                               ;   in Loop: Header=BB25_7 Depth=1
	ds_load_2addr_stride64_b64 v[16:19], v31 offset1:1
	s_wait_dscnt 0x0
	v_min_i64 v[16:17], v[18:19], v[16:17]
	ds_store_b64 v31, v[16:17]
.LBB25_47:                              ;   in Loop: Header=BB25_7 Depth=1
	s_or_b32 exec_lo, exec_lo, s28
	s_wait_dscnt 0x0
	s_barrier_signal -1
	s_barrier_wait -1
	s_and_saveexec_b32 s28, s3
	s_cbranch_execz .LBB25_49
; %bb.48:                               ;   in Loop: Header=BB25_7 Depth=1
	ds_load_2addr_b64 v[16:19], v31 offset1:32
	s_wait_dscnt 0x0
	v_min_i64 v[16:17], v[18:19], v[16:17]
	ds_store_b64 v31, v[16:17]
.LBB25_49:                              ;   in Loop: Header=BB25_7 Depth=1
	s_or_b32 exec_lo, exec_lo, s28
	s_wait_dscnt 0x0
	s_barrier_signal -1
	s_barrier_wait -1
	s_and_saveexec_b32 s28, s4
	s_cbranch_execz .LBB25_51
; %bb.50:                               ;   in Loop: Header=BB25_7 Depth=1
	ds_load_2addr_b64 v[16:19], v31 offset1:16
	s_wait_dscnt 0x0
	v_min_i64 v[16:17], v[18:19], v[16:17]
	ds_store_b64 v31, v[16:17]
.LBB25_51:                              ;   in Loop: Header=BB25_7 Depth=1
	;; [unrolled: 12-line block ×5, first 2 shown]
	s_or_b32 exec_lo, exec_lo, s28
	s_wait_dscnt 0x0
	s_barrier_signal -1
	s_barrier_wait -1
	s_and_saveexec_b32 s28, s8
	s_cbranch_execz .LBB25_6
; %bb.58:                               ;   in Loop: Header=BB25_7 Depth=1
	ds_load_b128 v[16:19], v6
	s_wait_dscnt 0x0
	v_min_i64 v[16:17], v[18:19], v[16:17]
	ds_store_b64 v6, v[16:17]
	s_branch .LBB25_6
.LBB25_59:
	s_endpgm
	.section	.rodata,"a",@progbits
	.p2align	6, 0x0
	.amdhsa_kernel _ZN9rocsparseL38csr2bsr_block_per_row_multipass_kernelILj256ELj64EiilEEv20rocsparse_direction_T3_S2_S2_S2_S2_21rocsparse_index_base_PKT1_PKT2_PKS2_S3_PS4_PS7_PS2_
		.amdhsa_group_segment_fixed_size 16388
		.amdhsa_private_segment_fixed_size 0
		.amdhsa_kernarg_size 112
		.amdhsa_user_sgpr_count 2
		.amdhsa_user_sgpr_dispatch_ptr 0
		.amdhsa_user_sgpr_queue_ptr 0
		.amdhsa_user_sgpr_kernarg_segment_ptr 1
		.amdhsa_user_sgpr_dispatch_id 0
		.amdhsa_user_sgpr_kernarg_preload_length 0
		.amdhsa_user_sgpr_kernarg_preload_offset 0
		.amdhsa_user_sgpr_private_segment_size 0
		.amdhsa_wavefront_size32 1
		.amdhsa_uses_dynamic_stack 0
		.amdhsa_enable_private_segment 0
		.amdhsa_system_sgpr_workgroup_id_x 1
		.amdhsa_system_sgpr_workgroup_id_y 0
		.amdhsa_system_sgpr_workgroup_id_z 0
		.amdhsa_system_sgpr_workgroup_info 0
		.amdhsa_system_vgpr_workitem_id 0
		.amdhsa_next_free_vgpr 50
		.amdhsa_next_free_sgpr 52
		.amdhsa_named_barrier_count 0
		.amdhsa_reserve_vcc 1
		.amdhsa_float_round_mode_32 0
		.amdhsa_float_round_mode_16_64 0
		.amdhsa_float_denorm_mode_32 3
		.amdhsa_float_denorm_mode_16_64 3
		.amdhsa_fp16_overflow 0
		.amdhsa_memory_ordered 1
		.amdhsa_forward_progress 1
		.amdhsa_inst_pref_size 23
		.amdhsa_round_robin_scheduling 0
		.amdhsa_exception_fp_ieee_invalid_op 0
		.amdhsa_exception_fp_denorm_src 0
		.amdhsa_exception_fp_ieee_div_zero 0
		.amdhsa_exception_fp_ieee_overflow 0
		.amdhsa_exception_fp_ieee_underflow 0
		.amdhsa_exception_fp_ieee_inexact 0
		.amdhsa_exception_int_div_zero 0
	.end_amdhsa_kernel
	.section	.text._ZN9rocsparseL38csr2bsr_block_per_row_multipass_kernelILj256ELj64EiilEEv20rocsparse_direction_T3_S2_S2_S2_S2_21rocsparse_index_base_PKT1_PKT2_PKS2_S3_PS4_PS7_PS2_,"axG",@progbits,_ZN9rocsparseL38csr2bsr_block_per_row_multipass_kernelILj256ELj64EiilEEv20rocsparse_direction_T3_S2_S2_S2_S2_21rocsparse_index_base_PKT1_PKT2_PKS2_S3_PS4_PS7_PS2_,comdat
.Lfunc_end25:
	.size	_ZN9rocsparseL38csr2bsr_block_per_row_multipass_kernelILj256ELj64EiilEEv20rocsparse_direction_T3_S2_S2_S2_S2_21rocsparse_index_base_PKT1_PKT2_PKS2_S3_PS4_PS7_PS2_, .Lfunc_end25-_ZN9rocsparseL38csr2bsr_block_per_row_multipass_kernelILj256ELj64EiilEEv20rocsparse_direction_T3_S2_S2_S2_S2_21rocsparse_index_base_PKT1_PKT2_PKS2_S3_PS4_PS7_PS2_
                                        ; -- End function
	.set _ZN9rocsparseL38csr2bsr_block_per_row_multipass_kernelILj256ELj64EiilEEv20rocsparse_direction_T3_S2_S2_S2_S2_21rocsparse_index_base_PKT1_PKT2_PKS2_S3_PS4_PS7_PS2_.num_vgpr, 50
	.set _ZN9rocsparseL38csr2bsr_block_per_row_multipass_kernelILj256ELj64EiilEEv20rocsparse_direction_T3_S2_S2_S2_S2_21rocsparse_index_base_PKT1_PKT2_PKS2_S3_PS4_PS7_PS2_.num_agpr, 0
	.set _ZN9rocsparseL38csr2bsr_block_per_row_multipass_kernelILj256ELj64EiilEEv20rocsparse_direction_T3_S2_S2_S2_S2_21rocsparse_index_base_PKT1_PKT2_PKS2_S3_PS4_PS7_PS2_.numbered_sgpr, 52
	.set _ZN9rocsparseL38csr2bsr_block_per_row_multipass_kernelILj256ELj64EiilEEv20rocsparse_direction_T3_S2_S2_S2_S2_21rocsparse_index_base_PKT1_PKT2_PKS2_S3_PS4_PS7_PS2_.num_named_barrier, 0
	.set _ZN9rocsparseL38csr2bsr_block_per_row_multipass_kernelILj256ELj64EiilEEv20rocsparse_direction_T3_S2_S2_S2_S2_21rocsparse_index_base_PKT1_PKT2_PKS2_S3_PS4_PS7_PS2_.private_seg_size, 0
	.set _ZN9rocsparseL38csr2bsr_block_per_row_multipass_kernelILj256ELj64EiilEEv20rocsparse_direction_T3_S2_S2_S2_S2_21rocsparse_index_base_PKT1_PKT2_PKS2_S3_PS4_PS7_PS2_.uses_vcc, 1
	.set _ZN9rocsparseL38csr2bsr_block_per_row_multipass_kernelILj256ELj64EiilEEv20rocsparse_direction_T3_S2_S2_S2_S2_21rocsparse_index_base_PKT1_PKT2_PKS2_S3_PS4_PS7_PS2_.uses_flat_scratch, 0
	.set _ZN9rocsparseL38csr2bsr_block_per_row_multipass_kernelILj256ELj64EiilEEv20rocsparse_direction_T3_S2_S2_S2_S2_21rocsparse_index_base_PKT1_PKT2_PKS2_S3_PS4_PS7_PS2_.has_dyn_sized_stack, 0
	.set _ZN9rocsparseL38csr2bsr_block_per_row_multipass_kernelILj256ELj64EiilEEv20rocsparse_direction_T3_S2_S2_S2_S2_21rocsparse_index_base_PKT1_PKT2_PKS2_S3_PS4_PS7_PS2_.has_recursion, 0
	.set _ZN9rocsparseL38csr2bsr_block_per_row_multipass_kernelILj256ELj64EiilEEv20rocsparse_direction_T3_S2_S2_S2_S2_21rocsparse_index_base_PKT1_PKT2_PKS2_S3_PS4_PS7_PS2_.has_indirect_call, 0
	.section	.AMDGPU.csdata,"",@progbits
; Kernel info:
; codeLenInByte = 2920
; TotalNumSgprs: 54
; NumVgprs: 50
; ScratchSize: 0
; MemoryBound: 0
; FloatMode: 240
; IeeeMode: 1
; LDSByteSize: 16388 bytes/workgroup (compile time only)
; SGPRBlocks: 0
; VGPRBlocks: 3
; NumSGPRsForWavesPerEU: 54
; NumVGPRsForWavesPerEU: 50
; NamedBarCnt: 0
; Occupancy: 16
; WaveLimiterHint : 1
; COMPUTE_PGM_RSRC2:SCRATCH_EN: 0
; COMPUTE_PGM_RSRC2:USER_SGPR: 2
; COMPUTE_PGM_RSRC2:TRAP_HANDLER: 0
; COMPUTE_PGM_RSRC2:TGID_X_EN: 1
; COMPUTE_PGM_RSRC2:TGID_Y_EN: 0
; COMPUTE_PGM_RSRC2:TGID_Z_EN: 0
; COMPUTE_PGM_RSRC2:TIDIG_COMP_CNT: 0
	.section	.text._ZN9rocsparseL21csr2bsr_65_inf_kernelILj32EiilEEv20rocsparse_direction_T2_S2_S2_S2_S2_S2_21rocsparse_index_base_PKT0_PKT1_PKS2_S3_PS4_PS7_PS2_SD_SE_SC_,"axG",@progbits,_ZN9rocsparseL21csr2bsr_65_inf_kernelILj32EiilEEv20rocsparse_direction_T2_S2_S2_S2_S2_S2_21rocsparse_index_base_PKT0_PKT1_PKS2_S3_PS4_PS7_PS2_SD_SE_SC_,comdat
	.globl	_ZN9rocsparseL21csr2bsr_65_inf_kernelILj32EiilEEv20rocsparse_direction_T2_S2_S2_S2_S2_S2_21rocsparse_index_base_PKT0_PKT1_PKS2_S3_PS4_PS7_PS2_SD_SE_SC_ ; -- Begin function _ZN9rocsparseL21csr2bsr_65_inf_kernelILj32EiilEEv20rocsparse_direction_T2_S2_S2_S2_S2_S2_21rocsparse_index_base_PKT0_PKT1_PKS2_S3_PS4_PS7_PS2_SD_SE_SC_
	.p2align	8
	.type	_ZN9rocsparseL21csr2bsr_65_inf_kernelILj32EiilEEv20rocsparse_direction_T2_S2_S2_S2_S2_S2_21rocsparse_index_base_PKT0_PKT1_PKS2_S3_PS4_PS7_PS2_SD_SE_SC_,@function
_ZN9rocsparseL21csr2bsr_65_inf_kernelILj32EiilEEv20rocsparse_direction_T2_S2_S2_S2_S2_S2_21rocsparse_index_base_PKT0_PKT1_PKS2_S3_PS4_PS7_PS2_SD_SE_SC_: ; @_ZN9rocsparseL21csr2bsr_65_inf_kernelILj32EiilEEv20rocsparse_direction_T2_S2_S2_S2_S2_S2_21rocsparse_index_base_PKT0_PKT1_PKS2_S3_PS4_PS7_PS2_SD_SE_SC_
; %bb.0:
	s_clause 0x1
	s_load_b64 s[8:9], s[0:1], 0x18
	s_load_b128 s[4:7], s[0:1], 0x8
	s_bfe_u32 s10, ttmp6, 0x4000c
	s_clause 0x1
	s_load_b64 s[2:3], s[0:1], 0x78
	s_load_b32 s12, s[0:1], 0x58
	s_add_co_i32 s10, s10, 1
	s_and_b32 s11, ttmp6, 15
	s_mul_i32 s10, ttmp9, s10
	s_getreg_b32 s13, hwreg(HW_REG_IB_STS2, 6, 4)
	s_add_co_i32 s11, s11, s10
	s_cmp_eq_u32 s13, 0
	s_mov_b32 s21, 0
	s_cselect_b32 s20, ttmp9, s11
	s_mov_b64 s[22:23], 0
	s_wait_kmcnt 0x0
	v_cmp_le_i64_e64 s8, s[8:9], s[20:21]
	s_and_b32 vcc_lo, exec_lo, s8
	s_cbranch_vccnz .LBB26_2
; %bb.1:
	s_load_b64 s[8:9], s[0:1], 0x68
	s_lshl_b64 s[10:11], s[20:21], 2
	s_wait_kmcnt 0x0
	s_add_nc_u64 s[8:9], s[8:9], s[10:11]
	s_load_b32 s8, s[8:9], 0x0
	s_wait_kmcnt 0x0
	s_sub_co_i32 s22, s8, s12
	s_delay_alu instid0(SALU_CYCLE_1)
	s_ashr_i32 s23, s22, 31
.LBB26_2:
	s_clause 0x1
	s_load_b128 s[8:11], s[0:1], 0x28
	s_load_b32 s14, s[0:1], 0x38
	v_mov_b32_e32 v1, 0
	s_wait_kmcnt 0x0
	s_delay_alu instid0(VALU_DEP_1)
	v_mul_u64_e32 v[8:9], s[10:11], v[0:1]
	s_mul_u64 s[16:17], s[20:21], s[10:11]
	s_lshl_b64 s[18:19], s[10:11], 7
	s_lshl_b64 s[16:17], s[16:17], 8
	v_cmp_lt_i64_e64 s13, s[10:11], 1
	s_add_nc_u64 s[2:3], s[2:3], s[16:17]
	v_cmp_gt_i64_e64 s33, s[10:11], 0
	s_add_nc_u64 s[16:17], s[2:3], s[18:19]
	s_and_b32 vcc_lo, exec_lo, s13
	v_lshlrev_b64_e32 v[4:5], 2, v[8:9]
	s_delay_alu instid0(VALU_DEP_1)
	v_add_nc_u64_e32 v[2:3], s[2:3], v[4:5]
	v_add_nc_u64_e32 v[4:5], s[16:17], v[4:5]
	s_cbranch_vccnz .LBB26_7
; %bb.3:
	s_load_b64 s[2:3], s[0:1], 0x48
	s_mul_u64 s[16:17], s[8:9], s[20:21]
	s_delay_alu instid0(VALU_DEP_1)
	v_mov_b64_e32 v[10:11], v[4:5]
	v_add_nc_u64_e32 v[6:7], s[16:17], v[0:1]
	v_mov_b64_e32 v[12:13], v[0:1]
	v_mov_b64_e32 v[14:15], v[2:3]
	s_mov_b64 s[18:19], s[10:11]
	s_wait_kmcnt 0x0
	s_delay_alu instid0(VALU_DEP_3) | instskip(NEXT) | instid1(VALU_DEP_1)
	v_lshl_add_u64 v[6:7], v[6:7], 2, s[2:3]
	v_add_nc_u64_e32 v[6:7], 4, v[6:7]
	s_branch .LBB26_5
.LBB26_4:                               ;   in Loop: Header=BB26_5 Depth=1
	s_wait_xcnt 0x0
	s_or_b32 exec_lo, exec_lo, s2
	v_add_nc_u64_e32 v[14:15], 4, v[14:15]
	v_add_nc_u64_e32 v[6:7], 0x80, v[6:7]
	;; [unrolled: 1-line block ×4, first 2 shown]
	s_add_nc_u64 s[18:19], s[18:19], -1
	s_delay_alu instid0(SALU_CYCLE_1)
	s_cmp_eq_u64 s[18:19], 0
	s_cbranch_scc1 .LBB26_7
.LBB26_5:                               ; =>This Inner Loop Header: Depth=1
	s_delay_alu instid0(VALU_DEP_2)
	v_add_nc_u64_e32 v[16:17], s[16:17], v[12:13]
	v_cmp_gt_i64_e64 s2, s[8:9], v[12:13]
	global_store_b32 v[14:15], v1, off
	global_store_b32 v[10:11], v1, off
	v_cmp_gt_i64_e32 vcc_lo, s[4:5], v[16:17]
	s_and_b32 s3, vcc_lo, s2
	s_wait_xcnt 0x0
	s_and_saveexec_b32 s2, s3
	s_cbranch_execz .LBB26_4
; %bb.6:                                ;   in Loop: Header=BB26_5 Depth=1
	global_load_b64 v[16:17], v[6:7], off offset:-4
	s_wait_loadcnt 0x0
	v_subrev_nc_u32_e32 v16, s14, v16
	v_subrev_nc_u32_e32 v17, s14, v17
	global_store_b32 v[14:15], v16, off
	global_store_b32 v[10:11], v17, off
	s_branch .LBB26_4
.LBB26_7:
	v_cmp_lt_i64_e64 s2, s[6:7], 1
	s_and_b32 vcc_lo, exec_lo, s2
	s_cbranch_vccnz .LBB26_52
; %bb.8:
	v_mbcnt_lo_u32_b32 v10, -1, 0
	s_clause 0x5
	s_load_b128 s[24:27], s[0:1], 0x80
	s_load_b64 s[28:29], s[0:1], 0x70
	s_load_b64 s[2:3], s[0:1], 0x60
	;; [unrolled: 1-line block ×4, first 2 shown]
	s_load_b32 s18, s[0:1], 0x0
	s_lshl_b64 s[30:31], s[10:11], 5
	v_mov_b64_e32 v[18:19], 0
	v_xor_b32_e32 v15, 1, v10
	v_xor_b32_e32 v13, 2, v10
	;; [unrolled: 1-line block ×5, first 2 shown]
	s_wait_xcnt 0x0
	s_mul_u64 s[0:1], s[30:31], s[20:21]
	v_mov_b64_e32 v[16:17], 0
	s_lshl_b64 s[20:21], s[0:1], 3
	s_lshl_b64 s[0:1], s[0:1], 2
	v_cmp_gt_i32_e32 vcc_lo, 32, v6
	v_mov_b32_e32 v41, 0x7c
	s_mov_b32 s19, 0
	s_mov_b32 s40, 0
	;; [unrolled: 1-line block ×3, first 2 shown]
	v_cndmask_b32_e32 v14, v10, v6, vcc_lo
	v_cmp_gt_i32_e32 vcc_lo, 32, v11
	s_wait_kmcnt 0x0
	s_add_nc_u64 s[20:21], s[24:25], s[20:21]
	s_add_nc_u64 s[0:1], s[26:27], s[0:1]
	v_lshl_add_u64 v[6:7], v[8:9], 3, s[20:21]
	v_lshl_add_u64 v[8:9], v[8:9], 2, s[0:1]
	v_cndmask_b32_e32 v11, v10, v11, vcc_lo
	v_cmp_gt_i32_e32 vcc_lo, 32, v12
	v_cmp_eq_u32_e64 s0, 31, v0
	s_lshl_b64 s[20:21], s[22:23], 3
	s_cmp_lg_u32 s18, 0
	v_dual_cndmask_b32 v12, v10, v12 :: v_dual_lshlrev_b32 v37, 2, v11
	v_cmp_gt_i32_e32 vcc_lo, 32, v13
	s_mov_b32 s13, s19
	s_add_nc_u64 s[20:21], s[28:29], s[20:21]
	s_cselect_b32 s38, -1, 0
	v_dual_cndmask_b32 v13, v10, v13 :: v_dual_lshlrev_b32 v38, 2, v12
	v_cmp_gt_i32_e32 vcc_lo, 32, v15
	v_lshlrev_b32_e32 v36, 2, v14
	s_add_nc_u64 s[22:23], s[22:23], -1
	s_lshl_b64 s[24:25], s[8:9], 2
	v_dual_cndmask_b32 v10, v10, v15 :: v_dual_lshlrev_b32 v39, 2, v13
	v_mov_b64_e32 v[14:15], 0
	s_mov_b64 s[26:27], 0xffffffff
	s_lshl_b64 s[28:29], s[8:9], 7
	s_ashr_i32 s30, s9, 31
	v_dual_lshlrev_b32 v40, 2, v10 :: v_dual_mov_b32 v10, 0
	v_lshlrev_b32_e32 v12, 2, v0
	s_sub_co_i32 s39, 0, s8
	s_delay_alu instid0(VALU_DEP_2) | instskip(NEXT) | instid1(VALU_DEP_1)
	v_mov_b32_e32 v13, v10
	v_add_nc_u64_e32 v[12:13], s[2:3], v[12:13]
	s_branch .LBB26_10
.LBB26_9:                               ;   in Loop: Header=BB26_10 Depth=1
	s_wait_dscnt 0x2
	v_add_nc_u64_e32 v[18:19], 1, v[18:19]
	s_delay_alu instid0(VALU_DEP_1) | instskip(SKIP_1) | instid1(SALU_CYCLE_1)
	v_cmp_le_i64_e32 vcc_lo, s[6:7], v[18:19]
	s_or_b32 s40, vcc_lo, s40
	s_and_not1_b32 exec_lo, exec_lo, s40
	s_cbranch_execz .LBB26_52
.LBB26_10:                              ; =>This Loop Header: Depth=1
                                        ;     Child Loop BB26_14 Depth 2
                                        ;       Child Loop BB26_17 Depth 3
                                        ;     Child Loop BB26_33 Depth 2
	v_mov_b64_e32 v[20:21], s[6:7]
	s_and_not1_b32 vcc_lo, exec_lo, s33
	s_cbranch_vccnz .LBB26_23
; %bb.11:                               ;   in Loop: Header=BB26_10 Depth=1
	v_mov_b64_e32 v[20:21], s[6:7]
	s_mov_b64 s[34:35], 0
	s_branch .LBB26_14
.LBB26_12:                              ;   in Loop: Header=BB26_14 Depth=2
	s_wait_xcnt 0x0
	s_or_b32 exec_lo, exec_lo, s18
.LBB26_13:                              ;   in Loop: Header=BB26_14 Depth=2
	s_delay_alu instid0(SALU_CYCLE_1) | instskip(SKIP_1) | instid1(SALU_CYCLE_1)
	s_or_b32 exec_lo, exec_lo, s1
	s_add_nc_u64 s[34:35], s[34:35], 1
	s_cmp_eq_u64 s[34:35], s[10:11]
	s_cbranch_scc1 .LBB26_23
.LBB26_14:                              ;   Parent Loop BB26_10 Depth=1
                                        ; =>  This Loop Header: Depth=2
                                        ;       Child Loop BB26_17 Depth 3
	s_lshl_b64 s[36:37], s[34:35], 2
	v_mov_b64_e32 v[28:29], s[6:7]
	v_add_nc_u64_e32 v[22:23], s[36:37], v[2:3]
	v_add_nc_u64_e32 v[24:25], s[36:37], v[4:5]
	v_lshl_add_u64 v[26:27], s[34:35], 3, v[6:7]
	s_mov_b32 s1, exec_lo
	s_clause 0x1
	global_load_b32 v32, v[22:23], off
	global_load_b32 v11, v[24:25], off
	s_wait_xcnt 0x0
	v_add_nc_u64_e32 v[24:25], s[36:37], v[8:9]
	global_store_b32 v[24:25], v10, off
	global_store_b64 v[26:27], v[28:29], off
	s_wait_loadcnt 0x0
	s_wait_xcnt 0x0
	v_cmpx_lt_i32_e64 v32, v11
	s_cbranch_execz .LBB26_13
; %bb.15:                               ;   in Loop: Header=BB26_14 Depth=2
	v_ashrrev_i32_e32 v33, 31, v32
	s_mov_b32 s18, 0
                                        ; implicit-def: $sgpr31
                                        ; implicit-def: $sgpr37
                                        ; implicit-def: $sgpr36
	s_delay_alu instid0(VALU_DEP_1)
	v_lshl_add_u64 v[34:35], v[32:33], 3, s[4:5]
	s_branch .LBB26_17
.LBB26_16:                              ;   in Loop: Header=BB26_17 Depth=3
	s_or_b32 exec_lo, exec_lo, s41
	s_delay_alu instid0(SALU_CYCLE_1) | instskip(NEXT) | instid1(SALU_CYCLE_1)
	s_and_b32 s41, exec_lo, s37
	s_or_b32 s18, s41, s18
	s_and_not1_b32 s31, s31, exec_lo
	s_and_b32 s41, s36, exec_lo
	s_delay_alu instid0(SALU_CYCLE_1)
	s_or_b32 s31, s31, s41
	s_and_not1_b32 exec_lo, exec_lo, s18
	s_cbranch_execz .LBB26_19
.LBB26_17:                              ;   Parent Loop BB26_10 Depth=1
                                        ;     Parent Loop BB26_14 Depth=2
                                        ; =>    This Inner Loop Header: Depth=3
	global_load_b64 v[28:29], v[34:35], off
	s_or_b32 s36, s36, exec_lo
	s_or_b32 s37, s37, exec_lo
	s_mov_b32 s41, exec_lo
	s_wait_loadcnt 0x0
	v_sub_nc_u64_e64 v[30:31], v[28:29], s[14:15]
	v_mov_b64_e32 v[28:29], v[32:33]
                                        ; implicit-def: $vgpr32_vgpr33
	s_wait_xcnt 0x0
	s_delay_alu instid0(VALU_DEP_2)
	v_cmpx_lt_i64_e64 v[30:31], v[18:19]
	s_cbranch_execz .LBB26_16
; %bb.18:                               ;   in Loop: Header=BB26_17 Depth=3
	s_delay_alu instid0(VALU_DEP_2) | instskip(SKIP_3) | instid1(VALU_DEP_2)
	v_add_nc_u64_e32 v[32:33], 1, v[28:29]
	v_add_nc_u64_e32 v[34:35], 8, v[34:35]
	s_and_not1_b32 s37, s37, exec_lo
	s_and_not1_b32 s36, s36, exec_lo
	v_cmp_ge_i32_e32 vcc_lo, v32, v11
	s_and_b32 s42, vcc_lo, exec_lo
	s_delay_alu instid0(SALU_CYCLE_1)
	s_or_b32 s37, s37, s42
	s_branch .LBB26_16
.LBB26_19:                              ;   in Loop: Header=BB26_14 Depth=2
	s_or_b32 exec_lo, exec_lo, s18
	v_lshl_add_u64 v[32:33], v[28:29], 2, s[16:17]
	s_xor_b32 s18, s31, -1
	s_delay_alu instid0(SALU_CYCLE_1) | instskip(NEXT) | instid1(SALU_CYCLE_1)
	s_and_saveexec_b32 s31, s18
	s_xor_b32 s18, exec_lo, s31
	s_cbranch_execz .LBB26_21
; %bb.20:                               ;   in Loop: Header=BB26_14 Depth=2
	global_load_b32 v11, v[32:33], off
                                        ; implicit-def: $vgpr32_vgpr33
                                        ; implicit-def: $vgpr22_vgpr23
	s_wait_loadcnt 0x0
	global_store_b32 v[24:25], v11, off
	global_store_b64 v[26:27], v[30:31], off
                                        ; implicit-def: $vgpr24_vgpr25
                                        ; implicit-def: $vgpr26_vgpr27
.LBB26_21:                              ;   in Loop: Header=BB26_14 Depth=2
	s_wait_xcnt 0x0
	s_and_not1_saveexec_b32 s18, s18
	s_cbranch_execz .LBB26_12
; %bb.22:                               ;   in Loop: Header=BB26_14 Depth=2
	global_load_b32 v11, v[32:33], off
	v_min_i64 v[20:21], v[30:31], v[20:21]
	global_store_b64 v[26:27], v[30:31], off
	s_wait_loadcnt 0x0
	global_store_b32 v[24:25], v11, off
	global_store_b32 v[22:23], v28, off
	s_branch .LBB26_12
.LBB26_23:                              ;   in Loop: Header=BB26_10 Depth=1
	ds_bpermute_b32 v18, v36, v20
	ds_bpermute_b32 v19, v36, v21
	s_wait_dscnt 0x0
	v_min_i64 v[18:19], v[18:19], v[20:21]
	ds_bpermute_b32 v20, v37, v18
	ds_bpermute_b32 v21, v37, v19
	s_wait_dscnt 0x0
	v_min_i64 v[18:19], v[20:21], v[18:19]
	;; [unrolled: 4-line block ×5, first 2 shown]
	s_delay_alu instid0(VALU_DEP_1) | instskip(SKIP_1) | instid1(SALU_CYCLE_1)
	v_cmp_gt_i64_e32 vcc_lo, s[6:7], v[18:19]
	s_and_b32 s1, s0, vcc_lo
	s_and_saveexec_b32 s36, s1
	s_cbranch_execz .LBB26_29
; %bb.24:                               ;   in Loop: Header=BB26_10 Depth=1
	v_or_b32_e32 v11, s9, v19
                                        ; implicit-def: $vgpr20_vgpr21
	s_mov_b32 s1, exec_lo
	s_delay_alu instid0(VALU_DEP_1)
	v_cmpx_ne_u64_e32 0, v[10:11]
	s_xor_b32 s37, exec_lo, s1
	s_cbranch_execnz .LBB26_50
; %bb.25:                               ;   in Loop: Header=BB26_10 Depth=1
	s_and_not1_saveexec_b32 s1, s37
	s_cbranch_execnz .LBB26_51
.LBB26_26:                              ;   in Loop: Header=BB26_10 Depth=1
	s_or_b32 exec_lo, exec_lo, s1
	s_delay_alu instid0(SALU_CYCLE_1) | instskip(NEXT) | instid1(VALU_DEP_1)
	s_mov_b32 s1, exec_lo
	v_cmpx_ge_i64_e64 v[20:21], v[16:17]
	s_cbranch_execz .LBB26_28
.LBB26_27:                              ;   in Loop: Header=BB26_10 Depth=1
	v_add_nc_u64_e32 v[22:23], s[12:13], v[20:21]
	v_lshl_add_u64 v[24:25], v[14:15], 3, s[20:21]
	v_add_nc_u64_e32 v[14:15], 1, v[14:15]
	v_add_nc_u64_e32 v[16:17], 1, v[20:21]
	global_store_b64 v[24:25], v[22:23], off
.LBB26_28:                              ;   in Loop: Header=BB26_10 Depth=1
	s_wait_xcnt 0x0
	s_or_b32 exec_lo, exec_lo, s1
.LBB26_29:                              ;   in Loop: Header=BB26_10 Depth=1
	s_delay_alu instid0(SALU_CYCLE_1)
	s_or_b32 exec_lo, exec_lo, s36
	ds_bpermute_b32 v18, v41, v18
	ds_bpermute_b32 v19, v41, v19
	;; [unrolled: 1-line block ×4, first 2 shown]
	s_and_not1_b32 vcc_lo, exec_lo, s33
	s_cbranch_vccnz .LBB26_9
; %bb.30:                               ;   in Loop: Header=BB26_10 Depth=1
	s_wait_dscnt 0x0
	v_dual_mov_b32 v11, v15 :: v_dual_mov_b32 v22, v14
	v_mov_b32_e32 v23, v10
	v_mov_b64_e32 v[28:29], v[12:13]
	s_mov_b64 s[34:35], s[10:11]
	s_delay_alu instid0(VALU_DEP_3) | instskip(NEXT) | instid1(VALU_DEP_1)
	v_add_nc_u64_e32 v[20:21], s[22:23], v[10:11]
	v_add_nc_u64_e32 v[24:25], v[20:21], v[22:23]
	;; [unrolled: 1-line block ×3, first 2 shown]
	s_delay_alu instid0(VALU_DEP_2) | instskip(NEXT) | instid1(VALU_DEP_2)
	v_mad_nc_u64_u32 v[26:27], s8, v24, v[0:1]
	v_mul_u64_e32 v[22:23], s[8:9], v[22:23]
	s_delay_alu instid0(VALU_DEP_2) | instskip(NEXT) | instid1(VALU_DEP_3)
	v_mad_u32 v11, s9, v24, v27
	v_mad_nc_u64_u32 v[20:21], s24, v26, s[2:3]
	s_delay_alu instid0(VALU_DEP_2) | instskip(NEXT) | instid1(VALU_DEP_2)
	v_mad_u32 v11, s8, v25, v11
	v_mad_u32 v21, s25, v26, v21
	v_mov_b64_e32 v[24:25], v[6:7]
	v_mov_b64_e32 v[26:27], v[8:9]
	s_delay_alu instid0(VALU_DEP_3)
	v_mad_u32 v21, s24, v11, v21
	s_branch .LBB26_33
.LBB26_31:                              ;   in Loop: Header=BB26_33 Depth=2
	s_or_b32 exec_lo, exec_lo, s1
	global_load_b32 v11, v[26:27], off
	v_lshl_add_u64 v[30:31], v[32:33], 2, v[20:21]
	s_wait_loadcnt 0x0
	global_store_b32 v[30:31], v11, off
.LBB26_32:                              ;   in Loop: Header=BB26_33 Depth=2
	s_wait_xcnt 0x0
	s_or_b32 exec_lo, exec_lo, s41
	v_add_nc_u64_e32 v[20:21], s[28:29], v[20:21]
	v_add_nc_u64_e32 v[28:29], 0x80, v[28:29]
	;; [unrolled: 1-line block ×4, first 2 shown]
	s_add_nc_u64 s[34:35], s[34:35], -1
	s_delay_alu instid0(SALU_CYCLE_1)
	s_cmp_eq_u64 s[34:35], 0
	s_cbranch_scc1 .LBB26_9
.LBB26_33:                              ;   Parent Loop BB26_10 Depth=1
                                        ; =>  This Inner Loop Header: Depth=2
	global_load_b64 v[30:31], v[24:25], off
	s_mov_b32 s41, exec_lo
	s_wait_loadcnt 0x0
	v_cmpx_gt_i64_e64 s[6:7], v[30:31]
	s_cbranch_execz .LBB26_32
; %bb.34:                               ;   in Loop: Header=BB26_33 Depth=2
	v_or_b32_e32 v42, s9, v31
                                        ; implicit-def: $vgpr32_vgpr33
	s_mov_b32 s1, exec_lo
	s_delay_alu instid0(VALU_DEP_1) | instskip(NEXT) | instid1(VALU_DEP_1)
	v_mov_b32_e32 v11, v42
	v_cmpx_ne_u64_e32 0, v[10:11]
	s_xor_b32 s42, exec_lo, s1
	s_cbranch_execz .LBB26_36
; %bb.35:                               ;   in Loop: Header=BB26_33 Depth=2
	s_mov_b32 s31, s30
	v_dual_mov_b32 v45, v10 :: v_dual_ashrrev_i32 v32, 31, v31
	s_add_nc_u64 s[36:37], s[8:9], s[30:31]
	s_delay_alu instid0(SALU_CYCLE_1) | instskip(NEXT) | instid1(VALU_DEP_1)
	s_xor_b64 s[36:37], s[36:37], s[30:31]
	v_mov_b32_e32 v33, v32
	s_cvt_f32_u32 s1, s36
	s_cvt_f32_u32 s18, s37
	s_sub_nc_u64 s[46:47], 0, s[36:37]
	s_delay_alu instid0(VALU_DEP_1) | instskip(NEXT) | instid1(SALU_CYCLE_1)
	v_add_nc_u64_e32 v[34:35], v[30:31], v[32:33]
	s_fmamk_f32 s1, s18, 0x4f800000, s1
	v_mov_b32_e32 v49, v10
	s_delay_alu instid0(SALU_CYCLE_2) | instskip(NEXT) | instid1(VALU_DEP_2)
	v_s_rcp_f32 s1, s1
	v_xor_b32_e32 v44, v34, v32
	s_delay_alu instid0(VALU_DEP_3) | instskip(NEXT) | instid1(TRANS32_DEP_1)
	v_dual_mov_b32 v53, v10 :: v_dual_bitop2_b32 v48, v35, v32 bitop3:0x14
	s_mul_f32 s1, s1, 0x5f7ffffc
	s_delay_alu instid0(SALU_CYCLE_3) | instskip(NEXT) | instid1(SALU_CYCLE_3)
	s_mul_f32 s18, s1, 0x2f800000
	s_trunc_f32 s18, s18
	s_delay_alu instid0(SALU_CYCLE_3) | instskip(SKIP_1) | instid1(SALU_CYCLE_2)
	s_fmamk_f32 s1, s18, 0xcf800000, s1
	s_cvt_u32_f32 s45, s18
	s_cvt_u32_f32 s44, s1
	s_delay_alu instid0(SALU_CYCLE_3) | instskip(NEXT) | instid1(SALU_CYCLE_1)
	s_mul_u64 s[48:49], s[46:47], s[44:45]
	s_mul_hi_u32 s51, s44, s49
	s_mul_i32 s50, s44, s49
	s_mul_hi_u32 s18, s44, s48
	s_mul_i32 s31, s45, s48
	s_add_nc_u64 s[50:51], s[18:19], s[50:51]
	s_mul_hi_u32 s1, s45, s48
	s_mul_hi_u32 s43, s45, s49
	s_add_co_u32 s18, s50, s31
	s_add_co_ci_u32 s18, s51, s1
	s_mul_i32 s48, s45, s49
	s_add_co_ci_u32 s49, s43, 0
	s_delay_alu instid0(SALU_CYCLE_1) | instskip(NEXT) | instid1(SALU_CYCLE_1)
	s_add_nc_u64 s[48:49], s[18:19], s[48:49]
	s_add_co_u32 s44, s44, s48
	s_cselect_b32 s1, -1, 0
	s_delay_alu instid0(SALU_CYCLE_1) | instskip(SKIP_1) | instid1(SALU_CYCLE_1)
	s_cmp_lg_u32 s1, 0
	s_add_co_ci_u32 s45, s45, s49
	s_mul_u64 s[46:47], s[46:47], s[44:45]
	s_delay_alu instid0(SALU_CYCLE_1)
	s_mul_hi_u32 s49, s44, s47
	s_mul_i32 s48, s44, s47
	s_mul_hi_u32 s18, s44, s46
	s_mul_i32 s31, s45, s46
	s_add_nc_u64 s[48:49], s[18:19], s[48:49]
	s_mul_hi_u32 s1, s45, s46
	s_mul_hi_u32 s43, s45, s47
	s_add_co_u32 s18, s48, s31
	s_add_co_ci_u32 s18, s49, s1
	s_mul_i32 s46, s45, s47
	s_add_co_ci_u32 s47, s43, 0
	s_delay_alu instid0(SALU_CYCLE_1) | instskip(NEXT) | instid1(SALU_CYCLE_1)
	s_add_nc_u64 s[46:47], s[18:19], s[46:47]
	s_add_co_u32 s44, s44, s46
	s_cselect_b32 s1, -1, 0
	v_mul_hi_u32 v52, v44, s44
	s_cmp_lg_u32 s1, 0
	s_add_co_ci_u32 s18, s45, s47
	s_and_b64 s[46:47], s[44:45], s[26:27]
	v_mul_u64_e32 v[46:47], s[18:19], v[44:45]
	v_mul_u64_e32 v[34:35], s[46:47], v[48:49]
	;; [unrolled: 1-line block ×3, first 2 shown]
	s_delay_alu instid0(VALU_DEP_3) | instskip(NEXT) | instid1(VALU_DEP_1)
	v_add_nc_u64_e32 v[46:47], v[52:53], v[46:47]
	v_add_co_u32 v11, vcc_lo, v46, v34
	s_delay_alu instid0(VALU_DEP_2) | instskip(NEXT) | instid1(VALU_DEP_4)
	v_add_co_ci_u32_e32 v52, vcc_lo, v47, v35, vcc_lo
	v_add_co_ci_u32_e32 v51, vcc_lo, 0, v51, vcc_lo
	s_delay_alu instid0(VALU_DEP_1) | instskip(NEXT) | instid1(VALU_DEP_1)
	v_add_nc_u64_e32 v[34:35], v[52:53], v[50:51]
	v_mul_u64_e32 v[46:47], s[36:37], v[34:35]
	s_delay_alu instid0(VALU_DEP_1) | instskip(NEXT) | instid1(VALU_DEP_2)
	v_sub_nc_u32_e32 v11, v48, v47
	v_sub_co_u32 v33, vcc_lo, v44, v46
	s_delay_alu instid0(VALU_DEP_1) | instskip(NEXT) | instid1(VALU_DEP_3)
	v_sub_co_ci_u32_e64 v48, null, v48, v47, vcc_lo
	v_subrev_co_ci_u32_e64 v11, null, s37, v11, vcc_lo
	s_delay_alu instid0(VALU_DEP_3) | instskip(SKIP_1) | instid1(VALU_DEP_3)
	v_sub_co_u32 v43, s1, v33, s36
	v_add_nc_u64_e32 v[46:47], 1, v[34:35]
	v_subrev_co_ci_u32_e64 v11, null, 0, v11, s1
	s_delay_alu instid0(VALU_DEP_3) | instskip(SKIP_1) | instid1(VALU_DEP_3)
	v_cmp_le_u32_e32 vcc_lo, s36, v43
	v_cndmask_b32_e64 v43, 0, -1, vcc_lo
	v_cmp_le_u32_e32 vcc_lo, s37, v11
	v_cndmask_b32_e64 v44, 0, -1, vcc_lo
	;; [unrolled: 2-line block ×4, first 2 shown]
	v_cmp_eq_u32_e32 vcc_lo, s37, v11
	v_cndmask_b32_e32 v11, v44, v43, vcc_lo
	v_cmp_eq_u32_e32 vcc_lo, s37, v48
	v_add_nc_u64_e32 v[44:45], 2, v[34:35]
	v_cndmask_b32_e32 v33, v49, v33, vcc_lo
	s_delay_alu instid0(VALU_DEP_4) | instskip(NEXT) | instid1(VALU_DEP_2)
	v_cmp_ne_u32_e32 vcc_lo, 0, v11
	v_cmp_ne_u32_e64 s1, 0, v33
	s_delay_alu instid0(VALU_DEP_4) | instskip(NEXT) | instid1(VALU_DEP_1)
	v_dual_cndmask_b32 v11, v47, v45, vcc_lo :: v_dual_cndmask_b32 v33, v46, v44, vcc_lo
	v_dual_cndmask_b32 v11, v35, v11, s1 :: v_dual_bitop2_b32 v32, s30, v32 bitop3:0x14
	s_delay_alu instid0(VALU_DEP_1) | instskip(NEXT) | instid1(VALU_DEP_2)
	v_dual_cndmask_b32 v34, v34, v33, s1 :: v_dual_mov_b32 v33, v32
	v_xor_b32_e32 v35, v11, v32
	s_delay_alu instid0(VALU_DEP_2) | instskip(NEXT) | instid1(VALU_DEP_1)
	v_xor_b32_e32 v34, v34, v32
	v_sub_nc_u64_e32 v[32:33], v[34:35], v[32:33]
.LBB26_36:                              ;   in Loop: Header=BB26_33 Depth=2
	s_and_not1_saveexec_b32 s1, s42
	s_cbranch_execz .LBB26_38
; %bb.37:                               ;   in Loop: Header=BB26_33 Depth=2
	v_cvt_f32_u32_e32 v11, s8
	s_delay_alu instid0(VALU_DEP_1) | instskip(SKIP_1) | instid1(TRANS32_DEP_1)
	v_rcp_iflag_f32_e32 v11, v11
	v_nop
	v_mul_f32_e32 v11, 0x4f7ffffe, v11
	s_delay_alu instid0(VALU_DEP_1) | instskip(NEXT) | instid1(VALU_DEP_1)
	v_cvt_u32_f32_e32 v11, v11
	v_mul_lo_u32 v32, s39, v11
	s_delay_alu instid0(VALU_DEP_1) | instskip(NEXT) | instid1(VALU_DEP_1)
	v_mul_hi_u32 v32, v11, v32
	v_add_nc_u32_e32 v11, v11, v32
	s_delay_alu instid0(VALU_DEP_1) | instskip(NEXT) | instid1(VALU_DEP_1)
	v_mul_hi_u32 v11, v30, v11
	v_mul_lo_u32 v32, v11, s8
	s_delay_alu instid0(VALU_DEP_1) | instskip(NEXT) | instid1(VALU_DEP_1)
	v_dual_add_nc_u32 v33, 1, v11 :: v_dual_sub_nc_u32 v32, v30, v32
	v_subrev_nc_u32_e32 v34, s8, v32
	v_cmp_le_u32_e32 vcc_lo, s8, v32
	s_delay_alu instid0(VALU_DEP_2) | instskip(NEXT) | instid1(VALU_DEP_1)
	v_dual_cndmask_b32 v32, v32, v34 :: v_dual_cndmask_b32 v11, v11, v33
	v_cmp_le_u32_e32 vcc_lo, s8, v32
	s_delay_alu instid0(VALU_DEP_2) | instskip(NEXT) | instid1(VALU_DEP_1)
	v_add_nc_u32_e32 v33, 1, v11
	v_dual_cndmask_b32 v32, v11, v33 :: v_dual_mov_b32 v33, v10
.LBB26_38:                              ;   in Loop: Header=BB26_33 Depth=2
	s_or_b32 exec_lo, exec_lo, s1
	v_or_b32_e32 v11, s9, v19
                                        ; implicit-def: $vgpr34_vgpr35
	s_mov_b32 s1, exec_lo
	s_delay_alu instid0(VALU_DEP_1)
	v_cmpx_ne_u64_e32 0, v[10:11]
	s_xor_b32 s42, exec_lo, s1
	s_cbranch_execnz .LBB26_41
; %bb.39:                               ;   in Loop: Header=BB26_33 Depth=2
	s_and_not1_saveexec_b32 s1, s42
	s_cbranch_execnz .LBB26_42
.LBB26_40:                              ;   in Loop: Header=BB26_33 Depth=2
	s_or_b32 exec_lo, exec_lo, s1
	s_delay_alu instid0(VALU_DEP_1)
	v_cmp_eq_u64_e32 vcc_lo, v[32:33], v[34:35]
	s_and_b32 exec_lo, exec_lo, vcc_lo
	s_cbranch_execz .LBB26_32
	s_branch .LBB26_43
.LBB26_41:                              ;   in Loop: Header=BB26_33 Depth=2
	s_mov_b32 s31, s30
	v_dual_mov_b32 v47, v10 :: v_dual_ashrrev_i32 v34, 31, v19
	s_add_nc_u64 s[36:37], s[8:9], s[30:31]
	v_mov_b32_e32 v55, v10
	s_xor_b64 s[36:37], s[36:37], s[30:31]
	s_delay_alu instid0(VALU_DEP_2) | instskip(SKIP_3) | instid1(VALU_DEP_1)
	v_mov_b32_e32 v35, v34
	s_cvt_f32_u32 s1, s36
	s_cvt_f32_u32 s18, s37
	s_sub_nc_u64 s[46:47], 0, s[36:37]
	v_add_nc_u64_e32 v[44:45], v[18:19], v[34:35]
	s_delay_alu instid0(SALU_CYCLE_1) | instskip(SKIP_1) | instid1(SALU_CYCLE_2)
	s_fmamk_f32 s1, s18, 0x4f800000, s1
	v_mov_b32_e32 v51, v10
	v_s_rcp_f32 s1, s1
	s_delay_alu instid0(VALU_DEP_2) | instskip(NEXT) | instid1(VALU_DEP_3)
	v_xor_b32_e32 v46, v44, v34
	v_xor_b32_e32 v50, v45, v34
	;; [unrolled: 1-line block ×3, first 2 shown]
	s_delay_alu instid0(TRANS32_DEP_1) | instskip(NEXT) | instid1(SALU_CYCLE_3)
	s_mul_f32 s1, s1, 0x5f7ffffc
	s_mul_f32 s18, s1, 0x2f800000
	s_delay_alu instid0(SALU_CYCLE_3) | instskip(NEXT) | instid1(SALU_CYCLE_3)
	s_trunc_f32 s18, s18
	s_fmamk_f32 s1, s18, 0xcf800000, s1
	s_cvt_u32_f32 s45, s18
	s_delay_alu instid0(SALU_CYCLE_2) | instskip(NEXT) | instid1(SALU_CYCLE_3)
	s_cvt_u32_f32 s44, s1
	s_mul_u64 s[48:49], s[46:47], s[44:45]
	s_delay_alu instid0(SALU_CYCLE_1)
	s_mul_hi_u32 s51, s44, s49
	s_mul_i32 s50, s44, s49
	s_mul_hi_u32 s18, s44, s48
	s_mul_i32 s31, s45, s48
	s_add_nc_u64 s[50:51], s[18:19], s[50:51]
	s_mul_hi_u32 s1, s45, s48
	s_mul_hi_u32 s43, s45, s49
	s_add_co_u32 s18, s50, s31
	s_add_co_ci_u32 s18, s51, s1
	s_mul_i32 s48, s45, s49
	s_add_co_ci_u32 s49, s43, 0
	s_delay_alu instid0(SALU_CYCLE_1) | instskip(NEXT) | instid1(SALU_CYCLE_1)
	s_add_nc_u64 s[48:49], s[18:19], s[48:49]
	s_add_co_u32 s44, s44, s48
	s_cselect_b32 s1, -1, 0
	s_delay_alu instid0(SALU_CYCLE_1) | instskip(SKIP_1) | instid1(SALU_CYCLE_1)
	s_cmp_lg_u32 s1, 0
	s_add_co_ci_u32 s45, s45, s49
	s_mul_u64 s[46:47], s[46:47], s[44:45]
	s_delay_alu instid0(SALU_CYCLE_1)
	s_mul_hi_u32 s49, s44, s47
	s_mul_i32 s48, s44, s47
	s_mul_hi_u32 s18, s44, s46
	s_mul_i32 s31, s45, s46
	s_add_nc_u64 s[48:49], s[18:19], s[48:49]
	s_mul_hi_u32 s1, s45, s46
	s_mul_hi_u32 s43, s45, s47
	s_add_co_u32 s18, s48, s31
	s_add_co_ci_u32 s18, s49, s1
	s_mul_i32 s46, s45, s47
	s_add_co_ci_u32 s47, s43, 0
	s_delay_alu instid0(SALU_CYCLE_1) | instskip(NEXT) | instid1(SALU_CYCLE_1)
	s_add_nc_u64 s[46:47], s[18:19], s[46:47]
	s_add_co_u32 s44, s44, s46
	s_cselect_b32 s1, -1, 0
	v_mul_hi_u32 v54, v46, s44
	s_cmp_lg_u32 s1, 0
	s_add_co_ci_u32 s18, s45, s47
	s_and_b64 s[46:47], s[44:45], s[26:27]
	v_mul_u64_e32 v[48:49], s[18:19], v[46:47]
	v_mul_u64_e32 v[44:45], s[46:47], v[50:51]
	;; [unrolled: 1-line block ×3, first 2 shown]
	s_delay_alu instid0(VALU_DEP_3) | instskip(NEXT) | instid1(VALU_DEP_1)
	v_add_nc_u64_e32 v[48:49], v[54:55], v[48:49]
	v_add_co_u32 v11, vcc_lo, v48, v44
	s_delay_alu instid0(VALU_DEP_2) | instskip(NEXT) | instid1(VALU_DEP_4)
	v_add_co_ci_u32_e32 v54, vcc_lo, v49, v45, vcc_lo
	v_add_co_ci_u32_e32 v53, vcc_lo, 0, v53, vcc_lo
	s_delay_alu instid0(VALU_DEP_1) | instskip(NEXT) | instid1(VALU_DEP_1)
	v_add_nc_u64_e32 v[44:45], v[54:55], v[52:53]
	v_mul_u64_e32 v[48:49], s[36:37], v[44:45]
	s_delay_alu instid0(VALU_DEP_1) | instskip(NEXT) | instid1(VALU_DEP_2)
	v_sub_nc_u32_e32 v11, v50, v49
	v_sub_co_u32 v35, vcc_lo, v46, v48
	s_delay_alu instid0(VALU_DEP_1) | instskip(NEXT) | instid1(VALU_DEP_3)
	v_sub_co_ci_u32_e64 v50, null, v50, v49, vcc_lo
	v_subrev_co_ci_u32_e64 v11, null, s37, v11, vcc_lo
	s_delay_alu instid0(VALU_DEP_3) | instskip(SKIP_1) | instid1(VALU_DEP_3)
	v_sub_co_u32 v43, s1, v35, s36
	v_add_nc_u64_e32 v[48:49], 1, v[44:45]
	v_subrev_co_ci_u32_e64 v11, null, 0, v11, s1
	s_delay_alu instid0(VALU_DEP_3) | instskip(SKIP_1) | instid1(VALU_DEP_3)
	v_cmp_le_u32_e32 vcc_lo, s36, v43
	v_cndmask_b32_e64 v43, 0, -1, vcc_lo
	v_cmp_le_u32_e32 vcc_lo, s37, v11
	v_cndmask_b32_e64 v46, 0, -1, vcc_lo
	;; [unrolled: 2-line block ×4, first 2 shown]
	v_cmp_eq_u32_e32 vcc_lo, s37, v11
	v_cndmask_b32_e32 v11, v46, v43, vcc_lo
	v_cmp_eq_u32_e32 vcc_lo, s37, v50
	v_add_nc_u64_e32 v[46:47], 2, v[44:45]
	v_cndmask_b32_e32 v35, v51, v35, vcc_lo
	s_delay_alu instid0(VALU_DEP_4) | instskip(NEXT) | instid1(VALU_DEP_2)
	v_cmp_ne_u32_e32 vcc_lo, 0, v11
	v_cmp_ne_u32_e64 s1, 0, v35
	s_delay_alu instid0(VALU_DEP_4) | instskip(NEXT) | instid1(VALU_DEP_1)
	v_dual_cndmask_b32 v11, v49, v47, vcc_lo :: v_dual_cndmask_b32 v35, v48, v46, vcc_lo
	v_dual_cndmask_b32 v43, v44, v35, s1 :: v_dual_mov_b32 v35, v34
	s_delay_alu instid0(VALU_DEP_1) | instskip(NEXT) | instid1(VALU_DEP_1)
	v_dual_cndmask_b32 v11, v45, v11, s1 :: v_dual_bitop2_b32 v44, v43, v34 bitop3:0x14
	v_xor_b32_e32 v45, v11, v34
	s_delay_alu instid0(VALU_DEP_1)
	v_sub_nc_u64_e32 v[34:35], v[44:45], v[34:35]
	s_and_not1_saveexec_b32 s1, s42
	s_cbranch_execz .LBB26_40
.LBB26_42:                              ;   in Loop: Header=BB26_33 Depth=2
	v_cvt_f32_u32_e32 v11, s8
	s_delay_alu instid0(VALU_DEP_1) | instskip(SKIP_1) | instid1(TRANS32_DEP_1)
	v_rcp_iflag_f32_e32 v11, v11
	v_nop
	v_mul_f32_e32 v11, 0x4f7ffffe, v11
	s_delay_alu instid0(VALU_DEP_1) | instskip(NEXT) | instid1(VALU_DEP_1)
	v_cvt_u32_f32_e32 v11, v11
	v_mul_lo_u32 v34, s39, v11
	s_delay_alu instid0(VALU_DEP_1) | instskip(NEXT) | instid1(VALU_DEP_1)
	v_mul_hi_u32 v34, v11, v34
	v_add_nc_u32_e32 v11, v11, v34
	s_delay_alu instid0(VALU_DEP_1) | instskip(NEXT) | instid1(VALU_DEP_1)
	v_mul_hi_u32 v11, v18, v11
	v_mul_lo_u32 v34, v11, s8
	s_delay_alu instid0(VALU_DEP_1) | instskip(NEXT) | instid1(VALU_DEP_1)
	v_dual_add_nc_u32 v35, 1, v11 :: v_dual_sub_nc_u32 v34, v18, v34
	v_subrev_nc_u32_e32 v43, s8, v34
	v_cmp_le_u32_e32 vcc_lo, s8, v34
	s_delay_alu instid0(VALU_DEP_2) | instskip(NEXT) | instid1(VALU_DEP_4)
	v_cndmask_b32_e32 v34, v34, v43, vcc_lo
	v_cndmask_b32_e32 v11, v11, v35, vcc_lo
	s_delay_alu instid0(VALU_DEP_2) | instskip(NEXT) | instid1(VALU_DEP_2)
	v_cmp_le_u32_e32 vcc_lo, s8, v34
	v_add_nc_u32_e32 v35, 1, v11
	s_delay_alu instid0(VALU_DEP_1) | instskip(SKIP_1) | instid1(VALU_DEP_1)
	v_dual_cndmask_b32 v34, v11, v35 :: v_dual_mov_b32 v35, v10
	s_or_b32 exec_lo, exec_lo, s1
	v_cmp_eq_u64_e32 vcc_lo, v[32:33], v[34:35]
	s_and_b32 exec_lo, exec_lo, vcc_lo
	s_cbranch_execz .LBB26_32
.LBB26_43:                              ;   in Loop: Header=BB26_33 Depth=2
	s_and_b32 vcc_lo, exec_lo, s38
	s_cbranch_vccz .LBB26_45
; %bb.44:                               ;   in Loop: Header=BB26_33 Depth=2
	global_load_b32 v11, v[26:27], off
	v_mul_u64_e32 v[32:33], s[8:9], v[32:33]
	s_delay_alu instid0(VALU_DEP_1) | instskip(NEXT) | instid1(VALU_DEP_1)
	v_sub_nc_u64_e32 v[32:33], v[30:31], v[32:33]
	v_add_nc_u64_e32 v[32:33], v[32:33], v[22:23]
	s_delay_alu instid0(VALU_DEP_1) | instskip(NEXT) | instid1(VALU_DEP_1)
	v_mad_nc_u64_u32 v[34:35], s24, v32, v[28:29]
	v_mad_u32 v32, s25, v32, v35
	s_delay_alu instid0(VALU_DEP_1)
	v_mad_u32 v35, s24, v33, v32
	s_wait_loadcnt 0x0
	global_store_b32 v[34:35], v11, off
	s_cbranch_execnz .LBB26_32
	s_branch .LBB26_46
.LBB26_45:                              ;   in Loop: Header=BB26_33 Depth=2
.LBB26_46:                              ;   in Loop: Header=BB26_33 Depth=2
	s_wait_xcnt 0x0
	v_mov_b32_e32 v11, v42
                                        ; implicit-def: $vgpr32_vgpr33
	s_mov_b32 s1, exec_lo
	s_delay_alu instid0(VALU_DEP_1)
	v_cmpx_ne_u64_e32 0, v[10:11]
	s_xor_b32 s42, exec_lo, s1
	s_cbranch_execz .LBB26_48
; %bb.47:                               ;   in Loop: Header=BB26_33 Depth=2
	s_mov_b32 s31, s30
	v_dual_mov_b32 v35, v10 :: v_dual_ashrrev_i32 v32, 31, v31
	s_add_nc_u64 s[36:37], s[8:9], s[30:31]
	s_delay_alu instid0(SALU_CYCLE_1) | instskip(NEXT) | instid1(VALU_DEP_1)
	s_xor_b64 s[36:37], s[36:37], s[30:31]
	v_mov_b32_e32 v33, v32
	s_cvt_f32_u32 s1, s36
	s_cvt_f32_u32 s18, s37
	s_sub_nc_u64 s[46:47], 0, s[36:37]
	s_delay_alu instid0(VALU_DEP_1) | instskip(NEXT) | instid1(SALU_CYCLE_1)
	v_add_nc_u64_e32 v[30:31], v[30:31], v[32:33]
	s_fmamk_f32 s1, s18, 0x4f800000, s1
	v_mov_b32_e32 v45, v10
	s_delay_alu instid0(SALU_CYCLE_2) | instskip(NEXT) | instid1(VALU_DEP_2)
	v_s_rcp_f32 s1, s1
	v_xor_b32_e32 v34, v30, v32
	s_delay_alu instid0(VALU_DEP_3) | instskip(NEXT) | instid1(TRANS32_DEP_1)
	v_dual_mov_b32 v49, v10 :: v_dual_bitop2_b32 v44, v31, v32 bitop3:0x14
	s_mul_f32 s1, s1, 0x5f7ffffc
	s_delay_alu instid0(SALU_CYCLE_3) | instskip(NEXT) | instid1(SALU_CYCLE_3)
	s_mul_f32 s18, s1, 0x2f800000
	s_trunc_f32 s18, s18
	s_delay_alu instid0(SALU_CYCLE_3) | instskip(SKIP_1) | instid1(SALU_CYCLE_2)
	s_fmamk_f32 s1, s18, 0xcf800000, s1
	s_cvt_u32_f32 s45, s18
	s_cvt_u32_f32 s44, s1
	s_delay_alu instid0(SALU_CYCLE_3) | instskip(NEXT) | instid1(SALU_CYCLE_1)
	s_mul_u64 s[48:49], s[46:47], s[44:45]
	s_mul_hi_u32 s51, s44, s49
	s_mul_i32 s50, s44, s49
	s_mul_hi_u32 s18, s44, s48
	s_mul_i32 s31, s45, s48
	s_add_nc_u64 s[50:51], s[18:19], s[50:51]
	s_mul_hi_u32 s1, s45, s48
	s_mul_hi_u32 s43, s45, s49
	s_add_co_u32 s18, s50, s31
	s_add_co_ci_u32 s18, s51, s1
	s_mul_i32 s48, s45, s49
	s_add_co_ci_u32 s49, s43, 0
	s_delay_alu instid0(SALU_CYCLE_1) | instskip(NEXT) | instid1(SALU_CYCLE_1)
	s_add_nc_u64 s[48:49], s[18:19], s[48:49]
	s_add_co_u32 s44, s44, s48
	s_cselect_b32 s1, -1, 0
	s_delay_alu instid0(SALU_CYCLE_1) | instskip(SKIP_1) | instid1(SALU_CYCLE_1)
	s_cmp_lg_u32 s1, 0
	s_add_co_ci_u32 s45, s45, s49
	s_mul_u64 s[46:47], s[46:47], s[44:45]
	s_delay_alu instid0(SALU_CYCLE_1)
	s_mul_hi_u32 s49, s44, s47
	s_mul_i32 s48, s44, s47
	s_mul_hi_u32 s18, s44, s46
	s_mul_i32 s31, s45, s46
	s_add_nc_u64 s[48:49], s[18:19], s[48:49]
	s_mul_hi_u32 s1, s45, s46
	s_mul_hi_u32 s43, s45, s47
	s_add_co_u32 s18, s48, s31
	s_add_co_ci_u32 s18, s49, s1
	s_mul_i32 s46, s45, s47
	s_add_co_ci_u32 s47, s43, 0
	s_delay_alu instid0(SALU_CYCLE_1) | instskip(NEXT) | instid1(SALU_CYCLE_1)
	s_add_nc_u64 s[46:47], s[18:19], s[46:47]
	s_add_co_u32 s44, s44, s46
	s_cselect_b32 s1, -1, 0
	v_mul_hi_u32 v48, v34, s44
	s_cmp_lg_u32 s1, 0
	s_add_co_ci_u32 s18, s45, s47
	s_and_b64 s[46:47], s[44:45], s[26:27]
	v_mul_u64_e32 v[42:43], s[18:19], v[34:35]
	v_mul_u64_e32 v[30:31], s[46:47], v[44:45]
	;; [unrolled: 1-line block ×3, first 2 shown]
	s_delay_alu instid0(VALU_DEP_3) | instskip(NEXT) | instid1(VALU_DEP_1)
	v_add_nc_u64_e32 v[42:43], v[48:49], v[42:43]
	v_add_co_u32 v11, vcc_lo, v42, v30
	s_delay_alu instid0(VALU_DEP_2) | instskip(NEXT) | instid1(VALU_DEP_4)
	v_add_co_ci_u32_e32 v48, vcc_lo, v43, v31, vcc_lo
	v_add_co_ci_u32_e32 v47, vcc_lo, 0, v47, vcc_lo
	s_delay_alu instid0(VALU_DEP_1) | instskip(NEXT) | instid1(VALU_DEP_1)
	v_add_nc_u64_e32 v[30:31], v[48:49], v[46:47]
	v_mul_u64_e32 v[30:31], s[36:37], v[30:31]
	s_delay_alu instid0(VALU_DEP_1) | instskip(NEXT) | instid1(VALU_DEP_2)
	v_sub_nc_u32_e32 v11, v44, v31
	v_sub_co_u32 v30, vcc_lo, v34, v30
	s_delay_alu instid0(VALU_DEP_1) | instskip(NEXT) | instid1(VALU_DEP_3)
	v_sub_co_ci_u32_e64 v31, null, v44, v31, vcc_lo
	v_subrev_co_ci_u32_e64 v11, null, s37, v11, vcc_lo
	s_delay_alu instid0(VALU_DEP_3) | instskip(SKIP_1) | instid1(VALU_DEP_3)
	v_sub_co_u32 v34, vcc_lo, v30, s36
	v_cmp_le_u32_e64 s1, s36, v30
	v_subrev_co_ci_u32_e64 v35, null, 0, v11, vcc_lo
	v_subrev_co_ci_u32_e64 v11, null, s37, v11, vcc_lo
	s_delay_alu instid0(VALU_DEP_3) | instskip(SKIP_2) | instid1(VALU_DEP_2)
	v_cndmask_b32_e64 v42, 0, -1, s1
	v_cmp_le_u32_e64 s1, s36, v34
	v_cmp_le_u32_e32 vcc_lo, s37, v31
	v_cndmask_b32_e64 v43, 0, -1, s1
	v_cmp_le_u32_e64 s1, s37, v35
	v_cndmask_b32_e64 v45, 0, -1, vcc_lo
	v_cmp_eq_u32_e32 vcc_lo, s37, v35
	s_delay_alu instid0(VALU_DEP_3) | instskip(SKIP_1) | instid1(VALU_DEP_1)
	v_cndmask_b32_e64 v44, 0, -1, s1
	v_cmp_eq_u32_e64 s1, s37, v31
	v_dual_cndmask_b32 v43, v44, v43, vcc_lo :: v_dual_cndmask_b32 v42, v45, v42, s1
	v_sub_co_u32 v44, vcc_lo, v34, s36
	s_delay_alu instid0(VALU_DEP_1) | instskip(NEXT) | instid1(VALU_DEP_3)
	v_subrev_co_ci_u32_e64 v11, null, 0, v11, vcc_lo
	v_cmp_ne_u32_e32 vcc_lo, 0, v43
	s_delay_alu instid0(VALU_DEP_2) | instskip(SKIP_1) | instid1(VALU_DEP_2)
	v_dual_cndmask_b32 v11, v35, v11 :: v_dual_cndmask_b32 v34, v34, v44
	v_cmp_ne_u32_e32 vcc_lo, 0, v42
	v_dual_cndmask_b32 v11, v31, v11 :: v_dual_cndmask_b32 v30, v30, v34
	s_delay_alu instid0(VALU_DEP_1) | instskip(NEXT) | instid1(VALU_DEP_2)
	v_xor_b32_e32 v31, v11, v32
	v_xor_b32_e32 v30, v30, v32
	s_delay_alu instid0(VALU_DEP_1)
	v_sub_nc_u64_e32 v[32:33], v[30:31], v[32:33]
                                        ; implicit-def: $vgpr30_vgpr31
.LBB26_48:                              ;   in Loop: Header=BB26_33 Depth=2
	s_and_not1_saveexec_b32 s1, s42
	s_cbranch_execz .LBB26_31
; %bb.49:                               ;   in Loop: Header=BB26_33 Depth=2
	v_cvt_f32_u32_e32 v11, s8
	v_mov_b32_e32 v33, v10
	s_delay_alu instid0(VALU_DEP_2) | instskip(SKIP_1) | instid1(TRANS32_DEP_1)
	v_rcp_iflag_f32_e32 v11, v11
	v_nop
	v_mul_f32_e32 v11, 0x4f7ffffe, v11
	s_delay_alu instid0(VALU_DEP_1) | instskip(NEXT) | instid1(VALU_DEP_1)
	v_cvt_u32_f32_e32 v11, v11
	v_mul_lo_u32 v31, s39, v11
	s_delay_alu instid0(VALU_DEP_1) | instskip(NEXT) | instid1(VALU_DEP_1)
	v_mul_hi_u32 v31, v11, v31
	v_add_nc_u32_e32 v11, v11, v31
	s_delay_alu instid0(VALU_DEP_1) | instskip(NEXT) | instid1(VALU_DEP_1)
	v_mul_hi_u32 v11, v30, v11
	v_mul_lo_u32 v11, v11, s8
	s_delay_alu instid0(VALU_DEP_1) | instskip(NEXT) | instid1(VALU_DEP_1)
	v_sub_nc_u32_e32 v11, v30, v11
	v_subrev_nc_u32_e32 v30, s8, v11
	v_cmp_le_u32_e32 vcc_lo, s8, v11
	s_delay_alu instid0(VALU_DEP_2) | instskip(NEXT) | instid1(VALU_DEP_1)
	v_cndmask_b32_e32 v11, v11, v30, vcc_lo
	v_subrev_nc_u32_e32 v30, s8, v11
	v_cmp_le_u32_e32 vcc_lo, s8, v11
	s_delay_alu instid0(VALU_DEP_2)
	v_cndmask_b32_e32 v32, v11, v30, vcc_lo
	s_branch .LBB26_31
.LBB26_50:                              ;   in Loop: Header=BB26_10 Depth=1
	s_mov_b32 s31, s30
	v_dual_mov_b32 v25, v10 :: v_dual_ashrrev_i32 v20, 31, v19
	s_add_nc_u64 s[34:35], s[8:9], s[30:31]
	s_delay_alu instid0(SALU_CYCLE_1) | instskip(NEXT) | instid1(VALU_DEP_1)
	s_xor_b64 s[34:35], s[34:35], s[30:31]
	v_mov_b32_e32 v21, v20
	s_cvt_f32_u32 s1, s34
	s_cvt_f32_u32 s18, s35
	s_sub_nc_u64 s[44:45], 0, s[34:35]
	s_delay_alu instid0(VALU_DEP_1) | instskip(NEXT) | instid1(SALU_CYCLE_1)
	v_add_nc_u64_e32 v[22:23], v[18:19], v[20:21]
	s_fmamk_f32 s1, s18, 0x4f800000, s1
	v_mov_b32_e32 v29, v10
	s_delay_alu instid0(SALU_CYCLE_2) | instskip(NEXT) | instid1(VALU_DEP_2)
	v_s_rcp_f32 s1, s1
	v_xor_b32_e32 v24, v22, v20
	s_delay_alu instid0(VALU_DEP_3) | instskip(SKIP_1) | instid1(TRANS32_DEP_1)
	v_dual_mov_b32 v33, v10 :: v_dual_bitop2_b32 v28, v23, v20 bitop3:0x14
	v_xor_b32_e32 v20, s30, v20
	s_mul_f32 s1, s1, 0x5f7ffffc
	s_delay_alu instid0(SALU_CYCLE_3) | instskip(NEXT) | instid1(SALU_CYCLE_3)
	s_mul_f32 s18, s1, 0x2f800000
	s_trunc_f32 s18, s18
	s_delay_alu instid0(SALU_CYCLE_3) | instskip(SKIP_1) | instid1(SALU_CYCLE_2)
	s_fmamk_f32 s1, s18, 0xcf800000, s1
	s_cvt_u32_f32 s43, s18
	s_cvt_u32_f32 s42, s1
	s_delay_alu instid0(SALU_CYCLE_3) | instskip(NEXT) | instid1(SALU_CYCLE_1)
	s_mul_u64 s[46:47], s[44:45], s[42:43]
	s_mul_hi_u32 s49, s42, s47
	s_mul_i32 s48, s42, s47
	s_mul_hi_u32 s18, s42, s46
	s_mul_i32 s31, s43, s46
	s_add_nc_u64 s[48:49], s[18:19], s[48:49]
	s_mul_hi_u32 s1, s43, s46
	s_mul_hi_u32 s41, s43, s47
	s_add_co_u32 s18, s48, s31
	s_add_co_ci_u32 s18, s49, s1
	s_mul_i32 s46, s43, s47
	s_add_co_ci_u32 s47, s41, 0
	s_delay_alu instid0(SALU_CYCLE_1) | instskip(NEXT) | instid1(SALU_CYCLE_1)
	s_add_nc_u64 s[46:47], s[18:19], s[46:47]
	s_add_co_u32 s42, s42, s46
	s_cselect_b32 s1, -1, 0
	s_delay_alu instid0(SALU_CYCLE_1) | instskip(SKIP_1) | instid1(SALU_CYCLE_1)
	s_cmp_lg_u32 s1, 0
	s_add_co_ci_u32 s43, s43, s47
	s_mul_u64 s[44:45], s[44:45], s[42:43]
	s_delay_alu instid0(SALU_CYCLE_1)
	s_mul_hi_u32 s47, s42, s45
	s_mul_i32 s46, s42, s45
	s_mul_hi_u32 s18, s42, s44
	s_mul_i32 s31, s43, s44
	s_add_nc_u64 s[46:47], s[18:19], s[46:47]
	s_mul_hi_u32 s1, s43, s44
	s_mul_hi_u32 s41, s43, s45
	s_add_co_u32 s18, s46, s31
	s_add_co_ci_u32 s18, s47, s1
	s_mul_i32 s44, s43, s45
	s_add_co_ci_u32 s45, s41, 0
	s_delay_alu instid0(SALU_CYCLE_1) | instskip(NEXT) | instid1(SALU_CYCLE_1)
	s_add_nc_u64 s[44:45], s[18:19], s[44:45]
	s_add_co_u32 s42, s42, s44
	s_cselect_b32 s1, -1, 0
	v_mul_hi_u32 v32, v24, s42
	s_cmp_lg_u32 s1, 0
	s_add_co_ci_u32 s18, s43, s45
	s_and_b64 s[44:45], s[42:43], s[26:27]
	v_mul_u64_e32 v[26:27], s[18:19], v[24:25]
	v_mul_u64_e32 v[22:23], s[44:45], v[28:29]
	;; [unrolled: 1-line block ×3, first 2 shown]
	s_delay_alu instid0(VALU_DEP_3) | instskip(NEXT) | instid1(VALU_DEP_1)
	v_add_nc_u64_e32 v[26:27], v[32:33], v[26:27]
	v_add_co_u32 v11, vcc_lo, v26, v22
	s_delay_alu instid0(VALU_DEP_2) | instskip(NEXT) | instid1(VALU_DEP_4)
	v_add_co_ci_u32_e32 v32, vcc_lo, v27, v23, vcc_lo
	v_add_co_ci_u32_e32 v31, vcc_lo, 0, v31, vcc_lo
	s_delay_alu instid0(VALU_DEP_1) | instskip(NEXT) | instid1(VALU_DEP_1)
	v_add_nc_u64_e32 v[22:23], v[32:33], v[30:31]
	v_mul_u64_e32 v[26:27], s[34:35], v[22:23]
	s_delay_alu instid0(VALU_DEP_1) | instskip(NEXT) | instid1(VALU_DEP_2)
	v_sub_nc_u32_e32 v11, v28, v27
	v_sub_co_u32 v21, vcc_lo, v24, v26
	s_delay_alu instid0(VALU_DEP_1) | instskip(NEXT) | instid1(VALU_DEP_3)
	v_sub_co_ci_u32_e64 v28, null, v28, v27, vcc_lo
	v_subrev_co_ci_u32_e64 v11, null, s35, v11, vcc_lo
	s_delay_alu instid0(VALU_DEP_3) | instskip(SKIP_1) | instid1(VALU_DEP_3)
	v_sub_co_u32 v24, s1, v21, s34
	v_add_nc_u64_e32 v[26:27], 1, v[22:23]
	v_subrev_co_ci_u32_e64 v11, null, 0, v11, s1
	s_delay_alu instid0(VALU_DEP_3) | instskip(SKIP_1) | instid1(VALU_DEP_3)
	v_cmp_le_u32_e32 vcc_lo, s34, v24
	v_cndmask_b32_e64 v24, 0, -1, vcc_lo
	v_cmp_le_u32_e32 vcc_lo, s35, v11
	v_cndmask_b32_e64 v25, 0, -1, vcc_lo
	;; [unrolled: 2-line block ×4, first 2 shown]
	v_cmp_eq_u32_e32 vcc_lo, s35, v11
	v_cndmask_b32_e32 v11, v25, v24, vcc_lo
	v_cmp_eq_u32_e32 vcc_lo, s35, v28
	v_add_nc_u64_e32 v[24:25], 2, v[22:23]
	v_cndmask_b32_e32 v21, v29, v21, vcc_lo
	s_delay_alu instid0(VALU_DEP_4) | instskip(NEXT) | instid1(VALU_DEP_2)
	v_cmp_ne_u32_e32 vcc_lo, 0, v11
	v_cmp_ne_u32_e64 s1, 0, v21
	s_delay_alu instid0(VALU_DEP_4) | instskip(NEXT) | instid1(VALU_DEP_1)
	v_dual_cndmask_b32 v11, v27, v25, vcc_lo :: v_dual_cndmask_b32 v21, v26, v24, vcc_lo
	v_dual_cndmask_b32 v22, v22, v21, s1 :: v_dual_mov_b32 v21, v20
	s_delay_alu instid0(VALU_DEP_1) | instskip(NEXT) | instid1(VALU_DEP_1)
	v_dual_cndmask_b32 v11, v23, v11, s1 :: v_dual_bitop2_b32 v22, v22, v20 bitop3:0x14
	v_xor_b32_e32 v23, v11, v20
	s_delay_alu instid0(VALU_DEP_1)
	v_sub_nc_u64_e32 v[20:21], v[22:23], v[20:21]
	s_and_not1_saveexec_b32 s1, s37
	s_cbranch_execz .LBB26_26
.LBB26_51:                              ;   in Loop: Header=BB26_10 Depth=1
	v_cvt_f32_u32_e32 v11, s8
	s_delay_alu instid0(VALU_DEP_1) | instskip(SKIP_1) | instid1(TRANS32_DEP_1)
	v_rcp_iflag_f32_e32 v11, v11
	v_nop
	v_mul_f32_e32 v11, 0x4f7ffffe, v11
	s_delay_alu instid0(VALU_DEP_1) | instskip(NEXT) | instid1(VALU_DEP_1)
	v_cvt_u32_f32_e32 v11, v11
	v_mul_lo_u32 v20, s39, v11
	s_delay_alu instid0(VALU_DEP_1) | instskip(NEXT) | instid1(VALU_DEP_1)
	v_mul_hi_u32 v20, v11, v20
	v_add_nc_u32_e32 v11, v11, v20
	s_delay_alu instid0(VALU_DEP_1) | instskip(NEXT) | instid1(VALU_DEP_1)
	v_mul_hi_u32 v11, v18, v11
	v_mul_lo_u32 v20, v11, s8
	s_delay_alu instid0(VALU_DEP_1) | instskip(NEXT) | instid1(VALU_DEP_1)
	v_dual_add_nc_u32 v21, 1, v11 :: v_dual_sub_nc_u32 v20, v18, v20
	v_subrev_nc_u32_e32 v22, s8, v20
	v_cmp_le_u32_e32 vcc_lo, s8, v20
	s_delay_alu instid0(VALU_DEP_2) | instskip(NEXT) | instid1(VALU_DEP_1)
	v_dual_cndmask_b32 v20, v20, v22 :: v_dual_cndmask_b32 v11, v11, v21
	v_cmp_le_u32_e32 vcc_lo, s8, v20
	s_delay_alu instid0(VALU_DEP_2) | instskip(NEXT) | instid1(VALU_DEP_1)
	v_add_nc_u32_e32 v21, 1, v11
	v_dual_cndmask_b32 v20, v11, v21 :: v_dual_mov_b32 v21, v10
	s_or_b32 exec_lo, exec_lo, s1
	s_delay_alu instid0(SALU_CYCLE_1) | instskip(NEXT) | instid1(VALU_DEP_1)
	s_mov_b32 s1, exec_lo
	v_cmpx_ge_i64_e64 v[20:21], v[16:17]
	s_cbranch_execnz .LBB26_27
	s_branch .LBB26_28
.LBB26_52:
	s_endpgm
	.section	.rodata,"a",@progbits
	.p2align	6, 0x0
	.amdhsa_kernel _ZN9rocsparseL21csr2bsr_65_inf_kernelILj32EiilEEv20rocsparse_direction_T2_S2_S2_S2_S2_S2_21rocsparse_index_base_PKT0_PKT1_PKS2_S3_PS4_PS7_PS2_SD_SE_SC_
		.amdhsa_group_segment_fixed_size 0
		.amdhsa_private_segment_fixed_size 0
		.amdhsa_kernarg_size 144
		.amdhsa_user_sgpr_count 2
		.amdhsa_user_sgpr_dispatch_ptr 0
		.amdhsa_user_sgpr_queue_ptr 0
		.amdhsa_user_sgpr_kernarg_segment_ptr 1
		.amdhsa_user_sgpr_dispatch_id 0
		.amdhsa_user_sgpr_kernarg_preload_length 0
		.amdhsa_user_sgpr_kernarg_preload_offset 0
		.amdhsa_user_sgpr_private_segment_size 0
		.amdhsa_wavefront_size32 1
		.amdhsa_uses_dynamic_stack 0
		.amdhsa_enable_private_segment 0
		.amdhsa_system_sgpr_workgroup_id_x 1
		.amdhsa_system_sgpr_workgroup_id_y 0
		.amdhsa_system_sgpr_workgroup_id_z 0
		.amdhsa_system_sgpr_workgroup_info 0
		.amdhsa_system_vgpr_workitem_id 0
		.amdhsa_next_free_vgpr 56
		.amdhsa_next_free_sgpr 52
		.amdhsa_named_barrier_count 0
		.amdhsa_reserve_vcc 1
		.amdhsa_float_round_mode_32 0
		.amdhsa_float_round_mode_16_64 0
		.amdhsa_float_denorm_mode_32 3
		.amdhsa_float_denorm_mode_16_64 3
		.amdhsa_fp16_overflow 0
		.amdhsa_memory_ordered 1
		.amdhsa_forward_progress 1
		.amdhsa_inst_pref_size 39
		.amdhsa_round_robin_scheduling 0
		.amdhsa_exception_fp_ieee_invalid_op 0
		.amdhsa_exception_fp_denorm_src 0
		.amdhsa_exception_fp_ieee_div_zero 0
		.amdhsa_exception_fp_ieee_overflow 0
		.amdhsa_exception_fp_ieee_underflow 0
		.amdhsa_exception_fp_ieee_inexact 0
		.amdhsa_exception_int_div_zero 0
	.end_amdhsa_kernel
	.section	.text._ZN9rocsparseL21csr2bsr_65_inf_kernelILj32EiilEEv20rocsparse_direction_T2_S2_S2_S2_S2_S2_21rocsparse_index_base_PKT0_PKT1_PKS2_S3_PS4_PS7_PS2_SD_SE_SC_,"axG",@progbits,_ZN9rocsparseL21csr2bsr_65_inf_kernelILj32EiilEEv20rocsparse_direction_T2_S2_S2_S2_S2_S2_21rocsparse_index_base_PKT0_PKT1_PKS2_S3_PS4_PS7_PS2_SD_SE_SC_,comdat
.Lfunc_end26:
	.size	_ZN9rocsparseL21csr2bsr_65_inf_kernelILj32EiilEEv20rocsparse_direction_T2_S2_S2_S2_S2_S2_21rocsparse_index_base_PKT0_PKT1_PKS2_S3_PS4_PS7_PS2_SD_SE_SC_, .Lfunc_end26-_ZN9rocsparseL21csr2bsr_65_inf_kernelILj32EiilEEv20rocsparse_direction_T2_S2_S2_S2_S2_S2_21rocsparse_index_base_PKT0_PKT1_PKS2_S3_PS4_PS7_PS2_SD_SE_SC_
                                        ; -- End function
	.set _ZN9rocsparseL21csr2bsr_65_inf_kernelILj32EiilEEv20rocsparse_direction_T2_S2_S2_S2_S2_S2_21rocsparse_index_base_PKT0_PKT1_PKS2_S3_PS4_PS7_PS2_SD_SE_SC_.num_vgpr, 56
	.set _ZN9rocsparseL21csr2bsr_65_inf_kernelILj32EiilEEv20rocsparse_direction_T2_S2_S2_S2_S2_S2_21rocsparse_index_base_PKT0_PKT1_PKS2_S3_PS4_PS7_PS2_SD_SE_SC_.num_agpr, 0
	.set _ZN9rocsparseL21csr2bsr_65_inf_kernelILj32EiilEEv20rocsparse_direction_T2_S2_S2_S2_S2_S2_21rocsparse_index_base_PKT0_PKT1_PKS2_S3_PS4_PS7_PS2_SD_SE_SC_.numbered_sgpr, 52
	.set _ZN9rocsparseL21csr2bsr_65_inf_kernelILj32EiilEEv20rocsparse_direction_T2_S2_S2_S2_S2_S2_21rocsparse_index_base_PKT0_PKT1_PKS2_S3_PS4_PS7_PS2_SD_SE_SC_.num_named_barrier, 0
	.set _ZN9rocsparseL21csr2bsr_65_inf_kernelILj32EiilEEv20rocsparse_direction_T2_S2_S2_S2_S2_S2_21rocsparse_index_base_PKT0_PKT1_PKS2_S3_PS4_PS7_PS2_SD_SE_SC_.private_seg_size, 0
	.set _ZN9rocsparseL21csr2bsr_65_inf_kernelILj32EiilEEv20rocsparse_direction_T2_S2_S2_S2_S2_S2_21rocsparse_index_base_PKT0_PKT1_PKS2_S3_PS4_PS7_PS2_SD_SE_SC_.uses_vcc, 1
	.set _ZN9rocsparseL21csr2bsr_65_inf_kernelILj32EiilEEv20rocsparse_direction_T2_S2_S2_S2_S2_S2_21rocsparse_index_base_PKT0_PKT1_PKS2_S3_PS4_PS7_PS2_SD_SE_SC_.uses_flat_scratch, 0
	.set _ZN9rocsparseL21csr2bsr_65_inf_kernelILj32EiilEEv20rocsparse_direction_T2_S2_S2_S2_S2_S2_21rocsparse_index_base_PKT0_PKT1_PKS2_S3_PS4_PS7_PS2_SD_SE_SC_.has_dyn_sized_stack, 0
	.set _ZN9rocsparseL21csr2bsr_65_inf_kernelILj32EiilEEv20rocsparse_direction_T2_S2_S2_S2_S2_S2_21rocsparse_index_base_PKT0_PKT1_PKS2_S3_PS4_PS7_PS2_SD_SE_SC_.has_recursion, 0
	.set _ZN9rocsparseL21csr2bsr_65_inf_kernelILj32EiilEEv20rocsparse_direction_T2_S2_S2_S2_S2_S2_21rocsparse_index_base_PKT0_PKT1_PKS2_S3_PS4_PS7_PS2_SD_SE_SC_.has_indirect_call, 0
	.section	.AMDGPU.csdata,"",@progbits
; Kernel info:
; codeLenInByte = 4900
; TotalNumSgprs: 54
; NumVgprs: 56
; ScratchSize: 0
; MemoryBound: 0
; FloatMode: 240
; IeeeMode: 1
; LDSByteSize: 0 bytes/workgroup (compile time only)
; SGPRBlocks: 0
; VGPRBlocks: 3
; NumSGPRsForWavesPerEU: 54
; NumVGPRsForWavesPerEU: 56
; NamedBarCnt: 0
; Occupancy: 16
; WaveLimiterHint : 1
; COMPUTE_PGM_RSRC2:SCRATCH_EN: 0
; COMPUTE_PGM_RSRC2:USER_SGPR: 2
; COMPUTE_PGM_RSRC2:TRAP_HANDLER: 0
; COMPUTE_PGM_RSRC2:TGID_X_EN: 1
; COMPUTE_PGM_RSRC2:TGID_Y_EN: 0
; COMPUTE_PGM_RSRC2:TGID_Z_EN: 0
; COMPUTE_PGM_RSRC2:TIDIG_COMP_CNT: 0
	.section	.text._ZN9rocsparseL35csr2bsr_block_dim_equals_one_kernelILj256EillEEvT2_S1_S1_S1_21rocsparse_index_base_PKT0_PKT1_PKS1_S2_PS3_PS6_PS1_,"axG",@progbits,_ZN9rocsparseL35csr2bsr_block_dim_equals_one_kernelILj256EillEEvT2_S1_S1_S1_21rocsparse_index_base_PKT0_PKT1_PKS1_S2_PS3_PS6_PS1_,comdat
	.globl	_ZN9rocsparseL35csr2bsr_block_dim_equals_one_kernelILj256EillEEvT2_S1_S1_S1_21rocsparse_index_base_PKT0_PKT1_PKS1_S2_PS3_PS6_PS1_ ; -- Begin function _ZN9rocsparseL35csr2bsr_block_dim_equals_one_kernelILj256EillEEvT2_S1_S1_S1_21rocsparse_index_base_PKT0_PKT1_PKS1_S2_PS3_PS6_PS1_
	.p2align	8
	.type	_ZN9rocsparseL35csr2bsr_block_dim_equals_one_kernelILj256EillEEvT2_S1_S1_S1_21rocsparse_index_base_PKT0_PKT1_PKS1_S2_PS3_PS6_PS1_,@function
_ZN9rocsparseL35csr2bsr_block_dim_equals_one_kernelILj256EillEEvT2_S1_S1_S1_21rocsparse_index_base_PKT0_PKT1_PKS1_S2_PS3_PS6_PS1_: ; @_ZN9rocsparseL35csr2bsr_block_dim_equals_one_kernelILj256EillEEvT2_S1_S1_S1_21rocsparse_index_base_PKT0_PKT1_PKS1_S2_PS3_PS6_PS1_
; %bb.0:
	s_clause 0x1
	s_load_b64 s[2:3], s[0:1], 0x0
	s_load_b128 s[4:7], s[0:1], 0x28
	s_bfe_u32 s8, ttmp6, 0x4000c
	s_and_b32 s9, ttmp6, 15
	s_add_co_i32 s8, s8, 1
	s_getreg_b32 s10, hwreg(HW_REG_IB_STS2, 6, 4)
	s_mul_i32 s8, ttmp9, s8
	v_mov_b32_e32 v1, 0
	s_add_co_i32 s9, s9, s8
	s_cmp_eq_u32 s10, 0
	s_cselect_b32 s12, ttmp9, s9
	s_delay_alu instid0(SALU_CYCLE_1) | instskip(SKIP_2) | instid1(SALU_CYCLE_1)
	v_lshl_or_b32 v0, s12, 8, v0
	s_wait_kmcnt 0x0
	s_lshl_b64 s[2:3], s[2:3], 3
	s_add_nc_u64 s[2:3], s[6:7], s[2:3]
	s_clause 0x1
	s_load_b64 s[8:9], s[2:3], 0x0
	s_load_b64 s[10:11], s[6:7], 0x0
	s_wait_xcnt 0x0
	s_mov_b32 s7, 0
	s_mov_b32 s6, exec_lo
	s_wait_kmcnt 0x0
	s_sub_nc_u64 s[2:3], s[8:9], s[10:11]
	s_delay_alu instid0(SALU_CYCLE_1)
	v_cmpx_gt_i64_e64 s[2:3], v[0:1]
	s_cbranch_execz .LBB27_3
; %bb.1:
	s_clause 0x3
	s_load_b96 s[8:10], s[0:1], 0x38
	s_load_b64 s[16:17], s[0:1], 0x48
	s_load_b32 s6, s[0:1], 0x20
	s_load_b96 s[12:14], s[0:1], 0x58
	v_lshlrev_b64_e32 v[2:3], 2, v[0:1]
	v_lshlrev_b64_e32 v[4:5], 3, v[0:1]
	s_wait_xcnt 0x0
	s_mov_b32 s1, s7
	s_mov_b32 s18, s7
	s_wait_kmcnt 0x0
	s_mov_b32 s0, s10
	s_delay_alu instid0(SALU_CYCLE_1) | instskip(SKIP_1) | instid1(SALU_CYCLE_1)
	s_sub_nc_u64 s[0:1], s[0:1], s[6:7]
	s_lshl_b32 s6, s14, 8
	s_lshl_b64 s[10:11], s[6:7], 2
	s_lshl_b64 s[14:15], s[6:7], 3
.LBB27_2:                               ; =>This Inner Loop Header: Depth=1
	v_add_nc_u64_e32 v[6:7], s[8:9], v[4:5]
	v_add_nc_u64_e32 v[8:9], s[4:5], v[2:3]
	v_add_nc_u64_e32 v[0:1], s[6:7], v[0:1]
	global_load_b64 v[10:11], v[6:7], off
	global_load_b32 v12, v[8:9], off
	s_wait_xcnt 0x1
	v_add_nc_u64_e32 v[6:7], s[12:13], v[4:5]
	v_cmp_le_i64_e32 vcc_lo, s[2:3], v[0:1]
	s_wait_xcnt 0x0
	v_add_nc_u64_e32 v[8:9], s[16:17], v[2:3]
	v_add_nc_u64_e32 v[2:3], s[10:11], v[2:3]
	;; [unrolled: 1-line block ×3, first 2 shown]
	s_or_b32 s18, vcc_lo, s18
	s_wait_loadcnt 0x1
	v_add_nc_u64_e32 v[10:11], s[0:1], v[10:11]
	s_wait_loadcnt 0x0
	global_store_b32 v[8:9], v12, off
	global_store_b64 v[6:7], v[10:11], off
	s_wait_xcnt 0x0
	s_and_not1_b32 exec_lo, exec_lo, s18
	s_cbranch_execnz .LBB27_2
.LBB27_3:
	s_endpgm
	.section	.rodata,"a",@progbits
	.p2align	6, 0x0
	.amdhsa_kernel _ZN9rocsparseL35csr2bsr_block_dim_equals_one_kernelILj256EillEEvT2_S1_S1_S1_21rocsparse_index_base_PKT0_PKT1_PKS1_S2_PS3_PS6_PS1_
		.amdhsa_group_segment_fixed_size 0
		.amdhsa_private_segment_fixed_size 0
		.amdhsa_kernarg_size 352
		.amdhsa_user_sgpr_count 2
		.amdhsa_user_sgpr_dispatch_ptr 0
		.amdhsa_user_sgpr_queue_ptr 0
		.amdhsa_user_sgpr_kernarg_segment_ptr 1
		.amdhsa_user_sgpr_dispatch_id 0
		.amdhsa_user_sgpr_kernarg_preload_length 0
		.amdhsa_user_sgpr_kernarg_preload_offset 0
		.amdhsa_user_sgpr_private_segment_size 0
		.amdhsa_wavefront_size32 1
		.amdhsa_uses_dynamic_stack 0
		.amdhsa_enable_private_segment 0
		.amdhsa_system_sgpr_workgroup_id_x 1
		.amdhsa_system_sgpr_workgroup_id_y 0
		.amdhsa_system_sgpr_workgroup_id_z 0
		.amdhsa_system_sgpr_workgroup_info 0
		.amdhsa_system_vgpr_workitem_id 0
		.amdhsa_next_free_vgpr 13
		.amdhsa_next_free_sgpr 19
		.amdhsa_named_barrier_count 0
		.amdhsa_reserve_vcc 1
		.amdhsa_float_round_mode_32 0
		.amdhsa_float_round_mode_16_64 0
		.amdhsa_float_denorm_mode_32 3
		.amdhsa_float_denorm_mode_16_64 3
		.amdhsa_fp16_overflow 0
		.amdhsa_memory_ordered 1
		.amdhsa_forward_progress 1
		.amdhsa_inst_pref_size 3
		.amdhsa_round_robin_scheduling 0
		.amdhsa_exception_fp_ieee_invalid_op 0
		.amdhsa_exception_fp_denorm_src 0
		.amdhsa_exception_fp_ieee_div_zero 0
		.amdhsa_exception_fp_ieee_overflow 0
		.amdhsa_exception_fp_ieee_underflow 0
		.amdhsa_exception_fp_ieee_inexact 0
		.amdhsa_exception_int_div_zero 0
	.end_amdhsa_kernel
	.section	.text._ZN9rocsparseL35csr2bsr_block_dim_equals_one_kernelILj256EillEEvT2_S1_S1_S1_21rocsparse_index_base_PKT0_PKT1_PKS1_S2_PS3_PS6_PS1_,"axG",@progbits,_ZN9rocsparseL35csr2bsr_block_dim_equals_one_kernelILj256EillEEvT2_S1_S1_S1_21rocsparse_index_base_PKT0_PKT1_PKS1_S2_PS3_PS6_PS1_,comdat
.Lfunc_end27:
	.size	_ZN9rocsparseL35csr2bsr_block_dim_equals_one_kernelILj256EillEEvT2_S1_S1_S1_21rocsparse_index_base_PKT0_PKT1_PKS1_S2_PS3_PS6_PS1_, .Lfunc_end27-_ZN9rocsparseL35csr2bsr_block_dim_equals_one_kernelILj256EillEEvT2_S1_S1_S1_21rocsparse_index_base_PKT0_PKT1_PKS1_S2_PS3_PS6_PS1_
                                        ; -- End function
	.set _ZN9rocsparseL35csr2bsr_block_dim_equals_one_kernelILj256EillEEvT2_S1_S1_S1_21rocsparse_index_base_PKT0_PKT1_PKS1_S2_PS3_PS6_PS1_.num_vgpr, 13
	.set _ZN9rocsparseL35csr2bsr_block_dim_equals_one_kernelILj256EillEEvT2_S1_S1_S1_21rocsparse_index_base_PKT0_PKT1_PKS1_S2_PS3_PS6_PS1_.num_agpr, 0
	.set _ZN9rocsparseL35csr2bsr_block_dim_equals_one_kernelILj256EillEEvT2_S1_S1_S1_21rocsparse_index_base_PKT0_PKT1_PKS1_S2_PS3_PS6_PS1_.numbered_sgpr, 19
	.set _ZN9rocsparseL35csr2bsr_block_dim_equals_one_kernelILj256EillEEvT2_S1_S1_S1_21rocsparse_index_base_PKT0_PKT1_PKS1_S2_PS3_PS6_PS1_.num_named_barrier, 0
	.set _ZN9rocsparseL35csr2bsr_block_dim_equals_one_kernelILj256EillEEvT2_S1_S1_S1_21rocsparse_index_base_PKT0_PKT1_PKS1_S2_PS3_PS6_PS1_.private_seg_size, 0
	.set _ZN9rocsparseL35csr2bsr_block_dim_equals_one_kernelILj256EillEEvT2_S1_S1_S1_21rocsparse_index_base_PKT0_PKT1_PKS1_S2_PS3_PS6_PS1_.uses_vcc, 1
	.set _ZN9rocsparseL35csr2bsr_block_dim_equals_one_kernelILj256EillEEvT2_S1_S1_S1_21rocsparse_index_base_PKT0_PKT1_PKS1_S2_PS3_PS6_PS1_.uses_flat_scratch, 0
	.set _ZN9rocsparseL35csr2bsr_block_dim_equals_one_kernelILj256EillEEvT2_S1_S1_S1_21rocsparse_index_base_PKT0_PKT1_PKS1_S2_PS3_PS6_PS1_.has_dyn_sized_stack, 0
	.set _ZN9rocsparseL35csr2bsr_block_dim_equals_one_kernelILj256EillEEvT2_S1_S1_S1_21rocsparse_index_base_PKT0_PKT1_PKS1_S2_PS3_PS6_PS1_.has_recursion, 0
	.set _ZN9rocsparseL35csr2bsr_block_dim_equals_one_kernelILj256EillEEvT2_S1_S1_S1_21rocsparse_index_base_PKT0_PKT1_PKS1_S2_PS3_PS6_PS1_.has_indirect_call, 0
	.section	.AMDGPU.csdata,"",@progbits
; Kernel info:
; codeLenInByte = 344
; TotalNumSgprs: 21
; NumVgprs: 13
; ScratchSize: 0
; MemoryBound: 0
; FloatMode: 240
; IeeeMode: 1
; LDSByteSize: 0 bytes/workgroup (compile time only)
; SGPRBlocks: 0
; VGPRBlocks: 0
; NumSGPRsForWavesPerEU: 21
; NumVGPRsForWavesPerEU: 13
; NamedBarCnt: 0
; Occupancy: 16
; WaveLimiterHint : 0
; COMPUTE_PGM_RSRC2:SCRATCH_EN: 0
; COMPUTE_PGM_RSRC2:USER_SGPR: 2
; COMPUTE_PGM_RSRC2:TRAP_HANDLER: 0
; COMPUTE_PGM_RSRC2:TGID_X_EN: 1
; COMPUTE_PGM_RSRC2:TGID_Y_EN: 0
; COMPUTE_PGM_RSRC2:TGID_Z_EN: 0
; COMPUTE_PGM_RSRC2:TIDIG_COMP_CNT: 0
	.section	.text._ZN9rocsparseL42csr2bsr_wavefront_per_row_multipass_kernelILj256ELj16ELj4EillEEv20rocsparse_direction_T4_S2_S2_S2_S2_21rocsparse_index_base_PKT2_PKT3_PKS2_S3_PS4_PS7_PS2_,"axG",@progbits,_ZN9rocsparseL42csr2bsr_wavefront_per_row_multipass_kernelILj256ELj16ELj4EillEEv20rocsparse_direction_T4_S2_S2_S2_S2_21rocsparse_index_base_PKT2_PKT3_PKS2_S3_PS4_PS7_PS2_,comdat
	.globl	_ZN9rocsparseL42csr2bsr_wavefront_per_row_multipass_kernelILj256ELj16ELj4EillEEv20rocsparse_direction_T4_S2_S2_S2_S2_21rocsparse_index_base_PKT2_PKT3_PKS2_S3_PS4_PS7_PS2_ ; -- Begin function _ZN9rocsparseL42csr2bsr_wavefront_per_row_multipass_kernelILj256ELj16ELj4EillEEv20rocsparse_direction_T4_S2_S2_S2_S2_21rocsparse_index_base_PKT2_PKT3_PKS2_S3_PS4_PS7_PS2_
	.p2align	8
	.type	_ZN9rocsparseL42csr2bsr_wavefront_per_row_multipass_kernelILj256ELj16ELj4EillEEv20rocsparse_direction_T4_S2_S2_S2_S2_21rocsparse_index_base_PKT2_PKT3_PKS2_S3_PS4_PS7_PS2_,@function
_ZN9rocsparseL42csr2bsr_wavefront_per_row_multipass_kernelILj256ELj16ELj4EillEEv20rocsparse_direction_T4_S2_S2_S2_S2_21rocsparse_index_base_PKT2_PKT3_PKS2_S3_PS4_PS7_PS2_: ; @_ZN9rocsparseL42csr2bsr_wavefront_per_row_multipass_kernelILj256ELj16ELj4EillEEv20rocsparse_direction_T4_S2_S2_S2_S2_21rocsparse_index_base_PKT2_PKT3_PKS2_S3_PS4_PS7_PS2_
; %bb.0:
	s_bfe_u32 s2, ttmp6, 0x4000c
	s_clause 0x1
	s_load_b96 s[8:10], s[0:1], 0x28
	s_load_b64 s[12:13], s[0:1], 0x40
	s_add_co_i32 s2, s2, 1
	s_and_b32 s3, ttmp6, 15
	s_mul_i32 s2, ttmp9, s2
	s_getreg_b32 s4, hwreg(HW_REG_IB_STS2, 6, 4)
	s_add_co_i32 s3, s3, s2
	s_cmp_eq_u32 s4, 0
	v_dual_mov_b32 v11, 0 :: v_dual_lshrrev_b32 v30, 4, v0
	s_cselect_b32 s14, ttmp9, s3
	v_bfe_u32 v10, v0, 2, 2
	s_ashr_i32 s15, s14, 31
	v_mov_b64_e32 v[16:17], 0
	s_lshl_b64 s[2:3], s[14:15], 4
	s_mov_b32 s11, 0
	v_or_b32_e32 v1, s2, v30
	s_load_b128 s[4:7], s[0:1], 0x18
	s_wait_kmcnt 0x0
	s_delay_alu instid0(VALU_DEP_1) | instskip(NEXT) | instid1(VALU_DEP_1)
	v_mad_nc_u64_u32 v[4:5], v1, s8, v[10:11]
	v_mad_u32 v2, s3, s8, v5
	s_load_b64 s[2:3], s[0:1], 0x8
	s_delay_alu instid0(VALU_DEP_1) | instskip(SKIP_2) | instid1(VALU_DEP_2)
	v_mad_u32 v5, v1, s9, v2
	v_mov_b64_e32 v[2:3], 0
	s_wait_kmcnt 0x0
	v_cmp_gt_i64_e32 vcc_lo, s[2:3], v[4:5]
	v_cmp_gt_i64_e64 s2, s[8:9], v[10:11]
	s_and_b32 s3, s2, vcc_lo
	s_delay_alu instid0(SALU_CYCLE_1)
	s_and_saveexec_b32 s15, s3
	s_cbranch_execz .LBB28_2
; %bb.1:
	v_lshl_add_u64 v[6:7], v[4:5], 3, s[12:13]
	global_load_b64 v[6:7], v[6:7], off
	s_wait_loadcnt 0x0
	v_sub_nc_u64_e64 v[16:17], v[6:7], s[10:11]
.LBB28_2:
	s_or_b32 exec_lo, exec_lo, s15
	s_and_saveexec_b32 s15, s3
	s_cbranch_execz .LBB28_4
; %bb.3:
	v_lshl_add_u64 v[2:3], v[4:5], 3, s[12:13]
	global_load_b64 v[2:3], v[2:3], off offset:8
	s_wait_loadcnt 0x0
	v_sub_nc_u64_e64 v[2:3], v[2:3], s[10:11]
.LBB28_4:
	s_or_b32 exec_lo, exec_lo, s15
	s_load_b32 s12, s[0:1], 0x50
	v_mov_b64_e32 v[4:5], 0
	v_lshl_or_b32 v6, s14, 4, v30
	v_mov_b32_e32 v7, 0
	s_mov_b32 s3, exec_lo
	s_delay_alu instid0(VALU_DEP_1)
	v_cmpx_gt_i64_e64 s[4:5], v[6:7]
	s_cbranch_execz .LBB28_6
; %bb.5:
	s_load_b64 s[4:5], s[0:1], 0x60
	s_mov_b32 s13, 0
	s_wait_kmcnt 0x0
	v_lshl_add_u64 v[4:5], v[6:7], 3, s[4:5]
	global_load_b64 v[4:5], v[4:5], off
	s_wait_loadcnt 0x0
	v_sub_nc_u64_e64 v[4:5], v[4:5], s[12:13]
.LBB28_6:
	s_or_b32 exec_lo, exec_lo, s3
	v_cmp_lt_i64_e64 s3, s[6:7], 1
	s_and_b32 vcc_lo, exec_lo, s3
	s_cbranch_vccnz .LBB28_28
; %bb.7:
	v_dual_mov_b32 v6, 0 :: v_dual_bitop2_b32 v8, 3, v0 bitop3:0x40
	v_mul_u64_e32 v[12:13], s[8:9], v[10:11]
	v_mbcnt_lo_u32_b32 v7, -1, 0
	v_and_b32_e32 v0, 0x3f0, v0
	s_delay_alu instid0(VALU_DEP_4)
	v_dual_mov_b32 v9, v6 :: v_dual_lshlrev_b32 v1, 4, v10
	s_clause 0x3
	s_load_b64 s[20:21], s[0:1], 0x58
	s_load_b64 s[16:17], s[0:1], 0x48
	;; [unrolled: 1-line block ×3, first 2 shown]
	s_load_b32 s3, s[0:1], 0x0
	v_dual_lshlrev_b32 v20, 2, v7 :: v_dual_bitop2_b32 v18, 2, v7 bitop3:0x14
	v_mul_u64_e32 v[14:15], s[8:9], v[8:9]
	v_lshl_or_b32 v31, v0, 2, v1
	v_dual_mov_b32 v1, v6 :: v_dual_bitop2_b32 v21, 8, v7 bitop3:0x14
	v_dual_mov_b32 v11, v6 :: v_dual_bitop2_b32 v19, 1, v7 bitop3:0x14
	v_cmp_gt_i32_e32 vcc_lo, 32, v18
	s_load_b64 s[4:5], s[0:1], 0x68
	v_xor_b32_e32 v22, 4, v7
	s_wait_xcnt 0x0
	v_cmp_gt_i32_e64 s0, 32, v21
	v_dual_lshlrev_b32 v10, 2, v10 :: v_dual_lshlrev_b32 v0, 2, v8
	v_cndmask_b32_e32 v18, v7, v18, vcc_lo
	v_cmp_gt_i32_e32 vcc_lo, 32, v19
	s_delay_alu instid0(VALU_DEP_4) | instskip(SKIP_1) | instid1(VALU_DEP_4)
	v_cndmask_b32_e64 v21, v7, v21, s0
	v_cmp_gt_i32_e64 s0, 32, v22
	v_dual_lshlrev_b32 v34, 2, v18 :: v_dual_bitop2_b32 v32, v31, v0 bitop3:0x54
	v_dual_cndmask_b32 v19, v7, v19, vcc_lo :: v_dual_bitop2_b32 v33, 12, v20 bitop3:0x54
	v_cmp_gt_i64_e32 vcc_lo, s[8:9], v[8:9]
	s_delay_alu instid0(VALU_DEP_4) | instskip(NEXT) | instid1(VALU_DEP_3)
	v_dual_cndmask_b32 v7, v7, v22, s0 :: v_dual_lshlrev_b32 v36, 2, v21
	v_lshlrev_b32_e32 v35, 2, v19
	s_wait_kmcnt 0x0
	v_lshl_add_u64 v[12:13], v[12:13], 2, s[20:21]
	s_delay_alu instid0(VALU_DEP_3) | instskip(SKIP_2) | instid1(VALU_DEP_3)
	v_dual_lshlrev_b32 v37, 2, v7 :: v_dual_bitop2_b32 v38, 60, v20 bitop3:0x54
	s_and_b32 s24, s2, vcc_lo
	v_mov_b32_e32 v39, 1
	v_add_nc_u64_e32 v[0:1], v[12:13], v[0:1]
	s_mov_b32 s1, 0
	s_cmp_lg_u32 s3, 0
	v_lshl_add_u64 v[14:15], v[14:15], 2, s[20:21]
	s_mul_u64 s[14:15], s[8:9], s[8:9]
	s_mov_b32 s11, s1
	s_mov_b32 s13, s1
	s_cselect_b32 s25, -1, 0
	v_add_nc_u64_e32 v[10:11], v[14:15], v[10:11]
	v_mov_b64_e32 v[14:15], 0
	s_mov_b64 s[2:3], 0xffffffff
	s_ashr_i32 s20, s9, 31
	s_sub_co_i32 s26, 0, s8
	s_mov_b32 s27, 0
	s_branch .LBB28_10
.LBB28_8:                               ;   in Loop: Header=BB28_10 Depth=1
	s_wait_xcnt 0x0
	s_or_b32 exec_lo, exec_lo, s21
	v_mov_b64_e32 v[18:19], 1
.LBB28_9:                               ;   in Loop: Header=BB28_10 Depth=1
	s_or_b32 exec_lo, exec_lo, s0
	ds_bpermute_b32 v14, v36, v12
	ds_bpermute_b32 v15, v36, v13
	v_add_nc_u64_e32 v[4:5], v[18:19], v[4:5]
	s_wait_storecnt_dscnt 0x0
	v_min_i64 v[12:13], v[14:15], v[12:13]
	ds_bpermute_b32 v14, v37, v12
	ds_bpermute_b32 v15, v37, v13
	s_wait_dscnt 0x0
	v_min_i64 v[12:13], v[14:15], v[12:13]
	ds_bpermute_b32 v14, v34, v12
	ds_bpermute_b32 v15, v34, v13
	s_wait_dscnt 0x0
	;; [unrolled: 4-line block ×4, first 2 shown]
	v_cmp_le_i64_e32 vcc_lo, s[6:7], v[14:15]
	s_or_b32 s27, vcc_lo, s27
	s_delay_alu instid0(SALU_CYCLE_1)
	s_and_not1_b32 exec_lo, exec_lo, s27
	s_cbranch_execz .LBB28_28
.LBB28_10:                              ; =>This Loop Header: Depth=1
                                        ;     Child Loop BB28_13 Depth 2
	v_add_nc_u64_e32 v[16:17], v[16:17], v[8:9]
	v_mov_b64_e32 v[12:13], s[6:7]
	v_mov_b64_e32 v[28:29], v[2:3]
	s_mov_b32 s28, exec_lo
	ds_store_b8 v30, v6 offset:1024
	ds_store_b32 v32, v6
	s_wait_dscnt 0x0
	v_cmpx_lt_i64_e64 v[16:17], v[2:3]
	s_cbranch_execz .LBB28_22
; %bb.11:                               ;   in Loop: Header=BB28_10 Depth=1
	v_mul_u64_e32 v[18:19], s[8:9], v[14:15]
	v_mov_b64_e32 v[12:13], s[6:7]
	v_mov_b64_e32 v[24:25], v[2:3]
	v_lshl_add_u64 v[20:21], v[16:17], 2, s[18:19]
	v_lshl_add_u64 v[22:23], v[16:17], 3, s[16:17]
	s_mov_b32 s29, 0
	s_branch .LBB28_13
.LBB28_12:                              ;   in Loop: Header=BB28_13 Depth=2
	s_wait_xcnt 0x0
	s_or_b32 exec_lo, exec_lo, s0
	v_add_nc_u64_e32 v[16:17], 4, v[16:17]
	s_xor_b32 s21, vcc_lo, -1
	v_add_nc_u64_e32 v[20:21], 16, v[20:21]
	v_add_nc_u64_e32 v[22:23], 32, v[22:23]
	v_mov_b64_e32 v[24:25], v[28:29]
	s_delay_alu instid0(VALU_DEP_4) | instskip(SKIP_1) | instid1(SALU_CYCLE_1)
	v_cmp_ge_i64_e64 s0, v[16:17], v[2:3]
	s_or_b32 s0, s21, s0
	s_and_b32 s0, exec_lo, s0
	s_delay_alu instid0(SALU_CYCLE_1) | instskip(NEXT) | instid1(SALU_CYCLE_1)
	s_or_b32 s29, s0, s29
	s_and_not1_b32 exec_lo, exec_lo, s29
	s_cbranch_execz .LBB28_21
.LBB28_13:                              ;   Parent Loop BB28_10 Depth=1
                                        ; =>  This Inner Loop Header: Depth=2
	global_load_b64 v[26:27], v[22:23], off
                                        ; implicit-def: $vgpr28_vgpr29
	s_mov_b32 s0, exec_lo
	s_wait_loadcnt 0x0
	v_sub_nc_u64_e64 v[26:27], v[26:27], s[10:11]
	s_delay_alu instid0(VALU_DEP_1) | instskip(SKIP_1) | instid1(VALU_DEP_1)
	v_or_b32_e32 v7, s9, v27
	s_wait_xcnt 0x0
	v_cmpx_ne_u64_e32 0, v[6:7]
	s_xor_b32 s30, exec_lo, s0
	s_cbranch_execz .LBB28_15
; %bb.14:                               ;   in Loop: Header=BB28_13 Depth=2
	s_mov_b32 s21, s20
	v_dual_mov_b32 v43, v6 :: v_dual_ashrrev_i32 v28, 31, v27
	s_add_nc_u64 s[22:23], s[8:9], s[20:21]
	v_mov_b32_e32 v47, v6
	s_xor_b64 s[22:23], s[22:23], s[20:21]
	s_delay_alu instid0(VALU_DEP_2)
	v_mov_b32_e32 v29, v28
	s_cvt_f32_u32 s0, s22
	s_cvt_f32_u32 s21, s23
	s_sub_nc_u64 s[36:37], 0, s[22:23]
	v_mov_b32_e32 v51, v6
	v_add_nc_u64_e32 v[40:41], v[26:27], v[28:29]
	s_fmamk_f32 s0, s21, 0x4f800000, s0
	s_delay_alu instid0(SALU_CYCLE_3) | instskip(NEXT) | instid1(VALU_DEP_1)
	v_s_rcp_f32 s0, s0
	v_xor_b32_e32 v42, v40, v28
	s_delay_alu instid0(VALU_DEP_2) | instskip(NEXT) | instid1(TRANS32_DEP_1)
	v_xor_b32_e32 v46, v41, v28
	s_mul_f32 s0, s0, 0x5f7ffffc
	s_delay_alu instid0(SALU_CYCLE_3) | instskip(NEXT) | instid1(SALU_CYCLE_3)
	s_mul_f32 s21, s0, 0x2f800000
	s_trunc_f32 s21, s21
	s_delay_alu instid0(SALU_CYCLE_3) | instskip(SKIP_1) | instid1(SALU_CYCLE_2)
	s_fmamk_f32 s0, s21, 0xcf800000, s0
	s_cvt_u32_f32 s35, s21
	s_cvt_u32_f32 s34, s0
	s_delay_alu instid0(SALU_CYCLE_3) | instskip(NEXT) | instid1(SALU_CYCLE_1)
	s_mul_u64 s[38:39], s[36:37], s[34:35]
	s_mul_hi_u32 s41, s34, s39
	s_mul_i32 s40, s34, s39
	s_mul_hi_u32 s0, s34, s38
	s_mul_i32 s31, s35, s38
	s_add_nc_u64 s[40:41], s[0:1], s[40:41]
	s_mul_hi_u32 s21, s35, s38
	s_mul_hi_u32 s33, s35, s39
	s_add_co_u32 s0, s40, s31
	s_add_co_ci_u32 s0, s41, s21
	s_mul_i32 s38, s35, s39
	s_add_co_ci_u32 s39, s33, 0
	s_delay_alu instid0(SALU_CYCLE_1) | instskip(NEXT) | instid1(SALU_CYCLE_1)
	s_add_nc_u64 s[38:39], s[0:1], s[38:39]
	s_add_co_u32 s34, s34, s38
	s_cselect_b32 s0, -1, 0
	s_delay_alu instid0(SALU_CYCLE_1) | instskip(SKIP_1) | instid1(SALU_CYCLE_1)
	s_cmp_lg_u32 s0, 0
	s_add_co_ci_u32 s35, s35, s39
	s_mul_u64 s[36:37], s[36:37], s[34:35]
	s_delay_alu instid0(SALU_CYCLE_1)
	s_mul_hi_u32 s39, s34, s37
	s_mul_i32 s38, s34, s37
	s_mul_hi_u32 s0, s34, s36
	s_mul_i32 s31, s35, s36
	s_add_nc_u64 s[38:39], s[0:1], s[38:39]
	s_mul_hi_u32 s21, s35, s36
	s_mul_hi_u32 s33, s35, s37
	s_add_co_u32 s0, s38, s31
	s_add_co_ci_u32 s0, s39, s21
	s_mul_i32 s36, s35, s37
	s_add_co_ci_u32 s37, s33, 0
	s_delay_alu instid0(SALU_CYCLE_1) | instskip(NEXT) | instid1(SALU_CYCLE_1)
	s_add_nc_u64 s[36:37], s[0:1], s[36:37]
	s_add_co_u32 s34, s34, s36
	s_cselect_b32 s0, -1, 0
	v_mul_hi_u32 v50, v42, s34
	s_cmp_lg_u32 s0, 0
	s_add_co_ci_u32 s0, s35, s37
	s_and_b64 s[36:37], s[34:35], s[2:3]
	v_mul_u64_e32 v[44:45], s[0:1], v[42:43]
	v_mul_u64_e32 v[40:41], s[36:37], v[46:47]
	;; [unrolled: 1-line block ×3, first 2 shown]
	s_delay_alu instid0(VALU_DEP_3) | instskip(NEXT) | instid1(VALU_DEP_1)
	v_add_nc_u64_e32 v[44:45], v[50:51], v[44:45]
	v_add_co_u32 v7, vcc_lo, v44, v40
	s_delay_alu instid0(VALU_DEP_2) | instskip(NEXT) | instid1(VALU_DEP_4)
	v_add_co_ci_u32_e32 v50, vcc_lo, v45, v41, vcc_lo
	v_add_co_ci_u32_e32 v49, vcc_lo, 0, v49, vcc_lo
	s_delay_alu instid0(VALU_DEP_1) | instskip(NEXT) | instid1(VALU_DEP_1)
	v_add_nc_u64_e32 v[40:41], v[50:51], v[48:49]
	v_mul_u64_e32 v[44:45], s[22:23], v[40:41]
	s_delay_alu instid0(VALU_DEP_1) | instskip(NEXT) | instid1(VALU_DEP_2)
	v_sub_nc_u32_e32 v7, v46, v45
	v_sub_co_u32 v19, vcc_lo, v42, v44
	s_delay_alu instid0(VALU_DEP_1) | instskip(NEXT) | instid1(VALU_DEP_3)
	v_sub_co_ci_u32_e64 v29, null, v46, v45, vcc_lo
	v_subrev_co_ci_u32_e64 v7, null, s23, v7, vcc_lo
	s_delay_alu instid0(VALU_DEP_3) | instskip(SKIP_1) | instid1(VALU_DEP_3)
	v_sub_co_u32 v27, s0, v19, s22
	v_add_nc_u64_e32 v[44:45], 1, v[40:41]
	v_subrev_co_ci_u32_e64 v7, null, 0, v7, s0
	s_delay_alu instid0(VALU_DEP_3) | instskip(SKIP_1) | instid1(VALU_DEP_3)
	v_cmp_le_u32_e32 vcc_lo, s22, v27
	v_cndmask_b32_e64 v27, 0, -1, vcc_lo
	v_cmp_le_u32_e32 vcc_lo, s23, v7
	v_cndmask_b32_e64 v42, 0, -1, vcc_lo
	;; [unrolled: 2-line block ×4, first 2 shown]
	v_cmp_eq_u32_e32 vcc_lo, s23, v7
	v_cndmask_b32_e32 v7, v42, v27, vcc_lo
	v_cmp_eq_u32_e32 vcc_lo, s23, v29
	v_add_nc_u64_e32 v[42:43], 2, v[40:41]
	v_cndmask_b32_e32 v19, v46, v19, vcc_lo
	s_delay_alu instid0(VALU_DEP_4) | instskip(NEXT) | instid1(VALU_DEP_2)
	v_cmp_ne_u32_e32 vcc_lo, 0, v7
	v_cmp_ne_u32_e64 s0, 0, v19
	s_delay_alu instid0(VALU_DEP_4) | instskip(NEXT) | instid1(VALU_DEP_1)
	v_dual_cndmask_b32 v7, v45, v43, vcc_lo :: v_dual_cndmask_b32 v19, v44, v42, vcc_lo
	v_dual_cndmask_b32 v7, v41, v7, s0 :: v_dual_bitop2_b32 v28, s20, v28 bitop3:0x14
	s_delay_alu instid0(VALU_DEP_1) | instskip(NEXT) | instid1(VALU_DEP_1)
	v_dual_cndmask_b32 v19, v40, v19, s0 :: v_dual_bitop2_b32 v41, v7, v28 bitop3:0x14
	v_dual_mov_b32 v29, v28 :: v_dual_bitop2_b32 v40, v19, v28 bitop3:0x14
	s_delay_alu instid0(VALU_DEP_1)
	v_sub_nc_u64_e32 v[28:29], v[40:41], v[28:29]
.LBB28_15:                              ;   in Loop: Header=BB28_13 Depth=2
	s_and_not1_saveexec_b32 s0, s30
	s_cbranch_execz .LBB28_17
; %bb.16:                               ;   in Loop: Header=BB28_13 Depth=2
	v_cvt_f32_u32_e32 v7, s8
	v_mov_b32_e32 v29, v6
	s_delay_alu instid0(VALU_DEP_2) | instskip(SKIP_1) | instid1(TRANS32_DEP_1)
	v_rcp_iflag_f32_e32 v7, v7
	v_nop
	v_mul_f32_e32 v7, 0x4f7ffffe, v7
	s_delay_alu instid0(VALU_DEP_1) | instskip(NEXT) | instid1(VALU_DEP_1)
	v_cvt_u32_f32_e32 v7, v7
	v_mul_lo_u32 v19, s26, v7
	s_delay_alu instid0(VALU_DEP_1) | instskip(NEXT) | instid1(VALU_DEP_1)
	v_mul_hi_u32 v19, v7, v19
	v_add_nc_u32_e32 v7, v7, v19
	s_delay_alu instid0(VALU_DEP_1) | instskip(NEXT) | instid1(VALU_DEP_1)
	v_mul_hi_u32 v7, v26, v7
	v_mul_lo_u32 v19, v7, s8
	s_delay_alu instid0(VALU_DEP_1) | instskip(NEXT) | instid1(VALU_DEP_1)
	v_sub_nc_u32_e32 v19, v26, v19
	v_subrev_nc_u32_e32 v28, s8, v19
	v_cmp_le_u32_e32 vcc_lo, s8, v19
	s_delay_alu instid0(VALU_DEP_2) | instskip(NEXT) | instid1(VALU_DEP_1)
	v_dual_add_nc_u32 v27, 1, v7 :: v_dual_cndmask_b32 v19, v19, v28, vcc_lo
	v_cndmask_b32_e32 v7, v7, v27, vcc_lo
	s_delay_alu instid0(VALU_DEP_2) | instskip(NEXT) | instid1(VALU_DEP_2)
	v_cmp_le_u32_e32 vcc_lo, s8, v19
	v_add_nc_u32_e32 v27, 1, v7
	s_delay_alu instid0(VALU_DEP_1)
	v_cndmask_b32_e32 v28, v7, v27, vcc_lo
.LBB28_17:                              ;   in Loop: Header=BB28_13 Depth=2
	s_or_b32 exec_lo, exec_lo, s0
	s_delay_alu instid0(VALU_DEP_1) | instskip(SKIP_2) | instid1(SALU_CYCLE_1)
	v_cmp_ne_u64_e64 s0, v[28:29], v[14:15]
	v_cmp_eq_u64_e32 vcc_lo, v[28:29], v[14:15]
	s_and_saveexec_b32 s21, s0
	s_xor_b32 s0, exec_lo, s21
; %bb.18:                               ;   in Loop: Header=BB28_13 Depth=2
	v_min_i64 v[12:13], v[28:29], v[12:13]
                                        ; implicit-def: $vgpr26_vgpr27
                                        ; implicit-def: $vgpr24_vgpr25
; %bb.19:                               ;   in Loop: Header=BB28_13 Depth=2
	s_or_saveexec_b32 s0, s0
	v_mov_b64_e32 v[28:29], v[16:17]
	s_xor_b32 exec_lo, exec_lo, s0
	s_cbranch_execz .LBB28_12
; %bb.20:                               ;   in Loop: Header=BB28_13 Depth=2
	global_load_b32 v7, v[20:21], off
	v_sub_nc_u32_e32 v19, v26, v18
	v_mov_b64_e32 v[28:29], v[24:25]
	s_delay_alu instid0(VALU_DEP_2)
	v_lshl_add_u32 v19, v19, 2, v31
	ds_store_b8 v30, v39 offset:1024
	s_wait_loadcnt 0x0
	ds_store_b32 v19, v7
	s_branch .LBB28_12
.LBB28_21:                              ;   in Loop: Header=BB28_10 Depth=1
	s_or_b32 exec_lo, exec_lo, s29
.LBB28_22:                              ;   in Loop: Header=BB28_10 Depth=1
	s_delay_alu instid0(SALU_CYCLE_1)
	s_or_b32 exec_lo, exec_lo, s28
	ds_bpermute_b32 v16, v34, v28
	ds_bpermute_b32 v17, v34, v29
	s_wait_dscnt 0x0
	ds_load_u8 v7, v30 offset:1024
	s_mov_b32 s0, exec_lo
	v_min_i64 v[16:17], v[16:17], v[28:29]
	s_wait_dscnt 0x0
	v_and_b32_e32 v7, 1, v7
	ds_bpermute_b32 v18, v35, v16
	ds_bpermute_b32 v19, v35, v17
	s_wait_dscnt 0x0
	v_min_i64 v[16:17], v[18:19], v[16:17]
	v_mov_b64_e32 v[18:19], 0
	ds_bpermute_b32 v16, v33, v16
	ds_bpermute_b32 v17, v33, v17
	v_cmpx_eq_u32_e32 1, v7
	s_cbranch_execz .LBB28_9
; %bb.23:                               ;   in Loop: Header=BB28_10 Depth=1
	v_add_nc_u64_e32 v[14:15], s[12:13], v[14:15]
	v_lshl_add_u64 v[18:19], v[4:5], 3, s[4:5]
	global_store_b64 v[18:19], v[14:15], off
	s_wait_xcnt 0x0
	s_and_saveexec_b32 s21, s24
	s_cbranch_execz .LBB28_8
; %bb.24:                               ;   in Loop: Header=BB28_10 Depth=1
	v_mul_u64_e32 v[14:15], s[14:15], v[4:5]
	ds_load_b32 v7, v32
	s_and_b32 vcc_lo, exec_lo, s25
	s_cbranch_vccz .LBB28_26
; %bb.25:                               ;   in Loop: Header=BB28_10 Depth=1
	v_lshl_add_u64 v[18:19], v[14:15], 2, v[10:11]
	s_wait_dscnt 0x0
	global_store_b32 v[18:19], v7, off
	s_cbranch_execnz .LBB28_8
	s_branch .LBB28_27
.LBB28_26:                              ;   in Loop: Header=BB28_10 Depth=1
.LBB28_27:                              ;   in Loop: Header=BB28_10 Depth=1
	v_lshl_add_u64 v[14:15], v[14:15], 2, v[0:1]
	s_wait_dscnt 0x0
	global_store_b32 v[14:15], v7, off
	s_branch .LBB28_8
.LBB28_28:
	s_endpgm
	.section	.rodata,"a",@progbits
	.p2align	6, 0x0
	.amdhsa_kernel _ZN9rocsparseL42csr2bsr_wavefront_per_row_multipass_kernelILj256ELj16ELj4EillEEv20rocsparse_direction_T4_S2_S2_S2_S2_21rocsparse_index_base_PKT2_PKT3_PKS2_S3_PS4_PS7_PS2_
		.amdhsa_group_segment_fixed_size 1040
		.amdhsa_private_segment_fixed_size 0
		.amdhsa_kernarg_size 112
		.amdhsa_user_sgpr_count 2
		.amdhsa_user_sgpr_dispatch_ptr 0
		.amdhsa_user_sgpr_queue_ptr 0
		.amdhsa_user_sgpr_kernarg_segment_ptr 1
		.amdhsa_user_sgpr_dispatch_id 0
		.amdhsa_user_sgpr_kernarg_preload_length 0
		.amdhsa_user_sgpr_kernarg_preload_offset 0
		.amdhsa_user_sgpr_private_segment_size 0
		.amdhsa_wavefront_size32 1
		.amdhsa_uses_dynamic_stack 0
		.amdhsa_enable_private_segment 0
		.amdhsa_system_sgpr_workgroup_id_x 1
		.amdhsa_system_sgpr_workgroup_id_y 0
		.amdhsa_system_sgpr_workgroup_id_z 0
		.amdhsa_system_sgpr_workgroup_info 0
		.amdhsa_system_vgpr_workitem_id 0
		.amdhsa_next_free_vgpr 52
		.amdhsa_next_free_sgpr 42
		.amdhsa_named_barrier_count 0
		.amdhsa_reserve_vcc 1
		.amdhsa_float_round_mode_32 0
		.amdhsa_float_round_mode_16_64 0
		.amdhsa_float_denorm_mode_32 3
		.amdhsa_float_denorm_mode_16_64 3
		.amdhsa_fp16_overflow 0
		.amdhsa_memory_ordered 1
		.amdhsa_forward_progress 1
		.amdhsa_inst_pref_size 17
		.amdhsa_round_robin_scheduling 0
		.amdhsa_exception_fp_ieee_invalid_op 0
		.amdhsa_exception_fp_denorm_src 0
		.amdhsa_exception_fp_ieee_div_zero 0
		.amdhsa_exception_fp_ieee_overflow 0
		.amdhsa_exception_fp_ieee_underflow 0
		.amdhsa_exception_fp_ieee_inexact 0
		.amdhsa_exception_int_div_zero 0
	.end_amdhsa_kernel
	.section	.text._ZN9rocsparseL42csr2bsr_wavefront_per_row_multipass_kernelILj256ELj16ELj4EillEEv20rocsparse_direction_T4_S2_S2_S2_S2_21rocsparse_index_base_PKT2_PKT3_PKS2_S3_PS4_PS7_PS2_,"axG",@progbits,_ZN9rocsparseL42csr2bsr_wavefront_per_row_multipass_kernelILj256ELj16ELj4EillEEv20rocsparse_direction_T4_S2_S2_S2_S2_21rocsparse_index_base_PKT2_PKT3_PKS2_S3_PS4_PS7_PS2_,comdat
.Lfunc_end28:
	.size	_ZN9rocsparseL42csr2bsr_wavefront_per_row_multipass_kernelILj256ELj16ELj4EillEEv20rocsparse_direction_T4_S2_S2_S2_S2_21rocsparse_index_base_PKT2_PKT3_PKS2_S3_PS4_PS7_PS2_, .Lfunc_end28-_ZN9rocsparseL42csr2bsr_wavefront_per_row_multipass_kernelILj256ELj16ELj4EillEEv20rocsparse_direction_T4_S2_S2_S2_S2_21rocsparse_index_base_PKT2_PKT3_PKS2_S3_PS4_PS7_PS2_
                                        ; -- End function
	.set _ZN9rocsparseL42csr2bsr_wavefront_per_row_multipass_kernelILj256ELj16ELj4EillEEv20rocsparse_direction_T4_S2_S2_S2_S2_21rocsparse_index_base_PKT2_PKT3_PKS2_S3_PS4_PS7_PS2_.num_vgpr, 52
	.set _ZN9rocsparseL42csr2bsr_wavefront_per_row_multipass_kernelILj256ELj16ELj4EillEEv20rocsparse_direction_T4_S2_S2_S2_S2_21rocsparse_index_base_PKT2_PKT3_PKS2_S3_PS4_PS7_PS2_.num_agpr, 0
	.set _ZN9rocsparseL42csr2bsr_wavefront_per_row_multipass_kernelILj256ELj16ELj4EillEEv20rocsparse_direction_T4_S2_S2_S2_S2_21rocsparse_index_base_PKT2_PKT3_PKS2_S3_PS4_PS7_PS2_.numbered_sgpr, 42
	.set _ZN9rocsparseL42csr2bsr_wavefront_per_row_multipass_kernelILj256ELj16ELj4EillEEv20rocsparse_direction_T4_S2_S2_S2_S2_21rocsparse_index_base_PKT2_PKT3_PKS2_S3_PS4_PS7_PS2_.num_named_barrier, 0
	.set _ZN9rocsparseL42csr2bsr_wavefront_per_row_multipass_kernelILj256ELj16ELj4EillEEv20rocsparse_direction_T4_S2_S2_S2_S2_21rocsparse_index_base_PKT2_PKT3_PKS2_S3_PS4_PS7_PS2_.private_seg_size, 0
	.set _ZN9rocsparseL42csr2bsr_wavefront_per_row_multipass_kernelILj256ELj16ELj4EillEEv20rocsparse_direction_T4_S2_S2_S2_S2_21rocsparse_index_base_PKT2_PKT3_PKS2_S3_PS4_PS7_PS2_.uses_vcc, 1
	.set _ZN9rocsparseL42csr2bsr_wavefront_per_row_multipass_kernelILj256ELj16ELj4EillEEv20rocsparse_direction_T4_S2_S2_S2_S2_21rocsparse_index_base_PKT2_PKT3_PKS2_S3_PS4_PS7_PS2_.uses_flat_scratch, 0
	.set _ZN9rocsparseL42csr2bsr_wavefront_per_row_multipass_kernelILj256ELj16ELj4EillEEv20rocsparse_direction_T4_S2_S2_S2_S2_21rocsparse_index_base_PKT2_PKT3_PKS2_S3_PS4_PS7_PS2_.has_dyn_sized_stack, 0
	.set _ZN9rocsparseL42csr2bsr_wavefront_per_row_multipass_kernelILj256ELj16ELj4EillEEv20rocsparse_direction_T4_S2_S2_S2_S2_21rocsparse_index_base_PKT2_PKT3_PKS2_S3_PS4_PS7_PS2_.has_recursion, 0
	.set _ZN9rocsparseL42csr2bsr_wavefront_per_row_multipass_kernelILj256ELj16ELj4EillEEv20rocsparse_direction_T4_S2_S2_S2_S2_21rocsparse_index_base_PKT2_PKT3_PKS2_S3_PS4_PS7_PS2_.has_indirect_call, 0
	.section	.AMDGPU.csdata,"",@progbits
; Kernel info:
; codeLenInByte = 2144
; TotalNumSgprs: 44
; NumVgprs: 52
; ScratchSize: 0
; MemoryBound: 0
; FloatMode: 240
; IeeeMode: 1
; LDSByteSize: 1040 bytes/workgroup (compile time only)
; SGPRBlocks: 0
; VGPRBlocks: 3
; NumSGPRsForWavesPerEU: 44
; NumVGPRsForWavesPerEU: 52
; NamedBarCnt: 0
; Occupancy: 16
; WaveLimiterHint : 0
; COMPUTE_PGM_RSRC2:SCRATCH_EN: 0
; COMPUTE_PGM_RSRC2:USER_SGPR: 2
; COMPUTE_PGM_RSRC2:TRAP_HANDLER: 0
; COMPUTE_PGM_RSRC2:TGID_X_EN: 1
; COMPUTE_PGM_RSRC2:TGID_Y_EN: 0
; COMPUTE_PGM_RSRC2:TGID_Z_EN: 0
; COMPUTE_PGM_RSRC2:TIDIG_COMP_CNT: 0
	.section	.text._ZN9rocsparseL42csr2bsr_wavefront_per_row_multipass_kernelILj256ELj64ELj8EillEEv20rocsparse_direction_T4_S2_S2_S2_S2_21rocsparse_index_base_PKT2_PKT3_PKS2_S3_PS4_PS7_PS2_,"axG",@progbits,_ZN9rocsparseL42csr2bsr_wavefront_per_row_multipass_kernelILj256ELj64ELj8EillEEv20rocsparse_direction_T4_S2_S2_S2_S2_21rocsparse_index_base_PKT2_PKT3_PKS2_S3_PS4_PS7_PS2_,comdat
	.globl	_ZN9rocsparseL42csr2bsr_wavefront_per_row_multipass_kernelILj256ELj64ELj8EillEEv20rocsparse_direction_T4_S2_S2_S2_S2_21rocsparse_index_base_PKT2_PKT3_PKS2_S3_PS4_PS7_PS2_ ; -- Begin function _ZN9rocsparseL42csr2bsr_wavefront_per_row_multipass_kernelILj256ELj64ELj8EillEEv20rocsparse_direction_T4_S2_S2_S2_S2_21rocsparse_index_base_PKT2_PKT3_PKS2_S3_PS4_PS7_PS2_
	.p2align	8
	.type	_ZN9rocsparseL42csr2bsr_wavefront_per_row_multipass_kernelILj256ELj64ELj8EillEEv20rocsparse_direction_T4_S2_S2_S2_S2_21rocsparse_index_base_PKT2_PKT3_PKS2_S3_PS4_PS7_PS2_,@function
_ZN9rocsparseL42csr2bsr_wavefront_per_row_multipass_kernelILj256ELj64ELj8EillEEv20rocsparse_direction_T4_S2_S2_S2_S2_21rocsparse_index_base_PKT2_PKT3_PKS2_S3_PS4_PS7_PS2_: ; @_ZN9rocsparseL42csr2bsr_wavefront_per_row_multipass_kernelILj256ELj64ELj8EillEEv20rocsparse_direction_T4_S2_S2_S2_S2_21rocsparse_index_base_PKT2_PKT3_PKS2_S3_PS4_PS7_PS2_
; %bb.0:
	s_bfe_u32 s2, ttmp6, 0x4000c
	s_clause 0x1
	s_load_b96 s[8:10], s[0:1], 0x28
	s_load_b64 s[12:13], s[0:1], 0x40
	s_add_co_i32 s2, s2, 1
	s_and_b32 s3, ttmp6, 15
	s_mul_i32 s2, ttmp9, s2
	s_getreg_b32 s4, hwreg(HW_REG_IB_STS2, 6, 4)
	s_add_co_i32 s3, s3, s2
	s_cmp_eq_u32 s4, 0
	v_dual_mov_b32 v11, 0 :: v_dual_lshrrev_b32 v30, 6, v0
	s_cselect_b32 s14, ttmp9, s3
	v_bfe_u32 v10, v0, 3, 3
	s_ashr_i32 s15, s14, 31
	v_mov_b64_e32 v[16:17], 0
	s_lshl_b64 s[2:3], s[14:15], 2
	s_mov_b32 s11, 0
	v_or_b32_e32 v1, s2, v30
	s_load_b128 s[4:7], s[0:1], 0x18
	s_wait_kmcnt 0x0
	s_delay_alu instid0(VALU_DEP_1) | instskip(NEXT) | instid1(VALU_DEP_1)
	v_mad_nc_u64_u32 v[4:5], v1, s8, v[10:11]
	v_mad_u32 v2, s3, s8, v5
	s_load_b64 s[2:3], s[0:1], 0x8
	s_delay_alu instid0(VALU_DEP_1) | instskip(SKIP_2) | instid1(VALU_DEP_2)
	v_mad_u32 v5, v1, s9, v2
	v_mov_b64_e32 v[2:3], 0
	s_wait_kmcnt 0x0
	v_cmp_gt_i64_e32 vcc_lo, s[2:3], v[4:5]
	v_cmp_gt_i64_e64 s2, s[8:9], v[10:11]
	s_and_b32 s3, s2, vcc_lo
	s_delay_alu instid0(SALU_CYCLE_1)
	s_and_saveexec_b32 s15, s3
	s_cbranch_execz .LBB29_2
; %bb.1:
	v_lshl_add_u64 v[6:7], v[4:5], 3, s[12:13]
	global_load_b64 v[6:7], v[6:7], off
	s_wait_loadcnt 0x0
	v_sub_nc_u64_e64 v[16:17], v[6:7], s[10:11]
.LBB29_2:
	s_or_b32 exec_lo, exec_lo, s15
	s_and_saveexec_b32 s15, s3
	s_cbranch_execz .LBB29_4
; %bb.3:
	v_lshl_add_u64 v[2:3], v[4:5], 3, s[12:13]
	global_load_b64 v[2:3], v[2:3], off offset:8
	s_wait_loadcnt 0x0
	v_sub_nc_u64_e64 v[2:3], v[2:3], s[10:11]
.LBB29_4:
	s_or_b32 exec_lo, exec_lo, s15
	s_load_b32 s12, s[0:1], 0x50
	v_mov_b64_e32 v[4:5], 0
	v_lshl_or_b32 v6, s14, 2, v30
	v_mov_b32_e32 v7, 0
	s_mov_b32 s3, exec_lo
	s_delay_alu instid0(VALU_DEP_1)
	v_cmpx_gt_i64_e64 s[4:5], v[6:7]
	s_cbranch_execz .LBB29_6
; %bb.5:
	s_load_b64 s[4:5], s[0:1], 0x60
	s_mov_b32 s13, 0
	s_wait_kmcnt 0x0
	v_lshl_add_u64 v[4:5], v[6:7], 3, s[4:5]
	global_load_b64 v[4:5], v[4:5], off
	s_wait_loadcnt 0x0
	v_sub_nc_u64_e64 v[4:5], v[4:5], s[12:13]
.LBB29_6:
	s_or_b32 exec_lo, exec_lo, s3
	v_cmp_lt_i64_e64 s3, s[6:7], 1
	s_and_b32 vcc_lo, exec_lo, s3
	s_cbranch_vccnz .LBB29_28
; %bb.7:
	v_dual_mov_b32 v6, 0 :: v_dual_bitop2_b32 v8, 7, v0 bitop3:0x40
	v_and_b32_e32 v1, 0x3c0, v0
	v_mbcnt_lo_u32_b32 v18, -1, 0
	v_mul_u64_e32 v[12:13], s[8:9], v[10:11]
	s_delay_alu instid0(VALU_DEP_4)
	v_dual_mov_b32 v9, v6 :: v_dual_lshlrev_b32 v7, 5, v10
	s_clause 0x4
	s_load_b64 s[4:5], s[0:1], 0x68
	s_load_b64 s[20:21], s[0:1], 0x58
	;; [unrolled: 1-line block ×4, first 2 shown]
	s_load_b32 s3, s[0:1], 0x0
	v_dual_lshlrev_b32 v0, 2, v10 :: v_dual_lshlrev_b32 v10, 2, v8
	v_lshl_or_b32 v31, v1, 2, v7
	v_dual_mov_b32 v1, v6 :: v_dual_bitop2_b32 v7, 4, v18 bitop3:0x14
	v_mul_u64_e32 v[14:15], s[8:9], v[8:9]
	v_lshl_or_b32 v32, v18, 2, 28
	v_bfrev_b32_e32 v40, 0.5
	s_delay_alu instid0(VALU_DEP_4)
	v_cmp_gt_i32_e32 vcc_lo, 32, v7
	v_xor_b32_e32 v11, 2, v18
	s_wait_xcnt 0x0
	s_mov_b32 s1, 0
	s_mul_u64 s[14:15], s[8:9], s[8:9]
	s_mov_b32 s11, s1
	v_cndmask_b32_e32 v7, v18, v7, vcc_lo
	v_cmp_gt_i32_e64 s0, 32, v11
	v_xor_b32_e32 v19, 1, v18
	v_cmp_gt_i64_e32 vcc_lo, s[8:9], v[8:9]
	s_delay_alu instid0(VALU_DEP_4) | instskip(NEXT) | instid1(VALU_DEP_4)
	v_dual_lshlrev_b32 v34, 2, v7 :: v_dual_bitop2_b32 v21, 16, v18 bitop3:0x14
	v_cndmask_b32_e64 v11, v18, v11, s0
	s_delay_alu instid0(VALU_DEP_4)
	v_cmp_gt_i32_e64 s0, 32, v19
	v_or_b32_e32 v20, 32, v18
	v_or_b32_e32 v33, v31, v10
	s_and_b32 s24, s2, vcc_lo
	v_lshlrev_b32_e32 v35, 2, v11
	v_cndmask_b32_e64 v19, v18, v19, s0
	v_cmp_gt_i32_e32 vcc_lo, 32, v20
	v_xor_b32_e32 v7, 8, v18
	s_wait_kmcnt 0x0
	v_lshl_add_u64 v[12:13], v[12:13], 2, s[20:21]
	v_dual_mov_b32 v11, v6 :: v_dual_lshlrev_b32 v36, 2, v19
	v_cndmask_b32_e32 v19, v18, v20, vcc_lo
	v_cmp_gt_i32_e32 vcc_lo, 32, v21
	s_cmp_lg_u32 s3, 0
	s_delay_alu instid0(VALU_DEP_3)
	v_add_nc_u64_e32 v[10:11], v[12:13], v[10:11]
	s_mov_b32 s13, s1
	s_cselect_b32 s25, -1, 0
	v_cndmask_b32_e32 v20, v18, v21, vcc_lo
	v_cmp_gt_i32_e32 vcc_lo, 32, v7
	v_lshl_add_u64 v[14:15], v[14:15], 2, s[20:21]
	s_mov_b64 s[2:3], 0xffffffff
	v_mov_b32_e32 v41, 1
	s_ashr_i32 s20, s9, 31
	v_cndmask_b32_e32 v7, v18, v7, vcc_lo
	v_add_nc_u64_e32 v[0:1], v[14:15], v[0:1]
	v_mov_b64_e32 v[14:15], 0
	v_dual_lshlrev_b32 v37, 2, v19 :: v_dual_lshlrev_b32 v38, 2, v20
	s_delay_alu instid0(VALU_DEP_4)
	v_lshlrev_b32_e32 v39, 2, v7
	s_sub_co_i32 s26, 0, s8
	s_mov_b32 s27, 0
	s_branch .LBB29_10
.LBB29_8:                               ;   in Loop: Header=BB29_10 Depth=1
	s_wait_xcnt 0x0
	s_or_b32 exec_lo, exec_lo, s21
	v_mov_b64_e32 v[18:19], 1
.LBB29_9:                               ;   in Loop: Header=BB29_10 Depth=1
	s_or_b32 exec_lo, exec_lo, s0
	ds_bpermute_b32 v14, v37, v12
	ds_bpermute_b32 v15, v37, v13
	v_add_nc_u64_e32 v[4:5], v[18:19], v[4:5]
	s_wait_storecnt_dscnt 0x0
	v_min_i64 v[12:13], v[14:15], v[12:13]
	ds_bpermute_b32 v14, v38, v12
	ds_bpermute_b32 v15, v38, v13
	s_wait_dscnt 0x0
	v_min_i64 v[12:13], v[14:15], v[12:13]
	ds_bpermute_b32 v14, v39, v12
	ds_bpermute_b32 v15, v39, v13
	s_wait_dscnt 0x0
	v_min_i64 v[12:13], v[14:15], v[12:13]
	ds_bpermute_b32 v14, v34, v12
	ds_bpermute_b32 v15, v34, v13
	s_wait_dscnt 0x0
	v_min_i64 v[12:13], v[14:15], v[12:13]
	ds_bpermute_b32 v14, v35, v12
	ds_bpermute_b32 v15, v35, v13
	s_wait_dscnt 0x0
	v_min_i64 v[12:13], v[14:15], v[12:13]
	ds_bpermute_b32 v14, v36, v12
	ds_bpermute_b32 v15, v36, v13
	s_wait_dscnt 0x0
	v_min_i64 v[12:13], v[14:15], v[12:13]
	ds_bpermute_b32 v14, v40, v12
	ds_bpermute_b32 v15, v40, v13
	s_wait_dscnt 0x0
	v_cmp_le_i64_e32 vcc_lo, s[6:7], v[14:15]
	s_or_b32 s27, vcc_lo, s27
	s_delay_alu instid0(SALU_CYCLE_1)
	s_and_not1_b32 exec_lo, exec_lo, s27
	s_cbranch_execz .LBB29_28
.LBB29_10:                              ; =>This Loop Header: Depth=1
                                        ;     Child Loop BB29_13 Depth 2
	v_add_nc_u64_e32 v[16:17], v[16:17], v[8:9]
	v_mov_b64_e32 v[12:13], s[6:7]
	v_mov_b64_e32 v[28:29], v[2:3]
	s_mov_b32 s28, exec_lo
	ds_store_b8 v30, v6 offset:1024
	ds_store_b32 v33, v6
	s_wait_dscnt 0x0
	v_cmpx_lt_i64_e64 v[16:17], v[2:3]
	s_cbranch_execz .LBB29_22
; %bb.11:                               ;   in Loop: Header=BB29_10 Depth=1
	v_mul_u64_e32 v[18:19], s[8:9], v[14:15]
	v_mov_b64_e32 v[12:13], s[6:7]
	v_mov_b64_e32 v[24:25], v[2:3]
	v_lshl_add_u64 v[20:21], v[16:17], 2, s[18:19]
	v_lshl_add_u64 v[22:23], v[16:17], 3, s[16:17]
	s_mov_b32 s29, 0
	s_branch .LBB29_13
.LBB29_12:                              ;   in Loop: Header=BB29_13 Depth=2
	s_wait_xcnt 0x0
	s_or_b32 exec_lo, exec_lo, s0
	v_add_nc_u64_e32 v[16:17], 8, v[16:17]
	s_xor_b32 s21, vcc_lo, -1
	v_add_nc_u64_e32 v[20:21], 32, v[20:21]
	v_add_nc_u64_e32 v[22:23], 64, v[22:23]
	v_mov_b64_e32 v[24:25], v[28:29]
	s_delay_alu instid0(VALU_DEP_4) | instskip(SKIP_1) | instid1(SALU_CYCLE_1)
	v_cmp_ge_i64_e64 s0, v[16:17], v[2:3]
	s_or_b32 s0, s21, s0
	s_and_b32 s0, exec_lo, s0
	s_delay_alu instid0(SALU_CYCLE_1) | instskip(NEXT) | instid1(SALU_CYCLE_1)
	s_or_b32 s29, s0, s29
	s_and_not1_b32 exec_lo, exec_lo, s29
	s_cbranch_execz .LBB29_21
.LBB29_13:                              ;   Parent Loop BB29_10 Depth=1
                                        ; =>  This Inner Loop Header: Depth=2
	global_load_b64 v[26:27], v[22:23], off
                                        ; implicit-def: $vgpr28_vgpr29
	s_mov_b32 s0, exec_lo
	s_wait_loadcnt 0x0
	v_sub_nc_u64_e64 v[26:27], v[26:27], s[10:11]
	s_delay_alu instid0(VALU_DEP_1) | instskip(SKIP_1) | instid1(VALU_DEP_1)
	v_or_b32_e32 v7, s9, v27
	s_wait_xcnt 0x0
	v_cmpx_ne_u64_e32 0, v[6:7]
	s_xor_b32 s30, exec_lo, s0
	s_cbranch_execz .LBB29_15
; %bb.14:                               ;   in Loop: Header=BB29_13 Depth=2
	s_mov_b32 s21, s20
	v_dual_mov_b32 v45, v6 :: v_dual_ashrrev_i32 v28, 31, v27
	s_add_nc_u64 s[22:23], s[8:9], s[20:21]
	s_delay_alu instid0(SALU_CYCLE_1) | instskip(NEXT) | instid1(VALU_DEP_1)
	s_xor_b64 s[22:23], s[22:23], s[20:21]
	v_mov_b32_e32 v29, v28
	s_cvt_f32_u32 s0, s22
	s_cvt_f32_u32 s21, s23
	s_sub_nc_u64 s[36:37], 0, s[22:23]
	s_delay_alu instid0(VALU_DEP_1) | instskip(NEXT) | instid1(SALU_CYCLE_1)
	v_add_nc_u64_e32 v[42:43], v[26:27], v[28:29]
	s_fmamk_f32 s0, s21, 0x4f800000, s0
	v_mov_b32_e32 v49, v6
	s_delay_alu instid0(SALU_CYCLE_2) | instskip(NEXT) | instid1(VALU_DEP_2)
	v_s_rcp_f32 s0, s0
	v_xor_b32_e32 v44, v42, v28
	s_delay_alu instid0(VALU_DEP_3) | instskip(NEXT) | instid1(TRANS32_DEP_1)
	v_dual_mov_b32 v53, v6 :: v_dual_bitop2_b32 v48, v43, v28 bitop3:0x14
	s_mul_f32 s0, s0, 0x5f7ffffc
	s_delay_alu instid0(SALU_CYCLE_3) | instskip(NEXT) | instid1(SALU_CYCLE_3)
	s_mul_f32 s21, s0, 0x2f800000
	s_trunc_f32 s21, s21
	s_delay_alu instid0(SALU_CYCLE_3) | instskip(SKIP_1) | instid1(SALU_CYCLE_2)
	s_fmamk_f32 s0, s21, 0xcf800000, s0
	s_cvt_u32_f32 s35, s21
	s_cvt_u32_f32 s34, s0
	s_delay_alu instid0(SALU_CYCLE_3) | instskip(NEXT) | instid1(SALU_CYCLE_1)
	s_mul_u64 s[38:39], s[36:37], s[34:35]
	s_mul_hi_u32 s41, s34, s39
	s_mul_i32 s40, s34, s39
	s_mul_hi_u32 s0, s34, s38
	s_mul_i32 s31, s35, s38
	s_add_nc_u64 s[40:41], s[0:1], s[40:41]
	s_mul_hi_u32 s21, s35, s38
	s_mul_hi_u32 s33, s35, s39
	s_add_co_u32 s0, s40, s31
	s_add_co_ci_u32 s0, s41, s21
	s_mul_i32 s38, s35, s39
	s_add_co_ci_u32 s39, s33, 0
	s_delay_alu instid0(SALU_CYCLE_1) | instskip(NEXT) | instid1(SALU_CYCLE_1)
	s_add_nc_u64 s[38:39], s[0:1], s[38:39]
	s_add_co_u32 s34, s34, s38
	s_cselect_b32 s0, -1, 0
	s_delay_alu instid0(SALU_CYCLE_1) | instskip(SKIP_1) | instid1(SALU_CYCLE_1)
	s_cmp_lg_u32 s0, 0
	s_add_co_ci_u32 s35, s35, s39
	s_mul_u64 s[36:37], s[36:37], s[34:35]
	s_delay_alu instid0(SALU_CYCLE_1)
	s_mul_hi_u32 s39, s34, s37
	s_mul_i32 s38, s34, s37
	s_mul_hi_u32 s0, s34, s36
	s_mul_i32 s31, s35, s36
	s_add_nc_u64 s[38:39], s[0:1], s[38:39]
	s_mul_hi_u32 s21, s35, s36
	s_mul_hi_u32 s33, s35, s37
	s_add_co_u32 s0, s38, s31
	s_add_co_ci_u32 s0, s39, s21
	s_mul_i32 s36, s35, s37
	s_add_co_ci_u32 s37, s33, 0
	s_delay_alu instid0(SALU_CYCLE_1) | instskip(NEXT) | instid1(SALU_CYCLE_1)
	s_add_nc_u64 s[36:37], s[0:1], s[36:37]
	s_add_co_u32 s34, s34, s36
	s_cselect_b32 s0, -1, 0
	v_mul_hi_u32 v52, v44, s34
	s_cmp_lg_u32 s0, 0
	s_add_co_ci_u32 s0, s35, s37
	s_and_b64 s[36:37], s[34:35], s[2:3]
	v_mul_u64_e32 v[46:47], s[0:1], v[44:45]
	v_mul_u64_e32 v[42:43], s[36:37], v[48:49]
	v_mul_u64_e32 v[50:51], s[0:1], v[48:49]
	s_delay_alu instid0(VALU_DEP_3) | instskip(NEXT) | instid1(VALU_DEP_1)
	v_add_nc_u64_e32 v[46:47], v[52:53], v[46:47]
	v_add_co_u32 v7, vcc_lo, v46, v42
	s_delay_alu instid0(VALU_DEP_2) | instskip(NEXT) | instid1(VALU_DEP_4)
	v_add_co_ci_u32_e32 v52, vcc_lo, v47, v43, vcc_lo
	v_add_co_ci_u32_e32 v51, vcc_lo, 0, v51, vcc_lo
	s_delay_alu instid0(VALU_DEP_1) | instskip(NEXT) | instid1(VALU_DEP_1)
	v_add_nc_u64_e32 v[42:43], v[52:53], v[50:51]
	v_mul_u64_e32 v[46:47], s[22:23], v[42:43]
	s_delay_alu instid0(VALU_DEP_1) | instskip(NEXT) | instid1(VALU_DEP_2)
	v_sub_nc_u32_e32 v7, v48, v47
	v_sub_co_u32 v19, vcc_lo, v44, v46
	s_delay_alu instid0(VALU_DEP_1) | instskip(NEXT) | instid1(VALU_DEP_3)
	v_sub_co_ci_u32_e64 v29, null, v48, v47, vcc_lo
	v_subrev_co_ci_u32_e64 v7, null, s23, v7, vcc_lo
	s_delay_alu instid0(VALU_DEP_3) | instskip(SKIP_1) | instid1(VALU_DEP_3)
	v_sub_co_u32 v27, s0, v19, s22
	v_add_nc_u64_e32 v[46:47], 1, v[42:43]
	v_subrev_co_ci_u32_e64 v7, null, 0, v7, s0
	s_delay_alu instid0(VALU_DEP_3) | instskip(SKIP_1) | instid1(VALU_DEP_3)
	v_cmp_le_u32_e32 vcc_lo, s22, v27
	v_cndmask_b32_e64 v27, 0, -1, vcc_lo
	v_cmp_le_u32_e32 vcc_lo, s23, v7
	v_cndmask_b32_e64 v44, 0, -1, vcc_lo
	;; [unrolled: 2-line block ×4, first 2 shown]
	v_cmp_eq_u32_e32 vcc_lo, s23, v7
	v_cndmask_b32_e32 v7, v44, v27, vcc_lo
	v_cmp_eq_u32_e32 vcc_lo, s23, v29
	v_add_nc_u64_e32 v[44:45], 2, v[42:43]
	v_cndmask_b32_e32 v19, v48, v19, vcc_lo
	s_delay_alu instid0(VALU_DEP_4) | instskip(NEXT) | instid1(VALU_DEP_3)
	v_cmp_ne_u32_e32 vcc_lo, 0, v7
	v_cndmask_b32_e32 v7, v47, v45, vcc_lo
	s_delay_alu instid0(VALU_DEP_3) | instskip(SKIP_1) | instid1(VALU_DEP_2)
	v_cmp_ne_u32_e64 s0, 0, v19
	v_cndmask_b32_e32 v19, v46, v44, vcc_lo
	v_dual_cndmask_b32 v7, v43, v7, s0 :: v_dual_bitop2_b32 v28, s20, v28 bitop3:0x14
	s_delay_alu instid0(VALU_DEP_1) | instskip(NEXT) | instid1(VALU_DEP_2)
	v_dual_cndmask_b32 v19, v42, v19, s0 :: v_dual_mov_b32 v29, v28
	v_xor_b32_e32 v43, v7, v28
	s_delay_alu instid0(VALU_DEP_2) | instskip(NEXT) | instid1(VALU_DEP_1)
	v_xor_b32_e32 v42, v19, v28
	v_sub_nc_u64_e32 v[28:29], v[42:43], v[28:29]
.LBB29_15:                              ;   in Loop: Header=BB29_13 Depth=2
	s_and_not1_saveexec_b32 s0, s30
	s_cbranch_execz .LBB29_17
; %bb.16:                               ;   in Loop: Header=BB29_13 Depth=2
	v_cvt_f32_u32_e32 v7, s8
	v_mov_b32_e32 v29, v6
	s_delay_alu instid0(VALU_DEP_2) | instskip(SKIP_1) | instid1(TRANS32_DEP_1)
	v_rcp_iflag_f32_e32 v7, v7
	v_nop
	v_mul_f32_e32 v7, 0x4f7ffffe, v7
	s_delay_alu instid0(VALU_DEP_1) | instskip(NEXT) | instid1(VALU_DEP_1)
	v_cvt_u32_f32_e32 v7, v7
	v_mul_lo_u32 v19, s26, v7
	s_delay_alu instid0(VALU_DEP_1) | instskip(NEXT) | instid1(VALU_DEP_1)
	v_mul_hi_u32 v19, v7, v19
	v_add_nc_u32_e32 v7, v7, v19
	s_delay_alu instid0(VALU_DEP_1) | instskip(NEXT) | instid1(VALU_DEP_1)
	v_mul_hi_u32 v7, v26, v7
	v_mul_lo_u32 v19, v7, s8
	s_delay_alu instid0(VALU_DEP_1) | instskip(NEXT) | instid1(VALU_DEP_1)
	v_sub_nc_u32_e32 v19, v26, v19
	v_subrev_nc_u32_e32 v28, s8, v19
	v_cmp_le_u32_e32 vcc_lo, s8, v19
	s_delay_alu instid0(VALU_DEP_2) | instskip(NEXT) | instid1(VALU_DEP_1)
	v_dual_add_nc_u32 v27, 1, v7 :: v_dual_cndmask_b32 v19, v19, v28, vcc_lo
	v_cndmask_b32_e32 v7, v7, v27, vcc_lo
	s_delay_alu instid0(VALU_DEP_2) | instskip(NEXT) | instid1(VALU_DEP_2)
	v_cmp_le_u32_e32 vcc_lo, s8, v19
	v_add_nc_u32_e32 v27, 1, v7
	s_delay_alu instid0(VALU_DEP_1)
	v_cndmask_b32_e32 v28, v7, v27, vcc_lo
.LBB29_17:                              ;   in Loop: Header=BB29_13 Depth=2
	s_or_b32 exec_lo, exec_lo, s0
	s_delay_alu instid0(VALU_DEP_1) | instskip(SKIP_2) | instid1(SALU_CYCLE_1)
	v_cmp_ne_u64_e64 s0, v[28:29], v[14:15]
	v_cmp_eq_u64_e32 vcc_lo, v[28:29], v[14:15]
	s_and_saveexec_b32 s21, s0
	s_xor_b32 s0, exec_lo, s21
; %bb.18:                               ;   in Loop: Header=BB29_13 Depth=2
	v_min_i64 v[12:13], v[28:29], v[12:13]
                                        ; implicit-def: $vgpr26_vgpr27
                                        ; implicit-def: $vgpr24_vgpr25
; %bb.19:                               ;   in Loop: Header=BB29_13 Depth=2
	s_or_saveexec_b32 s0, s0
	v_mov_b64_e32 v[28:29], v[16:17]
	s_xor_b32 exec_lo, exec_lo, s0
	s_cbranch_execz .LBB29_12
; %bb.20:                               ;   in Loop: Header=BB29_13 Depth=2
	global_load_b32 v7, v[20:21], off
	v_sub_nc_u32_e32 v19, v26, v18
	v_mov_b64_e32 v[28:29], v[24:25]
	s_delay_alu instid0(VALU_DEP_2)
	v_lshl_add_u32 v19, v19, 2, v31
	ds_store_b8 v30, v41 offset:1024
	s_wait_loadcnt 0x0
	ds_store_b32 v19, v7
	s_branch .LBB29_12
.LBB29_21:                              ;   in Loop: Header=BB29_10 Depth=1
	s_or_b32 exec_lo, exec_lo, s29
.LBB29_22:                              ;   in Loop: Header=BB29_10 Depth=1
	s_delay_alu instid0(SALU_CYCLE_1)
	s_or_b32 exec_lo, exec_lo, s28
	ds_bpermute_b32 v16, v34, v28
	ds_bpermute_b32 v17, v34, v29
	s_wait_dscnt 0x0
	ds_load_u8 v7, v30 offset:1024
	s_mov_b32 s0, exec_lo
	v_min_i64 v[16:17], v[16:17], v[28:29]
	s_wait_dscnt 0x0
	v_and_b32_e32 v7, 1, v7
	ds_bpermute_b32 v18, v35, v16
	ds_bpermute_b32 v19, v35, v17
	s_wait_dscnt 0x0
	v_min_i64 v[16:17], v[18:19], v[16:17]
	ds_bpermute_b32 v18, v36, v16
	ds_bpermute_b32 v19, v36, v17
	s_wait_dscnt 0x0
	v_min_i64 v[16:17], v[18:19], v[16:17]
	v_mov_b64_e32 v[18:19], 0
	ds_bpermute_b32 v16, v32, v16
	ds_bpermute_b32 v17, v32, v17
	v_cmpx_eq_u32_e32 1, v7
	s_cbranch_execz .LBB29_9
; %bb.23:                               ;   in Loop: Header=BB29_10 Depth=1
	v_add_nc_u64_e32 v[14:15], s[12:13], v[14:15]
	v_lshl_add_u64 v[18:19], v[4:5], 3, s[4:5]
	global_store_b64 v[18:19], v[14:15], off
	s_wait_xcnt 0x0
	s_and_saveexec_b32 s21, s24
	s_cbranch_execz .LBB29_8
; %bb.24:                               ;   in Loop: Header=BB29_10 Depth=1
	v_mul_u64_e32 v[14:15], s[14:15], v[4:5]
	ds_load_b32 v7, v33
	s_and_b32 vcc_lo, exec_lo, s25
	s_cbranch_vccz .LBB29_26
; %bb.25:                               ;   in Loop: Header=BB29_10 Depth=1
	v_lshl_add_u64 v[18:19], v[14:15], 2, v[0:1]
	s_wait_dscnt 0x0
	global_store_b32 v[18:19], v7, off
	s_cbranch_execnz .LBB29_8
	s_branch .LBB29_27
.LBB29_26:                              ;   in Loop: Header=BB29_10 Depth=1
.LBB29_27:                              ;   in Loop: Header=BB29_10 Depth=1
	v_lshl_add_u64 v[14:15], v[14:15], 2, v[10:11]
	s_wait_dscnt 0x0
	global_store_b32 v[14:15], v7, off
	s_branch .LBB29_8
.LBB29_28:
	s_endpgm
	.section	.rodata,"a",@progbits
	.p2align	6, 0x0
	.amdhsa_kernel _ZN9rocsparseL42csr2bsr_wavefront_per_row_multipass_kernelILj256ELj64ELj8EillEEv20rocsparse_direction_T4_S2_S2_S2_S2_21rocsparse_index_base_PKT2_PKT3_PKS2_S3_PS4_PS7_PS2_
		.amdhsa_group_segment_fixed_size 1028
		.amdhsa_private_segment_fixed_size 0
		.amdhsa_kernarg_size 112
		.amdhsa_user_sgpr_count 2
		.amdhsa_user_sgpr_dispatch_ptr 0
		.amdhsa_user_sgpr_queue_ptr 0
		.amdhsa_user_sgpr_kernarg_segment_ptr 1
		.amdhsa_user_sgpr_dispatch_id 0
		.amdhsa_user_sgpr_kernarg_preload_length 0
		.amdhsa_user_sgpr_kernarg_preload_offset 0
		.amdhsa_user_sgpr_private_segment_size 0
		.amdhsa_wavefront_size32 1
		.amdhsa_uses_dynamic_stack 0
		.amdhsa_enable_private_segment 0
		.amdhsa_system_sgpr_workgroup_id_x 1
		.amdhsa_system_sgpr_workgroup_id_y 0
		.amdhsa_system_sgpr_workgroup_id_z 0
		.amdhsa_system_sgpr_workgroup_info 0
		.amdhsa_system_vgpr_workitem_id 0
		.amdhsa_next_free_vgpr 54
		.amdhsa_next_free_sgpr 42
		.amdhsa_named_barrier_count 0
		.amdhsa_reserve_vcc 1
		.amdhsa_float_round_mode_32 0
		.amdhsa_float_round_mode_16_64 0
		.amdhsa_float_denorm_mode_32 3
		.amdhsa_float_denorm_mode_16_64 3
		.amdhsa_fp16_overflow 0
		.amdhsa_memory_ordered 1
		.amdhsa_forward_progress 1
		.amdhsa_inst_pref_size 18
		.amdhsa_round_robin_scheduling 0
		.amdhsa_exception_fp_ieee_invalid_op 0
		.amdhsa_exception_fp_denorm_src 0
		.amdhsa_exception_fp_ieee_div_zero 0
		.amdhsa_exception_fp_ieee_overflow 0
		.amdhsa_exception_fp_ieee_underflow 0
		.amdhsa_exception_fp_ieee_inexact 0
		.amdhsa_exception_int_div_zero 0
	.end_amdhsa_kernel
	.section	.text._ZN9rocsparseL42csr2bsr_wavefront_per_row_multipass_kernelILj256ELj64ELj8EillEEv20rocsparse_direction_T4_S2_S2_S2_S2_21rocsparse_index_base_PKT2_PKT3_PKS2_S3_PS4_PS7_PS2_,"axG",@progbits,_ZN9rocsparseL42csr2bsr_wavefront_per_row_multipass_kernelILj256ELj64ELj8EillEEv20rocsparse_direction_T4_S2_S2_S2_S2_21rocsparse_index_base_PKT2_PKT3_PKS2_S3_PS4_PS7_PS2_,comdat
.Lfunc_end29:
	.size	_ZN9rocsparseL42csr2bsr_wavefront_per_row_multipass_kernelILj256ELj64ELj8EillEEv20rocsparse_direction_T4_S2_S2_S2_S2_21rocsparse_index_base_PKT2_PKT3_PKS2_S3_PS4_PS7_PS2_, .Lfunc_end29-_ZN9rocsparseL42csr2bsr_wavefront_per_row_multipass_kernelILj256ELj64ELj8EillEEv20rocsparse_direction_T4_S2_S2_S2_S2_21rocsparse_index_base_PKT2_PKT3_PKS2_S3_PS4_PS7_PS2_
                                        ; -- End function
	.set _ZN9rocsparseL42csr2bsr_wavefront_per_row_multipass_kernelILj256ELj64ELj8EillEEv20rocsparse_direction_T4_S2_S2_S2_S2_21rocsparse_index_base_PKT2_PKT3_PKS2_S3_PS4_PS7_PS2_.num_vgpr, 54
	.set _ZN9rocsparseL42csr2bsr_wavefront_per_row_multipass_kernelILj256ELj64ELj8EillEEv20rocsparse_direction_T4_S2_S2_S2_S2_21rocsparse_index_base_PKT2_PKT3_PKS2_S3_PS4_PS7_PS2_.num_agpr, 0
	.set _ZN9rocsparseL42csr2bsr_wavefront_per_row_multipass_kernelILj256ELj64ELj8EillEEv20rocsparse_direction_T4_S2_S2_S2_S2_21rocsparse_index_base_PKT2_PKT3_PKS2_S3_PS4_PS7_PS2_.numbered_sgpr, 42
	.set _ZN9rocsparseL42csr2bsr_wavefront_per_row_multipass_kernelILj256ELj64ELj8EillEEv20rocsparse_direction_T4_S2_S2_S2_S2_21rocsparse_index_base_PKT2_PKT3_PKS2_S3_PS4_PS7_PS2_.num_named_barrier, 0
	.set _ZN9rocsparseL42csr2bsr_wavefront_per_row_multipass_kernelILj256ELj64ELj8EillEEv20rocsparse_direction_T4_S2_S2_S2_S2_21rocsparse_index_base_PKT2_PKT3_PKS2_S3_PS4_PS7_PS2_.private_seg_size, 0
	.set _ZN9rocsparseL42csr2bsr_wavefront_per_row_multipass_kernelILj256ELj64ELj8EillEEv20rocsparse_direction_T4_S2_S2_S2_S2_21rocsparse_index_base_PKT2_PKT3_PKS2_S3_PS4_PS7_PS2_.uses_vcc, 1
	.set _ZN9rocsparseL42csr2bsr_wavefront_per_row_multipass_kernelILj256ELj64ELj8EillEEv20rocsparse_direction_T4_S2_S2_S2_S2_21rocsparse_index_base_PKT2_PKT3_PKS2_S3_PS4_PS7_PS2_.uses_flat_scratch, 0
	.set _ZN9rocsparseL42csr2bsr_wavefront_per_row_multipass_kernelILj256ELj64ELj8EillEEv20rocsparse_direction_T4_S2_S2_S2_S2_21rocsparse_index_base_PKT2_PKT3_PKS2_S3_PS4_PS7_PS2_.has_dyn_sized_stack, 0
	.set _ZN9rocsparseL42csr2bsr_wavefront_per_row_multipass_kernelILj256ELj64ELj8EillEEv20rocsparse_direction_T4_S2_S2_S2_S2_21rocsparse_index_base_PKT2_PKT3_PKS2_S3_PS4_PS7_PS2_.has_recursion, 0
	.set _ZN9rocsparseL42csr2bsr_wavefront_per_row_multipass_kernelILj256ELj64ELj8EillEEv20rocsparse_direction_T4_S2_S2_S2_S2_21rocsparse_index_base_PKT2_PKT3_PKS2_S3_PS4_PS7_PS2_.has_indirect_call, 0
	.section	.AMDGPU.csdata,"",@progbits
; Kernel info:
; codeLenInByte = 2256
; TotalNumSgprs: 44
; NumVgprs: 54
; ScratchSize: 0
; MemoryBound: 0
; FloatMode: 240
; IeeeMode: 1
; LDSByteSize: 1028 bytes/workgroup (compile time only)
; SGPRBlocks: 0
; VGPRBlocks: 3
; NumSGPRsForWavesPerEU: 44
; NumVGPRsForWavesPerEU: 54
; NamedBarCnt: 0
; Occupancy: 16
; WaveLimiterHint : 0
; COMPUTE_PGM_RSRC2:SCRATCH_EN: 0
; COMPUTE_PGM_RSRC2:USER_SGPR: 2
; COMPUTE_PGM_RSRC2:TRAP_HANDLER: 0
; COMPUTE_PGM_RSRC2:TGID_X_EN: 1
; COMPUTE_PGM_RSRC2:TGID_Y_EN: 0
; COMPUTE_PGM_RSRC2:TGID_Z_EN: 0
; COMPUTE_PGM_RSRC2:TIDIG_COMP_CNT: 0
	.section	.text._ZN9rocsparseL42csr2bsr_wavefront_per_row_multipass_kernelILj256ELj32ELj8EillEEv20rocsparse_direction_T4_S2_S2_S2_S2_21rocsparse_index_base_PKT2_PKT3_PKS2_S3_PS4_PS7_PS2_,"axG",@progbits,_ZN9rocsparseL42csr2bsr_wavefront_per_row_multipass_kernelILj256ELj32ELj8EillEEv20rocsparse_direction_T4_S2_S2_S2_S2_21rocsparse_index_base_PKT2_PKT3_PKS2_S3_PS4_PS7_PS2_,comdat
	.globl	_ZN9rocsparseL42csr2bsr_wavefront_per_row_multipass_kernelILj256ELj32ELj8EillEEv20rocsparse_direction_T4_S2_S2_S2_S2_21rocsparse_index_base_PKT2_PKT3_PKS2_S3_PS4_PS7_PS2_ ; -- Begin function _ZN9rocsparseL42csr2bsr_wavefront_per_row_multipass_kernelILj256ELj32ELj8EillEEv20rocsparse_direction_T4_S2_S2_S2_S2_21rocsparse_index_base_PKT2_PKT3_PKS2_S3_PS4_PS7_PS2_
	.p2align	8
	.type	_ZN9rocsparseL42csr2bsr_wavefront_per_row_multipass_kernelILj256ELj32ELj8EillEEv20rocsparse_direction_T4_S2_S2_S2_S2_21rocsparse_index_base_PKT2_PKT3_PKS2_S3_PS4_PS7_PS2_,@function
_ZN9rocsparseL42csr2bsr_wavefront_per_row_multipass_kernelILj256ELj32ELj8EillEEv20rocsparse_direction_T4_S2_S2_S2_S2_21rocsparse_index_base_PKT2_PKT3_PKS2_S3_PS4_PS7_PS2_: ; @_ZN9rocsparseL42csr2bsr_wavefront_per_row_multipass_kernelILj256ELj32ELj8EillEEv20rocsparse_direction_T4_S2_S2_S2_S2_21rocsparse_index_base_PKT2_PKT3_PKS2_S3_PS4_PS7_PS2_
; %bb.0:
	s_bfe_u32 s2, ttmp6, 0x4000c
	s_clause 0x1
	s_load_b96 s[8:10], s[0:1], 0x28
	s_load_b64 s[12:13], s[0:1], 0x40
	s_add_co_i32 s2, s2, 1
	s_and_b32 s3, ttmp6, 15
	s_mul_i32 s2, ttmp9, s2
	s_getreg_b32 s4, hwreg(HW_REG_IB_STS2, 6, 4)
	s_add_co_i32 s3, s3, s2
	s_cmp_eq_u32 s4, 0
	v_dual_mov_b32 v9, 0 :: v_dual_lshrrev_b32 v34, 5, v0
	s_cselect_b32 s14, ttmp9, s3
	v_bfe_u32 v8, v0, 2, 3
	s_ashr_i32 s15, s14, 31
	v_mov_b64_e32 v[20:21], 0
	s_lshl_b64 s[2:3], s[14:15], 3
	s_mov_b32 s11, 0
	v_or_b32_e32 v1, s2, v34
	s_load_b128 s[4:7], s[0:1], 0x18
	s_wait_kmcnt 0x0
	s_delay_alu instid0(VALU_DEP_1) | instskip(NEXT) | instid1(VALU_DEP_1)
	v_mad_nc_u64_u32 v[4:5], v1, s8, v[8:9]
	v_mad_u32 v2, s3, s8, v5
	s_load_b64 s[2:3], s[0:1], 0x8
	s_delay_alu instid0(VALU_DEP_1) | instskip(SKIP_2) | instid1(VALU_DEP_2)
	v_mad_u32 v5, v1, s9, v2
	v_mov_b64_e32 v[2:3], 0
	s_wait_kmcnt 0x0
	v_cmp_gt_i64_e32 vcc_lo, s[2:3], v[4:5]
	v_cmp_gt_i64_e64 s2, s[8:9], v[8:9]
	s_and_b32 s3, s2, vcc_lo
	s_delay_alu instid0(SALU_CYCLE_1)
	s_and_saveexec_b32 s15, s3
	s_cbranch_execz .LBB30_2
; %bb.1:
	v_lshl_add_u64 v[6:7], v[4:5], 3, s[12:13]
	global_load_b64 v[6:7], v[6:7], off
	s_wait_loadcnt 0x0
	v_sub_nc_u64_e64 v[20:21], v[6:7], s[10:11]
.LBB30_2:
	s_or_b32 exec_lo, exec_lo, s15
	s_and_saveexec_b32 s15, s3
	s_cbranch_execz .LBB30_4
; %bb.3:
	v_lshl_add_u64 v[2:3], v[4:5], 3, s[12:13]
	global_load_b64 v[2:3], v[2:3], off offset:8
	s_wait_loadcnt 0x0
	v_sub_nc_u64_e64 v[2:3], v[2:3], s[10:11]
.LBB30_4:
	s_or_b32 exec_lo, exec_lo, s15
	s_load_b32 s12, s[0:1], 0x50
	v_mov_b64_e32 v[4:5], 0
	v_lshl_or_b32 v6, s14, 3, v34
	v_mov_b32_e32 v7, 0
	s_mov_b32 s3, exec_lo
	s_delay_alu instid0(VALU_DEP_1)
	v_cmpx_gt_i64_e64 s[4:5], v[6:7]
	s_cbranch_execz .LBB30_6
; %bb.5:
	s_load_b64 s[4:5], s[0:1], 0x60
	s_mov_b32 s13, 0
	s_wait_kmcnt 0x0
	v_lshl_add_u64 v[4:5], v[6:7], 3, s[4:5]
	global_load_b64 v[4:5], v[4:5], off
	s_wait_loadcnt 0x0
	v_sub_nc_u64_e64 v[4:5], v[4:5], s[12:13]
.LBB30_6:
	s_or_b32 exec_lo, exec_lo, s3
	v_cmp_lt_i64_e64 s3, s[6:7], 1
	s_and_b32 vcc_lo, exec_lo, s3
	s_cbranch_vccnz .LBB30_33
; %bb.7:
	s_clause 0x1
	s_load_b64 s[20:21], s[0:1], 0x58
	s_load_b64 s[4:5], s[0:1], 0x68
	v_mbcnt_lo_u32_b32 v7, -1, 0
	v_dual_lshlrev_b32 v10, 2, v8 :: v_dual_mov_b32 v6, 0
	v_lshlrev_b32_e32 v1, 5, v8
	v_and_b32_e32 v0, 3, v0
	s_delay_alu instid0(VALU_DEP_4) | instskip(SKIP_3) | instid1(VALU_DEP_4)
	v_xor_b32_e32 v12, 2, v7
	v_mul_u64_e32 v[14:15], s[8:9], v[8:9]
	v_dual_mov_b32 v11, v6 :: v_dual_mov_b32 v17, v6
	v_lshl_or_b32 v35, v34, 8, v1
	v_cmp_gt_i32_e32 vcc_lo, 32, v12
	v_dual_mov_b32 v1, v6 :: v_dual_bitop2_b32 v13, 1, v7 bitop3:0x14
	s_clause 0x2
	s_load_b64 s[16:17], s[0:1], 0x48
	s_load_b64 s[18:19], s[0:1], 0x38
	s_load_b32 s22, s[0:1], 0x0
	v_lshl_or_b32 v39, v7, 2, 12
	v_lshl_or_b32 v36, v0, 2, v35
	v_mov_b32_e32 v44, 1
	s_mov_b32 s3, 0
	s_wait_kmcnt 0x0
	v_add_nc_u64_e32 v[8:9], s[20:21], v[10:11]
	v_cndmask_b32_e32 v10, v7, v12, vcc_lo
	v_cmp_gt_i32_e32 vcc_lo, 32, v13
	v_or_b32_e32 v16, 4, v0
	s_mul_u64 s[14:15], s[8:9], s[8:9]
	s_mov_b32 s11, s3
	v_dual_cndmask_b32 v18, v7, v13 :: v_dual_lshlrev_b32 v37, 2, v10
	v_mul_u64_e32 v[10:11], s[8:9], v[0:1]
	v_mul_u64_e32 v[12:13], s[8:9], v[16:17]
	v_xor_b32_e32 v19, 8, v7
	v_cmp_gt_u64_e64 s0, s[8:9], v[16:17]
	v_dual_lshlrev_b32 v38, 2, v18 :: v_dual_bitop2_b32 v18, 16, v7 bitop3:0x14
	s_mov_b32 s13, s3
	s_cmp_lg_u32 s22, 0
	s_mov_b32 s29, 0
	s_cselect_b32 s1, -1, 0
	v_cmp_gt_i32_e32 vcc_lo, 32, v18
	v_xor_b32_e32 v22, 4, v7
	v_lshl_add_u64 v[14:15], v[14:15], 2, s[20:21]
	s_mov_b64 s[20:21], 0xffffffff
	s_and_b32 s27, s2, s0
	v_cndmask_b32_e32 v18, v7, v18, vcc_lo
	v_cmp_gt_i32_e32 vcc_lo, 32, v19
	s_ashr_i32 s22, s9, 31
	s_sub_co_i32 s28, 0, s8
	v_mov_b32_e32 v43, 0x7c
	v_cndmask_b32_e32 v19, v7, v19, vcc_lo
	v_cmp_gt_i32_e32 vcc_lo, 32, v22
	v_cndmask_b32_e32 v7, v7, v22, vcc_lo
	v_cmp_gt_u64_e32 vcc_lo, s[8:9], v[0:1]
	s_delay_alu instid0(VALU_DEP_4) | instskip(SKIP_1) | instid1(VALU_DEP_4)
	v_dual_lshlrev_b32 v40, 2, v18 :: v_dual_lshlrev_b32 v41, 2, v19
	v_mov_b64_e32 v[18:19], 0
	v_lshlrev_b32_e32 v42, 2, v7
	s_and_b32 s26, s2, vcc_lo
	s_branch .LBB30_10
.LBB30_8:                               ;   in Loop: Header=BB30_10 Depth=1
	s_wait_xcnt 0x0
	s_or_b32 exec_lo, exec_lo, s2
	v_mov_b64_e32 v[22:23], 1
.LBB30_9:                               ;   in Loop: Header=BB30_10 Depth=1
	s_or_b32 exec_lo, exec_lo, s0
	ds_bpermute_b32 v18, v40, v16
	ds_bpermute_b32 v19, v40, v17
	v_add_nc_u64_e32 v[4:5], v[22:23], v[4:5]
	s_wait_storecnt_dscnt 0x0
	v_min_i64 v[16:17], v[18:19], v[16:17]
	ds_bpermute_b32 v18, v41, v16
	ds_bpermute_b32 v19, v41, v17
	s_wait_dscnt 0x0
	v_min_i64 v[16:17], v[18:19], v[16:17]
	ds_bpermute_b32 v18, v42, v16
	ds_bpermute_b32 v19, v42, v17
	s_wait_dscnt 0x0
	;; [unrolled: 4-line block ×5, first 2 shown]
	v_cmp_le_i64_e32 vcc_lo, s[6:7], v[18:19]
	s_or_b32 s29, vcc_lo, s29
	s_delay_alu instid0(SALU_CYCLE_1)
	s_and_not1_b32 exec_lo, exec_lo, s29
	s_cbranch_execz .LBB30_33
.LBB30_10:                              ; =>This Loop Header: Depth=1
                                        ;     Child Loop BB30_13 Depth 2
	v_add_nc_u64_e32 v[20:21], v[20:21], v[0:1]
	v_mov_b64_e32 v[16:17], s[6:7]
	v_mov_b64_e32 v[32:33], v[2:3]
	s_mov_b32 s30, exec_lo
	ds_store_b8 v34, v6 offset:2048
	ds_store_2addr_b32 v36, v6, v6 offset1:4
	s_wait_dscnt 0x0
	v_cmpx_lt_i64_e64 v[20:21], v[2:3]
	s_cbranch_execz .LBB30_22
; %bb.11:                               ;   in Loop: Header=BB30_10 Depth=1
	v_mul_u64_e32 v[22:23], s[8:9], v[18:19]
	v_mov_b64_e32 v[16:17], s[6:7]
	v_mov_b64_e32 v[28:29], v[2:3]
	v_lshl_add_u64 v[24:25], v[20:21], 2, s[18:19]
	v_lshl_add_u64 v[26:27], v[20:21], 3, s[16:17]
	s_mov_b32 s31, 0
	s_branch .LBB30_13
.LBB30_12:                              ;   in Loop: Header=BB30_13 Depth=2
	s_wait_xcnt 0x0
	s_or_b32 exec_lo, exec_lo, s0
	v_add_nc_u64_e32 v[20:21], 4, v[20:21]
	s_xor_b32 s2, vcc_lo, -1
	v_add_nc_u64_e32 v[24:25], 16, v[24:25]
	v_add_nc_u64_e32 v[26:27], 32, v[26:27]
	v_mov_b64_e32 v[28:29], v[32:33]
	s_delay_alu instid0(VALU_DEP_4) | instskip(SKIP_1) | instid1(SALU_CYCLE_1)
	v_cmp_ge_i64_e64 s0, v[20:21], v[2:3]
	s_or_b32 s0, s2, s0
	s_and_b32 s0, exec_lo, s0
	s_delay_alu instid0(SALU_CYCLE_1) | instskip(NEXT) | instid1(SALU_CYCLE_1)
	s_or_b32 s31, s0, s31
	s_and_not1_b32 exec_lo, exec_lo, s31
	s_cbranch_execz .LBB30_21
.LBB30_13:                              ;   Parent Loop BB30_10 Depth=1
                                        ; =>  This Inner Loop Header: Depth=2
	global_load_b64 v[30:31], v[26:27], off
                                        ; implicit-def: $vgpr32_vgpr33
	s_mov_b32 s0, exec_lo
	s_wait_loadcnt 0x0
	v_sub_nc_u64_e64 v[30:31], v[30:31], s[10:11]
	s_delay_alu instid0(VALU_DEP_1) | instskip(SKIP_1) | instid1(VALU_DEP_1)
	v_or_b32_e32 v7, s9, v31
	s_wait_xcnt 0x0
	v_cmpx_ne_u64_e32 0, v[6:7]
	s_xor_b32 s33, exec_lo, s0
	s_cbranch_execz .LBB30_15
; %bb.14:                               ;   in Loop: Header=BB30_13 Depth=2
	s_mov_b32 s23, s22
	v_dual_mov_b32 v49, v6 :: v_dual_ashrrev_i32 v32, 31, v31
	s_add_nc_u64 s[24:25], s[8:9], s[22:23]
	s_delay_alu instid0(SALU_CYCLE_1) | instskip(NEXT) | instid1(VALU_DEP_1)
	s_xor_b64 s[24:25], s[24:25], s[22:23]
	v_mov_b32_e32 v33, v32
	s_cvt_f32_u32 s0, s24
	s_cvt_f32_u32 s2, s25
	s_sub_nc_u64 s[36:37], 0, s[24:25]
	s_delay_alu instid0(VALU_DEP_1) | instskip(NEXT) | instid1(SALU_CYCLE_1)
	v_add_nc_u64_e32 v[46:47], v[30:31], v[32:33]
	s_fmamk_f32 s0, s2, 0x4f800000, s0
	v_mov_b32_e32 v53, v6
	s_delay_alu instid0(SALU_CYCLE_2) | instskip(NEXT) | instid1(VALU_DEP_2)
	v_s_rcp_f32 s0, s0
	v_xor_b32_e32 v48, v46, v32
	s_delay_alu instid0(VALU_DEP_3) | instskip(NEXT) | instid1(TRANS32_DEP_1)
	v_dual_mov_b32 v57, v6 :: v_dual_bitop2_b32 v52, v47, v32 bitop3:0x14
	s_mul_f32 s0, s0, 0x5f7ffffc
	s_delay_alu instid0(SALU_CYCLE_3) | instskip(NEXT) | instid1(SALU_CYCLE_3)
	s_mul_f32 s2, s0, 0x2f800000
	s_trunc_f32 s2, s2
	s_delay_alu instid0(SALU_CYCLE_3) | instskip(SKIP_1) | instid1(SALU_CYCLE_2)
	s_fmamk_f32 s0, s2, 0xcf800000, s0
	s_cvt_u32_f32 s35, s2
	s_cvt_u32_f32 s34, s0
	s_delay_alu instid0(SALU_CYCLE_3) | instskip(NEXT) | instid1(SALU_CYCLE_1)
	s_mul_u64 s[38:39], s[36:37], s[34:35]
	s_mul_hi_u32 s41, s34, s39
	s_mul_i32 s40, s34, s39
	s_mul_hi_u32 s2, s34, s38
	s_mul_i32 s23, s35, s38
	s_add_nc_u64 s[40:41], s[2:3], s[40:41]
	s_mul_hi_u32 s0, s35, s38
	s_mul_hi_u32 s42, s35, s39
	s_add_co_u32 s2, s40, s23
	s_add_co_ci_u32 s2, s41, s0
	s_mul_i32 s38, s35, s39
	s_add_co_ci_u32 s39, s42, 0
	s_delay_alu instid0(SALU_CYCLE_1) | instskip(NEXT) | instid1(SALU_CYCLE_1)
	s_add_nc_u64 s[38:39], s[2:3], s[38:39]
	s_add_co_u32 s34, s34, s38
	s_cselect_b32 s0, -1, 0
	s_delay_alu instid0(SALU_CYCLE_1) | instskip(SKIP_1) | instid1(SALU_CYCLE_1)
	s_cmp_lg_u32 s0, 0
	s_add_co_ci_u32 s35, s35, s39
	s_mul_u64 s[36:37], s[36:37], s[34:35]
	s_delay_alu instid0(SALU_CYCLE_1)
	s_mul_hi_u32 s39, s34, s37
	s_mul_i32 s38, s34, s37
	s_mul_hi_u32 s2, s34, s36
	s_mul_i32 s23, s35, s36
	s_add_nc_u64 s[38:39], s[2:3], s[38:39]
	s_mul_hi_u32 s0, s35, s36
	s_mul_hi_u32 s40, s35, s37
	s_add_co_u32 s2, s38, s23
	s_add_co_ci_u32 s2, s39, s0
	s_mul_i32 s36, s35, s37
	s_add_co_ci_u32 s37, s40, 0
	s_delay_alu instid0(SALU_CYCLE_1) | instskip(NEXT) | instid1(SALU_CYCLE_1)
	s_add_nc_u64 s[36:37], s[2:3], s[36:37]
	s_add_co_u32 s0, s34, s36
	s_cselect_b32 s2, -1, 0
	v_mul_hi_u32 v56, v48, s0
	s_cmp_lg_u32 s2, 0
	s_add_co_ci_u32 s2, s35, s37
	s_and_b64 s[34:35], s[0:1], s[20:21]
	v_mul_u64_e32 v[50:51], s[2:3], v[48:49]
	v_mul_u64_e32 v[46:47], s[34:35], v[52:53]
	;; [unrolled: 1-line block ×3, first 2 shown]
	s_delay_alu instid0(VALU_DEP_3) | instskip(NEXT) | instid1(VALU_DEP_1)
	v_add_nc_u64_e32 v[50:51], v[56:57], v[50:51]
	v_add_co_u32 v7, vcc_lo, v50, v46
	s_delay_alu instid0(VALU_DEP_2) | instskip(NEXT) | instid1(VALU_DEP_4)
	v_add_co_ci_u32_e32 v56, vcc_lo, v51, v47, vcc_lo
	v_add_co_ci_u32_e32 v55, vcc_lo, 0, v55, vcc_lo
	s_delay_alu instid0(VALU_DEP_1) | instskip(NEXT) | instid1(VALU_DEP_1)
	v_add_nc_u64_e32 v[46:47], v[56:57], v[54:55]
	v_mul_u64_e32 v[50:51], s[24:25], v[46:47]
	s_delay_alu instid0(VALU_DEP_1) | instskip(NEXT) | instid1(VALU_DEP_2)
	v_sub_nc_u32_e32 v7, v52, v51
	v_sub_co_u32 v23, vcc_lo, v48, v50
	s_delay_alu instid0(VALU_DEP_1) | instskip(NEXT) | instid1(VALU_DEP_3)
	v_sub_co_ci_u32_e64 v33, null, v52, v51, vcc_lo
	v_subrev_co_ci_u32_e64 v7, null, s25, v7, vcc_lo
	s_delay_alu instid0(VALU_DEP_3) | instskip(SKIP_1) | instid1(VALU_DEP_3)
	v_sub_co_u32 v31, s0, v23, s24
	v_add_nc_u64_e32 v[48:49], 2, v[46:47]
	v_subrev_co_ci_u32_e64 v7, null, 0, v7, s0
	s_delay_alu instid0(VALU_DEP_3) | instskip(SKIP_2) | instid1(VALU_DEP_4)
	v_cmp_le_u32_e32 vcc_lo, s24, v31
	v_add_nc_u64_e32 v[50:51], 1, v[46:47]
	v_cndmask_b32_e64 v31, 0, -1, vcc_lo
	v_cmp_le_u32_e32 vcc_lo, s25, v7
	v_cndmask_b32_e64 v45, 0, -1, vcc_lo
	v_cmp_le_u32_e32 vcc_lo, s24, v23
	;; [unrolled: 2-line block ×3, first 2 shown]
	v_cndmask_b32_e64 v52, 0, -1, vcc_lo
	v_cmp_eq_u32_e32 vcc_lo, s25, v7
	v_cndmask_b32_e32 v7, v45, v31, vcc_lo
	v_cmp_eq_u32_e32 vcc_lo, s25, v33
	s_delay_alu instid0(VALU_DEP_4) | instskip(NEXT) | instid1(VALU_DEP_3)
	v_cndmask_b32_e32 v23, v52, v23, vcc_lo
	v_cmp_ne_u32_e32 vcc_lo, 0, v7
	v_cndmask_b32_e32 v7, v51, v49, vcc_lo
	s_delay_alu instid0(VALU_DEP_3) | instskip(SKIP_1) | instid1(VALU_DEP_2)
	v_cmp_ne_u32_e64 s0, 0, v23
	v_cndmask_b32_e32 v23, v50, v48, vcc_lo
	v_dual_cndmask_b32 v7, v47, v7, s0 :: v_dual_bitop2_b32 v32, s22, v32 bitop3:0x14
	s_delay_alu instid0(VALU_DEP_1) | instskip(NEXT) | instid1(VALU_DEP_2)
	v_dual_cndmask_b32 v23, v46, v23, s0 :: v_dual_mov_b32 v33, v32
	v_xor_b32_e32 v47, v7, v32
	s_delay_alu instid0(VALU_DEP_2) | instskip(NEXT) | instid1(VALU_DEP_1)
	v_xor_b32_e32 v46, v23, v32
	v_sub_nc_u64_e32 v[32:33], v[46:47], v[32:33]
.LBB30_15:                              ;   in Loop: Header=BB30_13 Depth=2
	s_and_not1_saveexec_b32 s0, s33
	s_cbranch_execz .LBB30_17
; %bb.16:                               ;   in Loop: Header=BB30_13 Depth=2
	v_cvt_f32_u32_e32 v7, s8
	v_mov_b32_e32 v33, v6
	s_delay_alu instid0(VALU_DEP_2) | instskip(SKIP_1) | instid1(TRANS32_DEP_1)
	v_rcp_iflag_f32_e32 v7, v7
	v_nop
	v_mul_f32_e32 v7, 0x4f7ffffe, v7
	s_delay_alu instid0(VALU_DEP_1) | instskip(NEXT) | instid1(VALU_DEP_1)
	v_cvt_u32_f32_e32 v7, v7
	v_mul_lo_u32 v23, s28, v7
	s_delay_alu instid0(VALU_DEP_1) | instskip(NEXT) | instid1(VALU_DEP_1)
	v_mul_hi_u32 v23, v7, v23
	v_add_nc_u32_e32 v7, v7, v23
	s_delay_alu instid0(VALU_DEP_1) | instskip(NEXT) | instid1(VALU_DEP_1)
	v_mul_hi_u32 v7, v30, v7
	v_mul_lo_u32 v23, v7, s8
	s_delay_alu instid0(VALU_DEP_1) | instskip(NEXT) | instid1(VALU_DEP_1)
	v_sub_nc_u32_e32 v23, v30, v23
	v_subrev_nc_u32_e32 v32, s8, v23
	v_cmp_le_u32_e32 vcc_lo, s8, v23
	s_delay_alu instid0(VALU_DEP_2) | instskip(NEXT) | instid1(VALU_DEP_1)
	v_dual_add_nc_u32 v31, 1, v7 :: v_dual_cndmask_b32 v23, v23, v32, vcc_lo
	v_cndmask_b32_e32 v7, v7, v31, vcc_lo
	s_delay_alu instid0(VALU_DEP_2) | instskip(NEXT) | instid1(VALU_DEP_2)
	v_cmp_le_u32_e32 vcc_lo, s8, v23
	v_add_nc_u32_e32 v31, 1, v7
	s_delay_alu instid0(VALU_DEP_1)
	v_cndmask_b32_e32 v32, v7, v31, vcc_lo
.LBB30_17:                              ;   in Loop: Header=BB30_13 Depth=2
	s_or_b32 exec_lo, exec_lo, s0
	s_delay_alu instid0(VALU_DEP_1) | instskip(SKIP_2) | instid1(SALU_CYCLE_1)
	v_cmp_ne_u64_e64 s0, v[32:33], v[18:19]
	v_cmp_eq_u64_e32 vcc_lo, v[32:33], v[18:19]
	s_and_saveexec_b32 s2, s0
	s_xor_b32 s0, exec_lo, s2
; %bb.18:                               ;   in Loop: Header=BB30_13 Depth=2
	v_min_i64 v[16:17], v[32:33], v[16:17]
                                        ; implicit-def: $vgpr30_vgpr31
                                        ; implicit-def: $vgpr28_vgpr29
; %bb.19:                               ;   in Loop: Header=BB30_13 Depth=2
	s_or_saveexec_b32 s0, s0
	v_mov_b64_e32 v[32:33], v[20:21]
	s_xor_b32 exec_lo, exec_lo, s0
	s_cbranch_execz .LBB30_12
; %bb.20:                               ;   in Loop: Header=BB30_13 Depth=2
	global_load_b32 v7, v[24:25], off
	v_sub_nc_u32_e32 v23, v30, v22
	v_mov_b64_e32 v[32:33], v[28:29]
	s_delay_alu instid0(VALU_DEP_2)
	v_lshl_add_u32 v23, v23, 2, v35
	ds_store_b8 v34, v44 offset:2048
	s_wait_loadcnt 0x0
	ds_store_b32 v23, v7
	s_branch .LBB30_12
.LBB30_21:                              ;   in Loop: Header=BB30_10 Depth=1
	s_or_b32 exec_lo, exec_lo, s31
.LBB30_22:                              ;   in Loop: Header=BB30_10 Depth=1
	s_delay_alu instid0(SALU_CYCLE_1)
	s_or_b32 exec_lo, exec_lo, s30
	ds_bpermute_b32 v20, v37, v32
	ds_bpermute_b32 v21, v37, v33
	s_wait_dscnt 0x0
	ds_load_u8 v7, v34 offset:2048
	s_mov_b32 s0, exec_lo
	v_min_i64 v[20:21], v[20:21], v[32:33]
	s_wait_dscnt 0x0
	v_and_b32_e32 v7, 1, v7
	ds_bpermute_b32 v22, v38, v20
	ds_bpermute_b32 v23, v38, v21
	s_wait_dscnt 0x0
	v_min_i64 v[20:21], v[22:23], v[20:21]
	v_mov_b64_e32 v[22:23], 0
	ds_bpermute_b32 v20, v39, v20
	ds_bpermute_b32 v21, v39, v21
	v_cmpx_eq_u32_e32 1, v7
	s_cbranch_execz .LBB30_9
; %bb.23:                               ;   in Loop: Header=BB30_10 Depth=1
	v_mul_u64_e32 v[22:23], s[14:15], v[4:5]
	v_add_nc_u64_e32 v[26:27], s[12:13], v[18:19]
	s_delay_alu instid0(VALU_DEP_2) | instskip(NEXT) | instid1(VALU_DEP_1)
	v_lshlrev_b64_e32 v[24:25], 2, v[22:23]
	v_add_nc_u64_e32 v[22:23], v[8:9], v[24:25]
	v_add_nc_u64_e32 v[18:19], v[14:15], v[24:25]
	v_lshl_add_u64 v[24:25], v[4:5], 3, s[4:5]
	global_store_b64 v[24:25], v[26:27], off
	s_wait_xcnt 0x0
	s_and_saveexec_b32 s2, s26
	s_cbranch_execz .LBB30_27
; %bb.24:                               ;   in Loop: Header=BB30_10 Depth=1
	ds_load_b32 v7, v36
	s_and_b32 vcc_lo, exec_lo, s1
	s_cbranch_vccz .LBB30_30
; %bb.25:                               ;   in Loop: Header=BB30_10 Depth=1
	v_lshl_add_u64 v[24:25], v[10:11], 2, v[22:23]
	s_wait_dscnt 0x0
	global_store_b32 v[24:25], v7, off
	s_cbranch_execnz .LBB30_27
.LBB30_26:                              ;   in Loop: Header=BB30_10 Depth=1
	s_wait_xcnt 0x0
	v_dual_mov_b32 v25, v6 :: v_dual_lshlrev_b32 v24, 2, v0
	s_delay_alu instid0(VALU_DEP_1)
	v_add_nc_u64_e32 v[24:25], v[18:19], v[24:25]
	s_wait_dscnt 0x0
	global_store_b32 v[24:25], v7, off
.LBB30_27:                              ;   in Loop: Header=BB30_10 Depth=1
	s_wait_xcnt 0x0
	s_or_b32 exec_lo, exec_lo, s2
	s_and_saveexec_b32 s2, s27
	s_cbranch_execz .LBB30_8
; %bb.28:                               ;   in Loop: Header=BB30_10 Depth=1
	s_and_not1_b32 vcc_lo, exec_lo, s1
	s_cbranch_vccnz .LBB30_31
; %bb.29:                               ;   in Loop: Header=BB30_10 Depth=1
	s_wait_dscnt 0x0
	ds_load_b32 v7, v36 offset:16
	v_lshl_add_u64 v[22:23], v[12:13], 2, v[22:23]
	s_wait_dscnt 0x0
	global_store_b32 v[22:23], v7, off
	s_cbranch_execnz .LBB30_8
	s_branch .LBB30_32
.LBB30_30:                              ;   in Loop: Header=BB30_10 Depth=1
	s_branch .LBB30_26
.LBB30_31:                              ;   in Loop: Header=BB30_10 Depth=1
.LBB30_32:                              ;   in Loop: Header=BB30_10 Depth=1
	s_wait_dscnt 0x0
	s_wait_xcnt 0x0
	ds_load_b32 v7, v36 offset:16
	v_dual_mov_b32 v23, v6 :: v_dual_lshlrev_b32 v22, 2, v0
	s_delay_alu instid0(VALU_DEP_1)
	v_add_nc_u64_e32 v[18:19], v[18:19], v[22:23]
	s_wait_dscnt 0x0
	global_store_b32 v[18:19], v7, off offset:16
	s_branch .LBB30_8
.LBB30_33:
	s_endpgm
	.section	.rodata,"a",@progbits
	.p2align	6, 0x0
	.amdhsa_kernel _ZN9rocsparseL42csr2bsr_wavefront_per_row_multipass_kernelILj256ELj32ELj8EillEEv20rocsparse_direction_T4_S2_S2_S2_S2_21rocsparse_index_base_PKT2_PKT3_PKS2_S3_PS4_PS7_PS2_
		.amdhsa_group_segment_fixed_size 2056
		.amdhsa_private_segment_fixed_size 0
		.amdhsa_kernarg_size 112
		.amdhsa_user_sgpr_count 2
		.amdhsa_user_sgpr_dispatch_ptr 0
		.amdhsa_user_sgpr_queue_ptr 0
		.amdhsa_user_sgpr_kernarg_segment_ptr 1
		.amdhsa_user_sgpr_dispatch_id 0
		.amdhsa_user_sgpr_kernarg_preload_length 0
		.amdhsa_user_sgpr_kernarg_preload_offset 0
		.amdhsa_user_sgpr_private_segment_size 0
		.amdhsa_wavefront_size32 1
		.amdhsa_uses_dynamic_stack 0
		.amdhsa_enable_private_segment 0
		.amdhsa_system_sgpr_workgroup_id_x 1
		.amdhsa_system_sgpr_workgroup_id_y 0
		.amdhsa_system_sgpr_workgroup_id_z 0
		.amdhsa_system_sgpr_workgroup_info 0
		.amdhsa_system_vgpr_workitem_id 0
		.amdhsa_next_free_vgpr 58
		.amdhsa_next_free_sgpr 43
		.amdhsa_named_barrier_count 0
		.amdhsa_reserve_vcc 1
		.amdhsa_float_round_mode_32 0
		.amdhsa_float_round_mode_16_64 0
		.amdhsa_float_denorm_mode_32 3
		.amdhsa_float_denorm_mode_16_64 3
		.amdhsa_fp16_overflow 0
		.amdhsa_memory_ordered 1
		.amdhsa_forward_progress 1
		.amdhsa_inst_pref_size 18
		.amdhsa_round_robin_scheduling 0
		.amdhsa_exception_fp_ieee_invalid_op 0
		.amdhsa_exception_fp_denorm_src 0
		.amdhsa_exception_fp_ieee_div_zero 0
		.amdhsa_exception_fp_ieee_overflow 0
		.amdhsa_exception_fp_ieee_underflow 0
		.amdhsa_exception_fp_ieee_inexact 0
		.amdhsa_exception_int_div_zero 0
	.end_amdhsa_kernel
	.section	.text._ZN9rocsparseL42csr2bsr_wavefront_per_row_multipass_kernelILj256ELj32ELj8EillEEv20rocsparse_direction_T4_S2_S2_S2_S2_21rocsparse_index_base_PKT2_PKT3_PKS2_S3_PS4_PS7_PS2_,"axG",@progbits,_ZN9rocsparseL42csr2bsr_wavefront_per_row_multipass_kernelILj256ELj32ELj8EillEEv20rocsparse_direction_T4_S2_S2_S2_S2_21rocsparse_index_base_PKT2_PKT3_PKS2_S3_PS4_PS7_PS2_,comdat
.Lfunc_end30:
	.size	_ZN9rocsparseL42csr2bsr_wavefront_per_row_multipass_kernelILj256ELj32ELj8EillEEv20rocsparse_direction_T4_S2_S2_S2_S2_21rocsparse_index_base_PKT2_PKT3_PKS2_S3_PS4_PS7_PS2_, .Lfunc_end30-_ZN9rocsparseL42csr2bsr_wavefront_per_row_multipass_kernelILj256ELj32ELj8EillEEv20rocsparse_direction_T4_S2_S2_S2_S2_21rocsparse_index_base_PKT2_PKT3_PKS2_S3_PS4_PS7_PS2_
                                        ; -- End function
	.set _ZN9rocsparseL42csr2bsr_wavefront_per_row_multipass_kernelILj256ELj32ELj8EillEEv20rocsparse_direction_T4_S2_S2_S2_S2_21rocsparse_index_base_PKT2_PKT3_PKS2_S3_PS4_PS7_PS2_.num_vgpr, 58
	.set _ZN9rocsparseL42csr2bsr_wavefront_per_row_multipass_kernelILj256ELj32ELj8EillEEv20rocsparse_direction_T4_S2_S2_S2_S2_21rocsparse_index_base_PKT2_PKT3_PKS2_S3_PS4_PS7_PS2_.num_agpr, 0
	.set _ZN9rocsparseL42csr2bsr_wavefront_per_row_multipass_kernelILj256ELj32ELj8EillEEv20rocsparse_direction_T4_S2_S2_S2_S2_21rocsparse_index_base_PKT2_PKT3_PKS2_S3_PS4_PS7_PS2_.numbered_sgpr, 43
	.set _ZN9rocsparseL42csr2bsr_wavefront_per_row_multipass_kernelILj256ELj32ELj8EillEEv20rocsparse_direction_T4_S2_S2_S2_S2_21rocsparse_index_base_PKT2_PKT3_PKS2_S3_PS4_PS7_PS2_.num_named_barrier, 0
	.set _ZN9rocsparseL42csr2bsr_wavefront_per_row_multipass_kernelILj256ELj32ELj8EillEEv20rocsparse_direction_T4_S2_S2_S2_S2_21rocsparse_index_base_PKT2_PKT3_PKS2_S3_PS4_PS7_PS2_.private_seg_size, 0
	.set _ZN9rocsparseL42csr2bsr_wavefront_per_row_multipass_kernelILj256ELj32ELj8EillEEv20rocsparse_direction_T4_S2_S2_S2_S2_21rocsparse_index_base_PKT2_PKT3_PKS2_S3_PS4_PS7_PS2_.uses_vcc, 1
	.set _ZN9rocsparseL42csr2bsr_wavefront_per_row_multipass_kernelILj256ELj32ELj8EillEEv20rocsparse_direction_T4_S2_S2_S2_S2_21rocsparse_index_base_PKT2_PKT3_PKS2_S3_PS4_PS7_PS2_.uses_flat_scratch, 0
	.set _ZN9rocsparseL42csr2bsr_wavefront_per_row_multipass_kernelILj256ELj32ELj8EillEEv20rocsparse_direction_T4_S2_S2_S2_S2_21rocsparse_index_base_PKT2_PKT3_PKS2_S3_PS4_PS7_PS2_.has_dyn_sized_stack, 0
	.set _ZN9rocsparseL42csr2bsr_wavefront_per_row_multipass_kernelILj256ELj32ELj8EillEEv20rocsparse_direction_T4_S2_S2_S2_S2_21rocsparse_index_base_PKT2_PKT3_PKS2_S3_PS4_PS7_PS2_.has_recursion, 0
	.set _ZN9rocsparseL42csr2bsr_wavefront_per_row_multipass_kernelILj256ELj32ELj8EillEEv20rocsparse_direction_T4_S2_S2_S2_S2_21rocsparse_index_base_PKT2_PKT3_PKS2_S3_PS4_PS7_PS2_.has_indirect_call, 0
	.section	.AMDGPU.csdata,"",@progbits
; Kernel info:
; codeLenInByte = 2296
; TotalNumSgprs: 45
; NumVgprs: 58
; ScratchSize: 0
; MemoryBound: 0
; FloatMode: 240
; IeeeMode: 1
; LDSByteSize: 2056 bytes/workgroup (compile time only)
; SGPRBlocks: 0
; VGPRBlocks: 3
; NumSGPRsForWavesPerEU: 45
; NumVGPRsForWavesPerEU: 58
; NamedBarCnt: 0
; Occupancy: 16
; WaveLimiterHint : 0
; COMPUTE_PGM_RSRC2:SCRATCH_EN: 0
; COMPUTE_PGM_RSRC2:USER_SGPR: 2
; COMPUTE_PGM_RSRC2:TRAP_HANDLER: 0
; COMPUTE_PGM_RSRC2:TGID_X_EN: 1
; COMPUTE_PGM_RSRC2:TGID_Y_EN: 0
; COMPUTE_PGM_RSRC2:TGID_Z_EN: 0
; COMPUTE_PGM_RSRC2:TIDIG_COMP_CNT: 0
	.section	.text._ZN9rocsparseL42csr2bsr_wavefront_per_row_multipass_kernelILj256ELj64ELj16EillEEv20rocsparse_direction_T4_S2_S2_S2_S2_21rocsparse_index_base_PKT2_PKT3_PKS2_S3_PS4_PS7_PS2_,"axG",@progbits,_ZN9rocsparseL42csr2bsr_wavefront_per_row_multipass_kernelILj256ELj64ELj16EillEEv20rocsparse_direction_T4_S2_S2_S2_S2_21rocsparse_index_base_PKT2_PKT3_PKS2_S3_PS4_PS7_PS2_,comdat
	.globl	_ZN9rocsparseL42csr2bsr_wavefront_per_row_multipass_kernelILj256ELj64ELj16EillEEv20rocsparse_direction_T4_S2_S2_S2_S2_21rocsparse_index_base_PKT2_PKT3_PKS2_S3_PS4_PS7_PS2_ ; -- Begin function _ZN9rocsparseL42csr2bsr_wavefront_per_row_multipass_kernelILj256ELj64ELj16EillEEv20rocsparse_direction_T4_S2_S2_S2_S2_21rocsparse_index_base_PKT2_PKT3_PKS2_S3_PS4_PS7_PS2_
	.p2align	8
	.type	_ZN9rocsparseL42csr2bsr_wavefront_per_row_multipass_kernelILj256ELj64ELj16EillEEv20rocsparse_direction_T4_S2_S2_S2_S2_21rocsparse_index_base_PKT2_PKT3_PKS2_S3_PS4_PS7_PS2_,@function
_ZN9rocsparseL42csr2bsr_wavefront_per_row_multipass_kernelILj256ELj64ELj16EillEEv20rocsparse_direction_T4_S2_S2_S2_S2_21rocsparse_index_base_PKT2_PKT3_PKS2_S3_PS4_PS7_PS2_: ; @_ZN9rocsparseL42csr2bsr_wavefront_per_row_multipass_kernelILj256ELj64ELj16EillEEv20rocsparse_direction_T4_S2_S2_S2_S2_21rocsparse_index_base_PKT2_PKT3_PKS2_S3_PS4_PS7_PS2_
; %bb.0:
	s_bfe_u32 s2, ttmp6, 0x4000c
	s_clause 0x1
	s_load_b96 s[8:10], s[0:1], 0x28
	s_load_b64 s[12:13], s[0:1], 0x40
	s_add_co_i32 s2, s2, 1
	s_and_b32 s3, ttmp6, 15
	s_mul_i32 s2, ttmp9, s2
	s_getreg_b32 s4, hwreg(HW_REG_IB_STS2, 6, 4)
	s_add_co_i32 s3, s3, s2
	s_cmp_eq_u32 s4, 0
	v_dual_mov_b32 v9, 0 :: v_dual_lshrrev_b32 v38, 6, v0
	s_cselect_b32 s14, ttmp9, s3
	v_bfe_u32 v8, v0, 2, 4
	s_ashr_i32 s15, s14, 31
	v_mov_b64_e32 v[22:23], 0
	s_lshl_b64 s[2:3], s[14:15], 2
	s_mov_b32 s11, 0
	v_or_b32_e32 v1, s2, v38
	s_load_b128 s[4:7], s[0:1], 0x18
	s_wait_kmcnt 0x0
	s_delay_alu instid0(VALU_DEP_1) | instskip(NEXT) | instid1(VALU_DEP_1)
	v_mad_nc_u64_u32 v[4:5], v1, s8, v[8:9]
	v_mad_u32 v2, s3, s8, v5
	s_load_b64 s[2:3], s[0:1], 0x8
	s_delay_alu instid0(VALU_DEP_1) | instskip(SKIP_2) | instid1(VALU_DEP_2)
	v_mad_u32 v5, v1, s9, v2
	v_mov_b64_e32 v[2:3], 0
	s_wait_kmcnt 0x0
	v_cmp_gt_i64_e32 vcc_lo, s[2:3], v[4:5]
	v_cmp_gt_i64_e64 s2, s[8:9], v[8:9]
	s_and_b32 s3, s2, vcc_lo
	s_delay_alu instid0(SALU_CYCLE_1)
	s_and_saveexec_b32 s15, s3
	s_cbranch_execz .LBB31_2
; %bb.1:
	v_lshl_add_u64 v[6:7], v[4:5], 3, s[12:13]
	global_load_b64 v[6:7], v[6:7], off
	s_wait_loadcnt 0x0
	v_sub_nc_u64_e64 v[22:23], v[6:7], s[10:11]
.LBB31_2:
	s_or_b32 exec_lo, exec_lo, s15
	s_and_saveexec_b32 s15, s3
	s_cbranch_execz .LBB31_4
; %bb.3:
	v_lshl_add_u64 v[2:3], v[4:5], 3, s[12:13]
	global_load_b64 v[2:3], v[2:3], off offset:8
	s_wait_loadcnt 0x0
	v_sub_nc_u64_e64 v[2:3], v[2:3], s[10:11]
.LBB31_4:
	s_or_b32 exec_lo, exec_lo, s15
	s_load_b32 s12, s[0:1], 0x50
	v_mov_b64_e32 v[4:5], 0
	v_lshl_or_b32 v6, s14, 2, v38
	v_mov_b32_e32 v7, 0
	s_mov_b32 s3, exec_lo
	s_delay_alu instid0(VALU_DEP_1)
	v_cmpx_gt_i64_e64 s[4:5], v[6:7]
	s_cbranch_execz .LBB31_6
; %bb.5:
	s_load_b64 s[4:5], s[0:1], 0x60
	s_mov_b32 s13, 0
	s_wait_kmcnt 0x0
	v_lshl_add_u64 v[4:5], v[6:7], 3, s[4:5]
	global_load_b64 v[4:5], v[4:5], off
	s_wait_loadcnt 0x0
	v_sub_nc_u64_e64 v[4:5], v[4:5], s[12:13]
.LBB31_6:
	s_or_b32 exec_lo, exec_lo, s3
	v_cmp_lt_i64_e64 s3, s[6:7], 1
	s_and_b32 vcc_lo, exec_lo, s3
	s_cbranch_vccnz .LBB31_43
; %bb.7:
	v_mbcnt_lo_u32_b32 v7, -1, 0
	s_clause 0x1
	s_load_b64 s[22:23], s[0:1], 0x58
	s_load_b64 s[4:5], s[0:1], 0x68
	v_dual_lshlrev_b32 v1, 6, v8 :: v_dual_lshlrev_b32 v10, 2, v8
	v_dual_mov_b32 v6, 0 :: v_dual_bitop2_b32 v12, 2, v7 bitop3:0x14
	v_and_b32_e32 v0, 3, v0
	v_or_b32_e32 v28, 32, v7
	v_mul_u64_e32 v[18:19], s[8:9], v[8:9]
	s_delay_alu instid0(VALU_DEP_4)
	v_mov_b32_e32 v11, v6
	v_cmp_gt_i32_e32 vcc_lo, 32, v12
	v_dual_mov_b32 v21, v6 :: v_dual_bitop2_b32 v13, 1, v7 bitop3:0x14
	v_lshl_or_b32 v39, v38, 10, v1
	v_dual_mov_b32 v25, v6 :: v_dual_bitop2_b32 v20, 4, v0 bitop3:0x54
	v_cndmask_b32_e32 v12, v7, v12, vcc_lo
	s_delay_alu instid0(VALU_DEP_4)
	v_cmp_gt_i32_e32 vcc_lo, 32, v13
	v_dual_mov_b32 v27, v6 :: v_dual_bitop2_b32 v24, 8, v0 bitop3:0x54
	s_wait_kmcnt 0x0
	v_add_nc_u64_e32 v[8:9], s[22:23], v[10:11]
	v_dual_mov_b32 v1, v6 :: v_dual_cndmask_b32 v10, v7, v13
	v_cmp_gt_i32_e32 vcc_lo, 32, v28
	v_dual_lshlrev_b32 v41, 2, v12 :: v_dual_bitop2_b32 v29, 16, v7 bitop3:0x14
	v_mul_u64_e32 v[12:13], s[8:9], v[20:21]
	s_delay_alu instid0(VALU_DEP_4) | instskip(NEXT) | instid1(VALU_DEP_3)
	v_dual_lshlrev_b32 v42, 2, v10 :: v_dual_cndmask_b32 v28, v7, v28, vcc_lo
	v_cmp_gt_i32_e32 vcc_lo, 32, v29
	v_or_b32_e32 v26, 12, v0
	v_mul_u64_e32 v[10:11], s[8:9], v[0:1]
	v_mul_u64_e32 v[14:15], s[8:9], v[24:25]
	s_clause 0x2
	s_load_b64 s[18:19], s[0:1], 0x48
	s_load_b64 s[20:21], s[0:1], 0x38
	s_load_b32 s3, s[0:1], 0x0
	v_cndmask_b32_e32 v29, v7, v29, vcc_lo
	v_mul_u64_e32 v[16:17], s[8:9], v[26:27]
	v_dual_lshlrev_b32 v44, 2, v28 :: v_dual_bitop2_b32 v30, 8, v7 bitop3:0x14
	s_delay_alu instid0(VALU_DEP_3) | instskip(SKIP_1) | instid1(VALU_DEP_3)
	v_dual_lshlrev_b32 v45, 2, v29 :: v_dual_bitop2_b32 v31, 4, v7 bitop3:0x14
	v_lshl_or_b32 v43, v7, 2, 12
	v_cmp_gt_i32_e32 vcc_lo, 32, v30
	s_wait_xcnt 0x0
	v_cmp_gt_u64_e64 s0, s[8:9], v[20:21]
	v_cmp_gt_u64_e64 s1, s[8:9], v[24:25]
	v_mov_b64_e32 v[24:25], 0
	v_lshl_or_b32 v40, v0, 2, v39
	v_cndmask_b32_e32 v28, v7, v30, vcc_lo
	v_cmp_gt_i32_e32 vcc_lo, 32, v31
	v_lshl_add_u64 v[18:19], v[18:19], 2, s[22:23]
	v_bfrev_b32_e32 v48, 0.5
	v_mov_b32_e32 v49, 1
	s_mov_b32 s17, 0
	v_cndmask_b32_e32 v7, v7, v31, vcc_lo
	s_wait_kmcnt 0x0
	s_cmp_lg_u32 s3, 0
	v_cmp_gt_u64_e32 vcc_lo, s[8:9], v[0:1]
	v_cmp_gt_u64_e64 s3, s[8:9], v[26:27]
	v_dual_lshlrev_b32 v46, 2, v28 :: v_dual_lshlrev_b32 v47, 2, v7
	s_mul_u64 s[14:15], s[8:9], s[8:9]
	s_mov_b32 s11, s17
	s_mov_b32 s13, s17
	s_cselect_b32 s26, -1, 0
	s_and_b32 s27, s2, vcc_lo
	s_and_b32 s28, s2, s0
	s_and_b32 s1, s2, s1
	s_mov_b64 s[22:23], 0xffffffff
	s_and_b32 s29, s2, s3
	s_ashr_i32 s2, s9, 31
	s_sub_co_i32 s30, 0, s8
	s_mov_b32 s31, 0
	s_branch .LBB31_10
.LBB31_8:                               ;   in Loop: Header=BB31_10 Depth=1
	s_wait_xcnt 0x0
	s_or_b32 exec_lo, exec_lo, s3
	v_mov_b64_e32 v[26:27], 1
.LBB31_9:                               ;   in Loop: Header=BB31_10 Depth=1
	s_or_b32 exec_lo, exec_lo, s0
	ds_bpermute_b32 v24, v44, v20
	ds_bpermute_b32 v25, v44, v21
	v_add_nc_u64_e32 v[4:5], v[26:27], v[4:5]
	s_wait_storecnt_dscnt 0x0
	v_min_i64 v[20:21], v[24:25], v[20:21]
	ds_bpermute_b32 v24, v45, v20
	ds_bpermute_b32 v25, v45, v21
	s_wait_dscnt 0x0
	v_min_i64 v[20:21], v[24:25], v[20:21]
	ds_bpermute_b32 v24, v46, v20
	ds_bpermute_b32 v25, v46, v21
	s_wait_dscnt 0x0
	;; [unrolled: 4-line block ×6, first 2 shown]
	v_cmp_le_i64_e32 vcc_lo, s[6:7], v[24:25]
	s_or_b32 s31, vcc_lo, s31
	s_delay_alu instid0(SALU_CYCLE_1)
	s_and_not1_b32 exec_lo, exec_lo, s31
	s_cbranch_execz .LBB31_43
.LBB31_10:                              ; =>This Loop Header: Depth=1
                                        ;     Child Loop BB31_13 Depth 2
	v_add_nc_u64_e32 v[22:23], v[22:23], v[0:1]
	v_mov_b64_e32 v[20:21], s[6:7]
	v_mov_b64_e32 v[36:37], v[2:3]
	s_mov_b32 s33, exec_lo
	ds_store_b8 v38, v6 offset:4096
	ds_store_2addr_b32 v40, v6, v6 offset1:4
	ds_store_2addr_b32 v40, v6, v6 offset0:8 offset1:12
	s_wait_dscnt 0x0
	v_cmpx_lt_i64_e64 v[22:23], v[2:3]
	s_cbranch_execz .LBB31_22
; %bb.11:                               ;   in Loop: Header=BB31_10 Depth=1
	v_mul_u64_e32 v[26:27], s[8:9], v[24:25]
	v_mov_b64_e32 v[20:21], s[6:7]
	v_mov_b64_e32 v[32:33], v[2:3]
	v_lshl_add_u64 v[28:29], v[22:23], 2, s[20:21]
	v_lshl_add_u64 v[30:31], v[22:23], 3, s[18:19]
	s_mov_b32 s34, 0
	s_branch .LBB31_13
.LBB31_12:                              ;   in Loop: Header=BB31_13 Depth=2
	s_wait_xcnt 0x0
	s_or_b32 exec_lo, exec_lo, s0
	v_add_nc_u64_e32 v[22:23], 4, v[22:23]
	s_xor_b32 s3, vcc_lo, -1
	v_add_nc_u64_e32 v[28:29], 16, v[28:29]
	v_add_nc_u64_e32 v[30:31], 32, v[30:31]
	v_mov_b64_e32 v[32:33], v[36:37]
	s_delay_alu instid0(VALU_DEP_4) | instskip(SKIP_1) | instid1(SALU_CYCLE_1)
	v_cmp_ge_i64_e64 s0, v[22:23], v[2:3]
	s_or_b32 s0, s3, s0
	s_and_b32 s0, exec_lo, s0
	s_delay_alu instid0(SALU_CYCLE_1) | instskip(NEXT) | instid1(SALU_CYCLE_1)
	s_or_b32 s34, s0, s34
	s_and_not1_b32 exec_lo, exec_lo, s34
	s_cbranch_execz .LBB31_21
.LBB31_13:                              ;   Parent Loop BB31_10 Depth=1
                                        ; =>  This Inner Loop Header: Depth=2
	global_load_b64 v[34:35], v[30:31], off
                                        ; implicit-def: $vgpr36_vgpr37
	s_mov_b32 s0, exec_lo
	s_wait_loadcnt 0x0
	v_sub_nc_u64_e64 v[34:35], v[34:35], s[10:11]
	s_delay_alu instid0(VALU_DEP_1) | instskip(SKIP_1) | instid1(VALU_DEP_1)
	v_or_b32_e32 v7, s9, v35
	s_wait_xcnt 0x0
	v_cmpx_ne_u64_e32 0, v[6:7]
	s_xor_b32 s35, exec_lo, s0
	s_cbranch_execz .LBB31_15
; %bb.14:                               ;   in Loop: Header=BB31_13 Depth=2
	s_mov_b32 s3, s2
	v_dual_mov_b32 v53, v6 :: v_dual_ashrrev_i32 v36, 31, v35
	s_add_nc_u64 s[24:25], s[8:9], s[2:3]
	s_delay_alu instid0(SALU_CYCLE_1) | instskip(NEXT) | instid1(VALU_DEP_1)
	s_xor_b64 s[24:25], s[24:25], s[2:3]
	v_mov_b32_e32 v37, v36
	s_cvt_f32_u32 s0, s24
	s_cvt_f32_u32 s3, s25
	s_sub_nc_u64 s[38:39], 0, s[24:25]
	s_delay_alu instid0(VALU_DEP_1) | instskip(NEXT) | instid1(SALU_CYCLE_1)
	v_add_nc_u64_e32 v[50:51], v[34:35], v[36:37]
	s_fmamk_f32 s0, s3, 0x4f800000, s0
	v_mov_b32_e32 v57, v6
	s_delay_alu instid0(SALU_CYCLE_2) | instskip(NEXT) | instid1(VALU_DEP_2)
	v_s_rcp_f32 s0, s0
	v_xor_b32_e32 v52, v50, v36
	s_delay_alu instid0(VALU_DEP_3) | instskip(NEXT) | instid1(TRANS32_DEP_1)
	v_dual_mov_b32 v61, v6 :: v_dual_bitop2_b32 v56, v51, v36 bitop3:0x14
	s_mul_f32 s0, s0, 0x5f7ffffc
	s_delay_alu instid0(SALU_CYCLE_3) | instskip(NEXT) | instid1(SALU_CYCLE_3)
	s_mul_f32 s3, s0, 0x2f800000
	s_trunc_f32 s3, s3
	s_delay_alu instid0(SALU_CYCLE_3) | instskip(SKIP_1) | instid1(SALU_CYCLE_2)
	s_fmamk_f32 s0, s3, 0xcf800000, s0
	s_cvt_u32_f32 s37, s3
	s_cvt_u32_f32 s36, s0
	s_delay_alu instid0(SALU_CYCLE_3) | instskip(NEXT) | instid1(SALU_CYCLE_1)
	s_mul_u64 s[40:41], s[38:39], s[36:37]
	s_mul_hi_u32 s43, s36, s41
	s_mul_i32 s42, s36, s41
	s_mul_hi_u32 s16, s36, s40
	s_mul_i32 s3, s37, s40
	s_add_nc_u64 s[42:43], s[16:17], s[42:43]
	s_mul_hi_u32 s0, s37, s40
	s_mul_hi_u32 s44, s37, s41
	s_add_co_u32 s3, s42, s3
	s_add_co_ci_u32 s16, s43, s0
	s_mul_i32 s40, s37, s41
	s_add_co_ci_u32 s41, s44, 0
	s_delay_alu instid0(SALU_CYCLE_1) | instskip(NEXT) | instid1(SALU_CYCLE_1)
	s_add_nc_u64 s[40:41], s[16:17], s[40:41]
	s_add_co_u32 s36, s36, s40
	s_cselect_b32 s0, -1, 0
	s_delay_alu instid0(SALU_CYCLE_1) | instskip(SKIP_1) | instid1(SALU_CYCLE_1)
	s_cmp_lg_u32 s0, 0
	s_add_co_ci_u32 s37, s37, s41
	s_mul_u64 s[38:39], s[38:39], s[36:37]
	s_delay_alu instid0(SALU_CYCLE_1)
	s_mul_hi_u32 s41, s36, s39
	s_mul_i32 s40, s36, s39
	s_mul_hi_u32 s16, s36, s38
	s_mul_i32 s3, s37, s38
	s_add_nc_u64 s[40:41], s[16:17], s[40:41]
	s_mul_hi_u32 s0, s37, s38
	s_mul_hi_u32 s42, s37, s39
	s_add_co_u32 s3, s40, s3
	s_add_co_ci_u32 s16, s41, s0
	s_mul_i32 s38, s37, s39
	s_add_co_ci_u32 s39, s42, 0
	s_delay_alu instid0(SALU_CYCLE_1) | instskip(NEXT) | instid1(SALU_CYCLE_1)
	s_add_nc_u64 s[38:39], s[16:17], s[38:39]
	s_add_co_u32 s0, s36, s38
	s_cselect_b32 s3, -1, 0
	v_mul_hi_u32 v60, v52, s0
	s_cmp_lg_u32 s3, 0
	s_add_co_ci_u32 s16, s37, s39
	s_and_b64 s[36:37], s[0:1], s[22:23]
	v_mul_u64_e32 v[54:55], s[16:17], v[52:53]
	v_mul_u64_e32 v[50:51], s[36:37], v[56:57]
	v_mul_u64_e32 v[58:59], s[16:17], v[56:57]
	s_delay_alu instid0(VALU_DEP_3) | instskip(NEXT) | instid1(VALU_DEP_1)
	v_add_nc_u64_e32 v[54:55], v[60:61], v[54:55]
	v_add_co_u32 v7, vcc_lo, v54, v50
	s_delay_alu instid0(VALU_DEP_2) | instskip(NEXT) | instid1(VALU_DEP_4)
	v_add_co_ci_u32_e32 v60, vcc_lo, v55, v51, vcc_lo
	v_add_co_ci_u32_e32 v59, vcc_lo, 0, v59, vcc_lo
	s_delay_alu instid0(VALU_DEP_1) | instskip(NEXT) | instid1(VALU_DEP_1)
	v_add_nc_u64_e32 v[50:51], v[60:61], v[58:59]
	v_mul_u64_e32 v[54:55], s[24:25], v[50:51]
	s_delay_alu instid0(VALU_DEP_1) | instskip(NEXT) | instid1(VALU_DEP_2)
	v_sub_nc_u32_e32 v7, v56, v55
	v_sub_co_u32 v27, vcc_lo, v52, v54
	s_delay_alu instid0(VALU_DEP_1) | instskip(NEXT) | instid1(VALU_DEP_3)
	v_sub_co_ci_u32_e64 v37, null, v56, v55, vcc_lo
	v_subrev_co_ci_u32_e64 v7, null, s25, v7, vcc_lo
	s_delay_alu instid0(VALU_DEP_3) | instskip(SKIP_1) | instid1(VALU_DEP_3)
	v_sub_co_u32 v35, s0, v27, s24
	v_add_nc_u64_e32 v[54:55], 1, v[50:51]
	v_subrev_co_ci_u32_e64 v7, null, 0, v7, s0
	s_delay_alu instid0(VALU_DEP_3) | instskip(SKIP_1) | instid1(VALU_DEP_3)
	v_cmp_le_u32_e32 vcc_lo, s24, v35
	v_cndmask_b32_e64 v35, 0, -1, vcc_lo
	v_cmp_le_u32_e32 vcc_lo, s25, v7
	v_cndmask_b32_e64 v52, 0, -1, vcc_lo
	;; [unrolled: 2-line block ×4, first 2 shown]
	v_cmp_eq_u32_e32 vcc_lo, s25, v7
	v_cndmask_b32_e32 v7, v52, v35, vcc_lo
	v_cmp_eq_u32_e32 vcc_lo, s25, v37
	v_add_nc_u64_e32 v[52:53], 2, v[50:51]
	v_cndmask_b32_e32 v27, v56, v27, vcc_lo
	s_delay_alu instid0(VALU_DEP_4) | instskip(NEXT) | instid1(VALU_DEP_3)
	v_cmp_ne_u32_e32 vcc_lo, 0, v7
	v_cndmask_b32_e32 v7, v55, v53, vcc_lo
	s_delay_alu instid0(VALU_DEP_3) | instskip(SKIP_1) | instid1(VALU_DEP_2)
	v_cmp_ne_u32_e64 s0, 0, v27
	v_cndmask_b32_e32 v27, v54, v52, vcc_lo
	v_dual_cndmask_b32 v7, v51, v7, s0 :: v_dual_bitop2_b32 v36, s2, v36 bitop3:0x14
	s_delay_alu instid0(VALU_DEP_1) | instskip(NEXT) | instid1(VALU_DEP_2)
	v_dual_cndmask_b32 v27, v50, v27, s0 :: v_dual_mov_b32 v37, v36
	v_xor_b32_e32 v51, v7, v36
	s_delay_alu instid0(VALU_DEP_2) | instskip(NEXT) | instid1(VALU_DEP_1)
	v_xor_b32_e32 v50, v27, v36
	v_sub_nc_u64_e32 v[36:37], v[50:51], v[36:37]
.LBB31_15:                              ;   in Loop: Header=BB31_13 Depth=2
	s_and_not1_saveexec_b32 s0, s35
	s_cbranch_execz .LBB31_17
; %bb.16:                               ;   in Loop: Header=BB31_13 Depth=2
	v_cvt_f32_u32_e32 v7, s8
	v_mov_b32_e32 v37, v6
	s_delay_alu instid0(VALU_DEP_2) | instskip(SKIP_1) | instid1(TRANS32_DEP_1)
	v_rcp_iflag_f32_e32 v7, v7
	v_nop
	v_mul_f32_e32 v7, 0x4f7ffffe, v7
	s_delay_alu instid0(VALU_DEP_1) | instskip(NEXT) | instid1(VALU_DEP_1)
	v_cvt_u32_f32_e32 v7, v7
	v_mul_lo_u32 v27, s30, v7
	s_delay_alu instid0(VALU_DEP_1) | instskip(NEXT) | instid1(VALU_DEP_1)
	v_mul_hi_u32 v27, v7, v27
	v_add_nc_u32_e32 v7, v7, v27
	s_delay_alu instid0(VALU_DEP_1) | instskip(NEXT) | instid1(VALU_DEP_1)
	v_mul_hi_u32 v7, v34, v7
	v_mul_lo_u32 v27, v7, s8
	s_delay_alu instid0(VALU_DEP_1) | instskip(NEXT) | instid1(VALU_DEP_1)
	v_sub_nc_u32_e32 v27, v34, v27
	v_subrev_nc_u32_e32 v36, s8, v27
	v_cmp_le_u32_e32 vcc_lo, s8, v27
	s_delay_alu instid0(VALU_DEP_2) | instskip(NEXT) | instid1(VALU_DEP_1)
	v_dual_add_nc_u32 v35, 1, v7 :: v_dual_cndmask_b32 v27, v27, v36, vcc_lo
	v_cndmask_b32_e32 v7, v7, v35, vcc_lo
	s_delay_alu instid0(VALU_DEP_2) | instskip(NEXT) | instid1(VALU_DEP_2)
	v_cmp_le_u32_e32 vcc_lo, s8, v27
	v_add_nc_u32_e32 v35, 1, v7
	s_delay_alu instid0(VALU_DEP_1)
	v_cndmask_b32_e32 v36, v7, v35, vcc_lo
.LBB31_17:                              ;   in Loop: Header=BB31_13 Depth=2
	s_or_b32 exec_lo, exec_lo, s0
	s_delay_alu instid0(VALU_DEP_1) | instskip(SKIP_2) | instid1(SALU_CYCLE_1)
	v_cmp_ne_u64_e64 s0, v[36:37], v[24:25]
	v_cmp_eq_u64_e32 vcc_lo, v[36:37], v[24:25]
	s_and_saveexec_b32 s3, s0
	s_xor_b32 s0, exec_lo, s3
; %bb.18:                               ;   in Loop: Header=BB31_13 Depth=2
	v_min_i64 v[20:21], v[36:37], v[20:21]
                                        ; implicit-def: $vgpr34_vgpr35
                                        ; implicit-def: $vgpr32_vgpr33
; %bb.19:                               ;   in Loop: Header=BB31_13 Depth=2
	s_or_saveexec_b32 s0, s0
	v_mov_b64_e32 v[36:37], v[22:23]
	s_xor_b32 exec_lo, exec_lo, s0
	s_cbranch_execz .LBB31_12
; %bb.20:                               ;   in Loop: Header=BB31_13 Depth=2
	global_load_b32 v7, v[28:29], off
	v_sub_nc_u32_e32 v27, v34, v26
	v_mov_b64_e32 v[36:37], v[32:33]
	s_delay_alu instid0(VALU_DEP_2)
	v_lshl_add_u32 v27, v27, 2, v39
	ds_store_b8 v38, v49 offset:4096
	s_wait_loadcnt 0x0
	ds_store_b32 v27, v7
	s_branch .LBB31_12
.LBB31_21:                              ;   in Loop: Header=BB31_10 Depth=1
	s_or_b32 exec_lo, exec_lo, s34
.LBB31_22:                              ;   in Loop: Header=BB31_10 Depth=1
	s_delay_alu instid0(SALU_CYCLE_1)
	s_or_b32 exec_lo, exec_lo, s33
	ds_bpermute_b32 v22, v41, v36
	ds_bpermute_b32 v23, v41, v37
	s_wait_dscnt 0x0
	ds_load_u8 v7, v38 offset:4096
	s_mov_b32 s0, exec_lo
	v_min_i64 v[22:23], v[22:23], v[36:37]
	s_wait_dscnt 0x0
	v_and_b32_e32 v7, 1, v7
	ds_bpermute_b32 v26, v42, v22
	ds_bpermute_b32 v27, v42, v23
	s_wait_dscnt 0x0
	v_min_i64 v[22:23], v[26:27], v[22:23]
	v_mov_b64_e32 v[26:27], 0
	ds_bpermute_b32 v22, v43, v22
	ds_bpermute_b32 v23, v43, v23
	v_cmpx_eq_u32_e32 1, v7
	s_cbranch_execz .LBB31_9
; %bb.23:                               ;   in Loop: Header=BB31_10 Depth=1
	v_mul_u64_e32 v[26:27], s[14:15], v[4:5]
	v_add_nc_u64_e32 v[30:31], s[12:13], v[24:25]
	s_delay_alu instid0(VALU_DEP_2) | instskip(NEXT) | instid1(VALU_DEP_1)
	v_lshlrev_b64_e32 v[28:29], 2, v[26:27]
	v_add_nc_u64_e32 v[26:27], v[8:9], v[28:29]
	v_add_nc_u64_e32 v[24:25], v[18:19], v[28:29]
	v_lshl_add_u64 v[28:29], v[4:5], 3, s[4:5]
	global_store_b64 v[28:29], v[30:31], off
	s_wait_xcnt 0x0
	s_and_saveexec_b32 s3, s27
	s_cbranch_execz .LBB31_27
; %bb.24:                               ;   in Loop: Header=BB31_10 Depth=1
	ds_load_b32 v7, v40
	s_and_b32 vcc_lo, exec_lo, s26
	s_cbranch_vccz .LBB31_38
; %bb.25:                               ;   in Loop: Header=BB31_10 Depth=1
	v_lshl_add_u64 v[28:29], v[10:11], 2, v[26:27]
	s_wait_dscnt 0x0
	global_store_b32 v[28:29], v7, off
	s_cbranch_execnz .LBB31_27
.LBB31_26:                              ;   in Loop: Header=BB31_10 Depth=1
	s_wait_xcnt 0x0
	v_dual_mov_b32 v29, v6 :: v_dual_lshlrev_b32 v28, 2, v0
	s_delay_alu instid0(VALU_DEP_1)
	v_add_nc_u64_e32 v[28:29], v[24:25], v[28:29]
	s_wait_dscnt 0x0
	global_store_b32 v[28:29], v7, off
.LBB31_27:                              ;   in Loop: Header=BB31_10 Depth=1
	s_wait_xcnt 0x0
	s_or_b32 exec_lo, exec_lo, s3
	s_and_saveexec_b32 s3, s28
	s_cbranch_execz .LBB31_31
; %bb.28:                               ;   in Loop: Header=BB31_10 Depth=1
	s_and_not1_b32 vcc_lo, exec_lo, s26
	s_cbranch_vccnz .LBB31_39
; %bb.29:                               ;   in Loop: Header=BB31_10 Depth=1
	s_wait_dscnt 0x0
	ds_load_b32 v7, v40 offset:16
	v_lshl_add_u64 v[28:29], v[12:13], 2, v[26:27]
	s_wait_dscnt 0x0
	global_store_b32 v[28:29], v7, off
	s_cbranch_execnz .LBB31_31
.LBB31_30:                              ;   in Loop: Header=BB31_10 Depth=1
	s_wait_dscnt 0x0
	s_wait_xcnt 0x0
	ds_load_b32 v7, v40 offset:16
	v_dual_mov_b32 v29, v6 :: v_dual_lshlrev_b32 v28, 2, v0
	s_delay_alu instid0(VALU_DEP_1)
	v_add_nc_u64_e32 v[28:29], v[24:25], v[28:29]
	s_wait_dscnt 0x0
	global_store_b32 v[28:29], v7, off offset:16
.LBB31_31:                              ;   in Loop: Header=BB31_10 Depth=1
	s_wait_xcnt 0x0
	s_or_b32 exec_lo, exec_lo, s3
	s_and_saveexec_b32 s3, s1
	s_cbranch_execz .LBB31_35
; %bb.32:                               ;   in Loop: Header=BB31_10 Depth=1
	s_and_not1_b32 vcc_lo, exec_lo, s26
	s_cbranch_vccnz .LBB31_40
; %bb.33:                               ;   in Loop: Header=BB31_10 Depth=1
	s_wait_dscnt 0x0
	ds_load_b32 v7, v40 offset:32
	v_lshl_add_u64 v[28:29], v[14:15], 2, v[26:27]
	s_wait_dscnt 0x0
	global_store_b32 v[28:29], v7, off
	s_cbranch_execnz .LBB31_35
.LBB31_34:                              ;   in Loop: Header=BB31_10 Depth=1
	s_wait_dscnt 0x0
	s_wait_xcnt 0x0
	ds_load_b32 v7, v40 offset:32
	v_dual_mov_b32 v29, v6 :: v_dual_lshlrev_b32 v28, 2, v0
	s_delay_alu instid0(VALU_DEP_1)
	v_add_nc_u64_e32 v[28:29], v[24:25], v[28:29]
	s_wait_dscnt 0x0
	global_store_b32 v[28:29], v7, off offset:32
.LBB31_35:                              ;   in Loop: Header=BB31_10 Depth=1
	s_wait_xcnt 0x0
	s_or_b32 exec_lo, exec_lo, s3
	s_and_saveexec_b32 s3, s29
	s_cbranch_execz .LBB31_8
; %bb.36:                               ;   in Loop: Header=BB31_10 Depth=1
	s_and_not1_b32 vcc_lo, exec_lo, s26
	s_cbranch_vccnz .LBB31_41
; %bb.37:                               ;   in Loop: Header=BB31_10 Depth=1
	s_wait_dscnt 0x0
	ds_load_b32 v7, v40 offset:48
	v_lshl_add_u64 v[26:27], v[16:17], 2, v[26:27]
	s_wait_dscnt 0x0
	global_store_b32 v[26:27], v7, off
	s_cbranch_execnz .LBB31_8
	s_branch .LBB31_42
.LBB31_38:                              ;   in Loop: Header=BB31_10 Depth=1
	s_branch .LBB31_26
.LBB31_39:                              ;   in Loop: Header=BB31_10 Depth=1
	s_branch .LBB31_30
.LBB31_40:                              ;   in Loop: Header=BB31_10 Depth=1
	s_branch .LBB31_34
.LBB31_41:                              ;   in Loop: Header=BB31_10 Depth=1
.LBB31_42:                              ;   in Loop: Header=BB31_10 Depth=1
	s_wait_dscnt 0x0
	s_wait_xcnt 0x0
	ds_load_b32 v7, v40 offset:48
	v_dual_mov_b32 v27, v6 :: v_dual_lshlrev_b32 v26, 2, v0
	s_delay_alu instid0(VALU_DEP_1)
	v_add_nc_u64_e32 v[24:25], v[24:25], v[26:27]
	s_wait_dscnt 0x0
	global_store_b32 v[24:25], v7, off offset:48
	s_branch .LBB31_8
.LBB31_43:
	s_endpgm
	.section	.rodata,"a",@progbits
	.p2align	6, 0x0
	.amdhsa_kernel _ZN9rocsparseL42csr2bsr_wavefront_per_row_multipass_kernelILj256ELj64ELj16EillEEv20rocsparse_direction_T4_S2_S2_S2_S2_21rocsparse_index_base_PKT2_PKT3_PKS2_S3_PS4_PS7_PS2_
		.amdhsa_group_segment_fixed_size 4100
		.amdhsa_private_segment_fixed_size 0
		.amdhsa_kernarg_size 112
		.amdhsa_user_sgpr_count 2
		.amdhsa_user_sgpr_dispatch_ptr 0
		.amdhsa_user_sgpr_queue_ptr 0
		.amdhsa_user_sgpr_kernarg_segment_ptr 1
		.amdhsa_user_sgpr_dispatch_id 0
		.amdhsa_user_sgpr_kernarg_preload_length 0
		.amdhsa_user_sgpr_kernarg_preload_offset 0
		.amdhsa_user_sgpr_private_segment_size 0
		.amdhsa_wavefront_size32 1
		.amdhsa_uses_dynamic_stack 0
		.amdhsa_enable_private_segment 0
		.amdhsa_system_sgpr_workgroup_id_x 1
		.amdhsa_system_sgpr_workgroup_id_y 0
		.amdhsa_system_sgpr_workgroup_id_z 0
		.amdhsa_system_sgpr_workgroup_info 0
		.amdhsa_system_vgpr_workitem_id 0
		.amdhsa_next_free_vgpr 62
		.amdhsa_next_free_sgpr 45
		.amdhsa_named_barrier_count 0
		.amdhsa_reserve_vcc 1
		.amdhsa_float_round_mode_32 0
		.amdhsa_float_round_mode_16_64 0
		.amdhsa_float_denorm_mode_32 3
		.amdhsa_float_denorm_mode_16_64 3
		.amdhsa_fp16_overflow 0
		.amdhsa_memory_ordered 1
		.amdhsa_forward_progress 1
		.amdhsa_inst_pref_size 21
		.amdhsa_round_robin_scheduling 0
		.amdhsa_exception_fp_ieee_invalid_op 0
		.amdhsa_exception_fp_denorm_src 0
		.amdhsa_exception_fp_ieee_div_zero 0
		.amdhsa_exception_fp_ieee_overflow 0
		.amdhsa_exception_fp_ieee_underflow 0
		.amdhsa_exception_fp_ieee_inexact 0
		.amdhsa_exception_int_div_zero 0
	.end_amdhsa_kernel
	.section	.text._ZN9rocsparseL42csr2bsr_wavefront_per_row_multipass_kernelILj256ELj64ELj16EillEEv20rocsparse_direction_T4_S2_S2_S2_S2_21rocsparse_index_base_PKT2_PKT3_PKS2_S3_PS4_PS7_PS2_,"axG",@progbits,_ZN9rocsparseL42csr2bsr_wavefront_per_row_multipass_kernelILj256ELj64ELj16EillEEv20rocsparse_direction_T4_S2_S2_S2_S2_21rocsparse_index_base_PKT2_PKT3_PKS2_S3_PS4_PS7_PS2_,comdat
.Lfunc_end31:
	.size	_ZN9rocsparseL42csr2bsr_wavefront_per_row_multipass_kernelILj256ELj64ELj16EillEEv20rocsparse_direction_T4_S2_S2_S2_S2_21rocsparse_index_base_PKT2_PKT3_PKS2_S3_PS4_PS7_PS2_, .Lfunc_end31-_ZN9rocsparseL42csr2bsr_wavefront_per_row_multipass_kernelILj256ELj64ELj16EillEEv20rocsparse_direction_T4_S2_S2_S2_S2_21rocsparse_index_base_PKT2_PKT3_PKS2_S3_PS4_PS7_PS2_
                                        ; -- End function
	.set _ZN9rocsparseL42csr2bsr_wavefront_per_row_multipass_kernelILj256ELj64ELj16EillEEv20rocsparse_direction_T4_S2_S2_S2_S2_21rocsparse_index_base_PKT2_PKT3_PKS2_S3_PS4_PS7_PS2_.num_vgpr, 62
	.set _ZN9rocsparseL42csr2bsr_wavefront_per_row_multipass_kernelILj256ELj64ELj16EillEEv20rocsparse_direction_T4_S2_S2_S2_S2_21rocsparse_index_base_PKT2_PKT3_PKS2_S3_PS4_PS7_PS2_.num_agpr, 0
	.set _ZN9rocsparseL42csr2bsr_wavefront_per_row_multipass_kernelILj256ELj64ELj16EillEEv20rocsparse_direction_T4_S2_S2_S2_S2_21rocsparse_index_base_PKT2_PKT3_PKS2_S3_PS4_PS7_PS2_.numbered_sgpr, 45
	.set _ZN9rocsparseL42csr2bsr_wavefront_per_row_multipass_kernelILj256ELj64ELj16EillEEv20rocsparse_direction_T4_S2_S2_S2_S2_21rocsparse_index_base_PKT2_PKT3_PKS2_S3_PS4_PS7_PS2_.num_named_barrier, 0
	.set _ZN9rocsparseL42csr2bsr_wavefront_per_row_multipass_kernelILj256ELj64ELj16EillEEv20rocsparse_direction_T4_S2_S2_S2_S2_21rocsparse_index_base_PKT2_PKT3_PKS2_S3_PS4_PS7_PS2_.private_seg_size, 0
	.set _ZN9rocsparseL42csr2bsr_wavefront_per_row_multipass_kernelILj256ELj64ELj16EillEEv20rocsparse_direction_T4_S2_S2_S2_S2_21rocsparse_index_base_PKT2_PKT3_PKS2_S3_PS4_PS7_PS2_.uses_vcc, 1
	.set _ZN9rocsparseL42csr2bsr_wavefront_per_row_multipass_kernelILj256ELj64ELj16EillEEv20rocsparse_direction_T4_S2_S2_S2_S2_21rocsparse_index_base_PKT2_PKT3_PKS2_S3_PS4_PS7_PS2_.uses_flat_scratch, 0
	.set _ZN9rocsparseL42csr2bsr_wavefront_per_row_multipass_kernelILj256ELj64ELj16EillEEv20rocsparse_direction_T4_S2_S2_S2_S2_21rocsparse_index_base_PKT2_PKT3_PKS2_S3_PS4_PS7_PS2_.has_dyn_sized_stack, 0
	.set _ZN9rocsparseL42csr2bsr_wavefront_per_row_multipass_kernelILj256ELj64ELj16EillEEv20rocsparse_direction_T4_S2_S2_S2_S2_21rocsparse_index_base_PKT2_PKT3_PKS2_S3_PS4_PS7_PS2_.has_recursion, 0
	.set _ZN9rocsparseL42csr2bsr_wavefront_per_row_multipass_kernelILj256ELj64ELj16EillEEv20rocsparse_direction_T4_S2_S2_S2_S2_21rocsparse_index_base_PKT2_PKT3_PKS2_S3_PS4_PS7_PS2_.has_indirect_call, 0
	.section	.AMDGPU.csdata,"",@progbits
; Kernel info:
; codeLenInByte = 2660
; TotalNumSgprs: 47
; NumVgprs: 62
; ScratchSize: 0
; MemoryBound: 0
; FloatMode: 240
; IeeeMode: 1
; LDSByteSize: 4100 bytes/workgroup (compile time only)
; SGPRBlocks: 0
; VGPRBlocks: 3
; NumSGPRsForWavesPerEU: 47
; NumVGPRsForWavesPerEU: 62
; NamedBarCnt: 0
; Occupancy: 16
; WaveLimiterHint : 0
; COMPUTE_PGM_RSRC2:SCRATCH_EN: 0
; COMPUTE_PGM_RSRC2:USER_SGPR: 2
; COMPUTE_PGM_RSRC2:TRAP_HANDLER: 0
; COMPUTE_PGM_RSRC2:TGID_X_EN: 1
; COMPUTE_PGM_RSRC2:TGID_Y_EN: 0
; COMPUTE_PGM_RSRC2:TGID_Z_EN: 0
; COMPUTE_PGM_RSRC2:TIDIG_COMP_CNT: 0
	.section	.text._ZN9rocsparseL42csr2bsr_wavefront_per_row_multipass_kernelILj256ELj32ELj16EillEEv20rocsparse_direction_T4_S2_S2_S2_S2_21rocsparse_index_base_PKT2_PKT3_PKS2_S3_PS4_PS7_PS2_,"axG",@progbits,_ZN9rocsparseL42csr2bsr_wavefront_per_row_multipass_kernelILj256ELj32ELj16EillEEv20rocsparse_direction_T4_S2_S2_S2_S2_21rocsparse_index_base_PKT2_PKT3_PKS2_S3_PS4_PS7_PS2_,comdat
	.globl	_ZN9rocsparseL42csr2bsr_wavefront_per_row_multipass_kernelILj256ELj32ELj16EillEEv20rocsparse_direction_T4_S2_S2_S2_S2_21rocsparse_index_base_PKT2_PKT3_PKS2_S3_PS4_PS7_PS2_ ; -- Begin function _ZN9rocsparseL42csr2bsr_wavefront_per_row_multipass_kernelILj256ELj32ELj16EillEEv20rocsparse_direction_T4_S2_S2_S2_S2_21rocsparse_index_base_PKT2_PKT3_PKS2_S3_PS4_PS7_PS2_
	.p2align	8
	.type	_ZN9rocsparseL42csr2bsr_wavefront_per_row_multipass_kernelILj256ELj32ELj16EillEEv20rocsparse_direction_T4_S2_S2_S2_S2_21rocsparse_index_base_PKT2_PKT3_PKS2_S3_PS4_PS7_PS2_,@function
_ZN9rocsparseL42csr2bsr_wavefront_per_row_multipass_kernelILj256ELj32ELj16EillEEv20rocsparse_direction_T4_S2_S2_S2_S2_21rocsparse_index_base_PKT2_PKT3_PKS2_S3_PS4_PS7_PS2_: ; @_ZN9rocsparseL42csr2bsr_wavefront_per_row_multipass_kernelILj256ELj32ELj16EillEEv20rocsparse_direction_T4_S2_S2_S2_S2_21rocsparse_index_base_PKT2_PKT3_PKS2_S3_PS4_PS7_PS2_
; %bb.0:
	s_bfe_u32 s2, ttmp6, 0x4000c
	s_clause 0x1
	s_load_b96 s[12:14], s[0:1], 0x28
	s_load_b64 s[6:7], s[0:1], 0x40
	s_add_co_i32 s2, s2, 1
	s_and_b32 s3, ttmp6, 15
	s_mul_i32 s2, ttmp9, s2
	s_getreg_b32 s4, hwreg(HW_REG_IB_STS2, 6, 4)
	s_add_co_i32 s3, s3, s2
	s_cmp_eq_u32 s4, 0
	v_dual_mov_b32 v11, 0 :: v_dual_lshrrev_b32 v46, 5, v0
	s_cselect_b32 s4, ttmp9, s3
	v_bfe_u32 v10, v0, 1, 4
	s_ashr_i32 s5, s4, 31
	v_mov_b64_e32 v[30:31], 0
	s_lshl_b64 s[2:3], s[4:5], 3
	s_mov_b32 s15, 0
	v_or_b32_e32 v1, s2, v46
	s_load_b128 s[8:11], s[0:1], 0x18
	s_wait_kmcnt 0x0
	s_delay_alu instid0(VALU_DEP_1) | instskip(NEXT) | instid1(VALU_DEP_1)
	v_mad_nc_u64_u32 v[4:5], v1, s12, v[10:11]
	v_mad_u32 v2, s3, s12, v5
	s_load_b64 s[2:3], s[0:1], 0x8
	s_delay_alu instid0(VALU_DEP_1) | instskip(SKIP_2) | instid1(VALU_DEP_2)
	v_mad_u32 v5, v1, s13, v2
	v_mov_b64_e32 v[2:3], 0
	s_wait_kmcnt 0x0
	v_cmp_gt_i64_e32 vcc_lo, s[2:3], v[4:5]
	v_cmp_gt_i64_e64 s2, s[12:13], v[10:11]
	s_and_b32 s3, s2, vcc_lo
	s_delay_alu instid0(SALU_CYCLE_1)
	s_and_saveexec_b32 s5, s3
	s_cbranch_execz .LBB32_2
; %bb.1:
	v_lshl_add_u64 v[6:7], v[4:5], 3, s[6:7]
	global_load_b64 v[6:7], v[6:7], off
	s_wait_loadcnt 0x0
	v_sub_nc_u64_e64 v[30:31], v[6:7], s[14:15]
.LBB32_2:
	s_or_b32 exec_lo, exec_lo, s5
	s_and_saveexec_b32 s5, s3
	s_cbranch_execz .LBB32_4
; %bb.3:
	v_lshl_add_u64 v[2:3], v[4:5], 3, s[6:7]
	global_load_b64 v[2:3], v[2:3], off offset:8
	s_wait_loadcnt 0x0
	v_sub_nc_u64_e64 v[2:3], v[2:3], s[14:15]
.LBB32_4:
	s_or_b32 exec_lo, exec_lo, s5
	s_load_b32 s16, s[0:1], 0x50
	v_mov_b64_e32 v[4:5], 0
	v_lshl_or_b32 v6, s4, 3, v46
	v_mov_b32_e32 v7, 0
	s_mov_b32 s3, exec_lo
	s_delay_alu instid0(VALU_DEP_1)
	v_cmpx_gt_i64_e64 s[8:9], v[6:7]
	s_cbranch_execz .LBB32_6
; %bb.5:
	s_load_b64 s[4:5], s[0:1], 0x60
	s_mov_b32 s17, 0
	s_wait_kmcnt 0x0
	v_lshl_add_u64 v[4:5], v[6:7], 3, s[4:5]
	global_load_b64 v[4:5], v[4:5], off
	s_wait_loadcnt 0x0
	v_sub_nc_u64_e64 v[4:5], v[4:5], s[16:17]
.LBB32_6:
	s_or_b32 exec_lo, exec_lo, s3
	v_cmp_lt_i64_e64 s3, s[10:11], 1
	s_and_b32 vcc_lo, exec_lo, s3
	s_cbranch_vccnz .LBB32_63
; %bb.7:
	v_mbcnt_lo_u32_b32 v7, -1, 0
	v_dual_lshlrev_b32 v1, 6, v10 :: v_dual_lshlrev_b32 v8, 2, v10
	v_dual_mov_b32 v6, 0 :: v_dual_bitop2_b32 v0, 1, v0 bitop3:0x40
	s_delay_alu instid0(VALU_DEP_3) | instskip(NEXT) | instid1(VALU_DEP_3)
	v_xor_b32_e32 v12, 1, v7
	v_lshl_or_b32 v47, v46, 10, v1
	v_mul_u64_e32 v[26:27], s[12:13], v[10:11]
	s_delay_alu instid0(VALU_DEP_4)
	v_dual_mov_b32 v9, v6 :: v_dual_bitop2_b32 v28, 2, v0 bitop3:0x54
	v_mov_b32_e32 v29, v6
	v_cmp_gt_i32_e32 vcc_lo, 32, v12
	v_dual_mov_b32 v33, v6 :: v_dual_bitop2_b32 v32, 4, v0 bitop3:0x54
	v_dual_mov_b32 v35, v6 :: v_dual_bitop2_b32 v34, 6, v0 bitop3:0x54
	v_dual_cndmask_b32 v12, v7, v12 :: v_dual_mov_b32 v1, v6
	v_dual_mov_b32 v37, v6 :: v_dual_bitop2_b32 v36, 8, v0 bitop3:0x54
	v_dual_mov_b32 v39, v6 :: v_dual_bitop2_b32 v38, 10, v0 bitop3:0x54
	s_delay_alu instid0(VALU_DEP_3) | instskip(SKIP_2) | instid1(VALU_DEP_3)
	v_dual_lshlrev_b32 v49, 2, v12 :: v_dual_bitop2_b32 v12, 16, v7 bitop3:0x14
	v_dual_mov_b32 v41, v6 :: v_dual_bitop2_b32 v40, 12, v0 bitop3:0x54
	v_dual_mov_b32 v43, v6 :: v_dual_bitop2_b32 v42, 14, v0 bitop3:0x54
	v_cmp_gt_i32_e32 vcc_lo, 32, v12
	v_xor_b32_e32 v13, 8, v7
	v_mul_u64_e32 v[14:15], s[12:13], v[32:33]
	v_mul_u64_e32 v[16:17], s[12:13], v[34:35]
	;; [unrolled: 1-line block ×3, first 2 shown]
	v_cndmask_b32_e32 v44, v7, v12, vcc_lo
	v_cmp_gt_i32_e32 vcc_lo, 32, v13
	v_xor_b32_e32 v10, 4, v7
	v_mul_u64_e32 v[20:21], s[12:13], v[38:39]
	v_mul_u64_e32 v[22:23], s[12:13], v[40:41]
	;; [unrolled: 1-line block ×3, first 2 shown]
	v_cndmask_b32_e32 v45, v7, v13, vcc_lo
	v_cmp_gt_i32_e32 vcc_lo, 32, v10
	v_mul_u64_e32 v[12:13], s[12:13], v[28:29]
	s_clause 0x4
	s_load_b64 s[4:5], s[0:1], 0x58
	s_load_b64 s[8:9], s[0:1], 0x68
	;; [unrolled: 1-line block ×4, first 2 shown]
	s_load_b32 s3, s[0:1], 0x0
	v_lshl_or_b32 v50, v7, 2, 4
	s_wait_xcnt 0x0
	v_cmp_gt_u64_e64 s0, s[12:13], v[28:29]
	v_dual_cndmask_b32 v53, v7, v10, vcc_lo :: v_dual_bitop2_b32 v51, 2, v7 bitop3:0x14
	v_mul_u64_e32 v[10:11], s[12:13], v[0:1]
	v_cmp_gt_u64_e64 s1, s[12:13], v[32:33]
	v_cmp_gt_u64_e64 s6, s[12:13], v[40:41]
	;; [unrolled: 1-line block ×3, first 2 shown]
	v_cmp_gt_i32_e32 vcc_lo, 32, v51
	v_mov_b64_e32 v[32:33], 0
	v_lshl_or_b32 v48, v0, 2, v47
	v_dual_mov_b32 v56, 1 :: v_dual_lshlrev_b32 v53, 2, v53
	v_dual_cndmask_b32 v7, v7, v51, vcc_lo :: v_dual_lshlrev_b32 v51, 2, v44
	s_wait_kmcnt 0x0
	v_add_nc_u64_e32 v[8:9], s[4:5], v[8:9]
	v_lshl_add_u64 v[26:27], v[26:27], 2, s[4:5]
	v_cmp_gt_u64_e32 vcc_lo, s[12:13], v[0:1]
	v_cmp_gt_u64_e64 s4, s[12:13], v[36:37]
	s_cmp_lg_u32 s3, 0
	v_cmp_gt_u64_e64 s3, s[12:13], v[34:35]
	v_cmp_gt_u64_e64 s5, s[12:13], v[38:39]
	v_dual_lshlrev_b32 v52, 2, v45 :: v_dual_lshlrev_b32 v54, 2, v7
	v_mov_b32_e32 v55, 0x7c
	s_mov_b32 s25, 0
	s_mul_u64 s[22:23], s[12:13], s[12:13]
	s_mov_b32 s15, s25
	s_mov_b32 s17, s25
	s_cselect_b32 s26, -1, 0
	s_and_b32 s27, s2, vcc_lo
	s_and_b32 s28, s2, s0
	s_and_b32 s29, s2, s1
	;; [unrolled: 1-line block ×6, first 2 shown]
	s_mov_b64 s[4:5], 0xffffffff
	s_and_b32 s35, s2, s7
	s_ashr_i32 s2, s13, 31
	s_sub_co_i32 s36, 0, s12
	s_mov_b32 s37, 0
	s_branch .LBB32_10
.LBB32_8:                               ;   in Loop: Header=BB32_10 Depth=1
	s_wait_xcnt 0x0
	s_or_b32 exec_lo, exec_lo, s1
	v_mov_b64_e32 v[34:35], 1
.LBB32_9:                               ;   in Loop: Header=BB32_10 Depth=1
	s_or_b32 exec_lo, exec_lo, s0
	ds_bpermute_b32 v32, v51, v28
	ds_bpermute_b32 v33, v51, v29
	v_add_nc_u64_e32 v[4:5], v[34:35], v[4:5]
	s_wait_storecnt_dscnt 0x0
	v_min_i64 v[28:29], v[32:33], v[28:29]
	ds_bpermute_b32 v32, v52, v28
	ds_bpermute_b32 v33, v52, v29
	s_wait_dscnt 0x0
	v_min_i64 v[28:29], v[32:33], v[28:29]
	ds_bpermute_b32 v32, v53, v28
	ds_bpermute_b32 v33, v53, v29
	s_wait_dscnt 0x0
	;; [unrolled: 4-line block ×5, first 2 shown]
	v_cmp_le_i64_e32 vcc_lo, s[10:11], v[32:33]
	s_or_b32 s37, vcc_lo, s37
	s_delay_alu instid0(SALU_CYCLE_1)
	s_and_not1_b32 exec_lo, exec_lo, s37
	s_cbranch_execz .LBB32_63
.LBB32_10:                              ; =>This Loop Header: Depth=1
                                        ;     Child Loop BB32_13 Depth 2
	v_add_nc_u64_e32 v[30:31], v[30:31], v[0:1]
	v_mov_b64_e32 v[28:29], s[10:11]
	v_mov_b64_e32 v[44:45], v[2:3]
	s_mov_b32 s38, exec_lo
	ds_store_b8 v46, v6 offset:8192
	ds_store_2addr_b32 v48, v6, v6 offset1:2
	ds_store_2addr_b32 v48, v6, v6 offset0:4 offset1:6
	ds_store_2addr_b32 v48, v6, v6 offset0:8 offset1:10
	;; [unrolled: 1-line block ×3, first 2 shown]
	s_wait_dscnt 0x0
	v_cmpx_lt_i64_e64 v[30:31], v[2:3]
	s_cbranch_execz .LBB32_22
; %bb.11:                               ;   in Loop: Header=BB32_10 Depth=1
	v_mul_u64_e32 v[34:35], s[12:13], v[32:33]
	v_mov_b64_e32 v[28:29], s[10:11]
	v_mov_b64_e32 v[40:41], v[2:3]
	v_lshl_add_u64 v[36:37], v[30:31], 2, s[20:21]
	v_lshl_add_u64 v[38:39], v[30:31], 3, s[18:19]
	s_mov_b32 s39, 0
	s_branch .LBB32_13
.LBB32_12:                              ;   in Loop: Header=BB32_13 Depth=2
	s_wait_xcnt 0x0
	s_or_b32 exec_lo, exec_lo, s0
	v_add_nc_u64_e32 v[30:31], 2, v[30:31]
	s_xor_b32 s1, vcc_lo, -1
	v_add_nc_u64_e32 v[36:37], 8, v[36:37]
	v_add_nc_u64_e32 v[38:39], 16, v[38:39]
	v_mov_b64_e32 v[40:41], v[44:45]
	s_delay_alu instid0(VALU_DEP_4) | instskip(SKIP_1) | instid1(SALU_CYCLE_1)
	v_cmp_ge_i64_e64 s0, v[30:31], v[2:3]
	s_or_b32 s0, s1, s0
	s_and_b32 s0, exec_lo, s0
	s_delay_alu instid0(SALU_CYCLE_1) | instskip(NEXT) | instid1(SALU_CYCLE_1)
	s_or_b32 s39, s0, s39
	s_and_not1_b32 exec_lo, exec_lo, s39
	s_cbranch_execz .LBB32_21
.LBB32_13:                              ;   Parent Loop BB32_10 Depth=1
                                        ; =>  This Inner Loop Header: Depth=2
	global_load_b64 v[42:43], v[38:39], off
                                        ; implicit-def: $vgpr44_vgpr45
	s_mov_b32 s0, exec_lo
	s_wait_loadcnt 0x0
	v_sub_nc_u64_e64 v[42:43], v[42:43], s[14:15]
	s_delay_alu instid0(VALU_DEP_1) | instskip(SKIP_1) | instid1(VALU_DEP_1)
	v_or_b32_e32 v7, s13, v43
	s_wait_xcnt 0x0
	v_cmpx_ne_u64_e32 0, v[6:7]
	s_xor_b32 s40, exec_lo, s0
	s_cbranch_execz .LBB32_15
; %bb.14:                               ;   in Loop: Header=BB32_13 Depth=2
	s_mov_b32 s3, s2
	v_ashrrev_i32_e32 v44, 31, v43
	s_add_nc_u64 s[0:1], s[12:13], s[2:3]
	v_dual_mov_b32 v65, v6 :: v_dual_mov_b32 v61, v6
	s_xor_b64 s[6:7], s[0:1], s[2:3]
	s_delay_alu instid0(VALU_DEP_2) | instskip(SKIP_3) | instid1(VALU_DEP_1)
	v_mov_b32_e32 v45, v44
	s_cvt_f32_u32 s0, s6
	s_cvt_f32_u32 s1, s7
	s_sub_nc_u64 s[42:43], 0, s[6:7]
	v_add_nc_u64_e32 v[58:59], v[42:43], v[44:45]
	s_delay_alu instid0(SALU_CYCLE_1) | instskip(NEXT) | instid1(SALU_CYCLE_3)
	s_fmamk_f32 s0, s1, 0x4f800000, s0
	v_s_rcp_f32 s0, s0
	s_delay_alu instid0(VALU_DEP_1) | instskip(NEXT) | instid1(VALU_DEP_2)
	v_dual_mov_b32 v59, v6 :: v_dual_bitop2_b32 v60, v59, v44 bitop3:0x14
	v_xor_b32_e32 v58, v58, v44
	v_xor_b32_e32 v44, s2, v44
	s_delay_alu instid0(TRANS32_DEP_1) | instskip(NEXT) | instid1(SALU_CYCLE_3)
	s_mul_f32 s0, s0, 0x5f7ffffc
	s_mul_f32 s1, s0, 0x2f800000
	s_delay_alu instid0(SALU_CYCLE_3) | instskip(NEXT) | instid1(SALU_CYCLE_3)
	s_trunc_f32 s1, s1
	s_fmamk_f32 s0, s1, 0xcf800000, s0
	s_cvt_u32_f32 s1, s1
	s_delay_alu instid0(SALU_CYCLE_2) | instskip(NEXT) | instid1(SALU_CYCLE_3)
	s_cvt_u32_f32 s0, s0
	s_mul_u64 s[44:45], s[42:43], s[0:1]
	s_delay_alu instid0(SALU_CYCLE_1)
	s_mul_hi_u32 s47, s0, s45
	s_mul_i32 s46, s0, s45
	s_mul_hi_u32 s24, s0, s44
	s_mul_hi_u32 s3, s1, s44
	s_add_nc_u64 s[46:47], s[24:25], s[46:47]
	s_mul_i32 s24, s1, s44
	s_mul_hi_u32 s41, s1, s45
	s_add_co_u32 s24, s46, s24
	s_add_co_ci_u32 s24, s47, s3
	s_add_co_ci_u32 s47, s41, 0
	s_mul_i32 s46, s1, s45
	s_delay_alu instid0(SALU_CYCLE_1) | instskip(NEXT) | instid1(SALU_CYCLE_1)
	s_add_nc_u64 s[44:45], s[24:25], s[46:47]
	s_add_co_u32 s0, s0, s44
	s_cselect_b32 s3, -1, 0
	s_delay_alu instid0(SALU_CYCLE_1) | instskip(SKIP_1) | instid1(SALU_CYCLE_1)
	s_cmp_lg_u32 s3, 0
	s_add_co_ci_u32 s1, s1, s45
	s_mul_u64 s[42:43], s[42:43], s[0:1]
	s_delay_alu instid0(SALU_CYCLE_1)
	s_mul_hi_u32 s45, s0, s43
	s_mul_i32 s44, s0, s43
	s_mul_hi_u32 s24, s0, s42
	s_mul_i32 s41, s1, s42
	s_add_nc_u64 s[44:45], s[24:25], s[44:45]
	s_mul_hi_u32 s3, s1, s42
	s_mul_hi_u32 s46, s1, s43
	s_add_co_u32 s24, s44, s41
	s_add_co_ci_u32 s24, s45, s3
	s_add_co_ci_u32 s45, s46, 0
	s_mul_i32 s44, s1, s43
	s_delay_alu instid0(SALU_CYCLE_1) | instskip(NEXT) | instid1(SALU_CYCLE_1)
	s_add_nc_u64 s[42:43], s[24:25], s[44:45]
	s_add_co_u32 s0, s0, s42
	s_cselect_b32 s3, -1, 0
	v_mul_hi_u32 v64, v58, s0
	s_cmp_lg_u32 s3, 0
	s_add_co_ci_u32 s24, s1, s43
	s_and_b64 s[0:1], s[0:1], s[4:5]
	v_mul_u64_e32 v[62:63], s[24:25], v[58:59]
	v_mul_u64_e32 v[66:67], s[0:1], v[60:61]
	s_delay_alu instid0(VALU_DEP_2) | instskip(SKIP_1) | instid1(VALU_DEP_2)
	v_add_nc_u64_e32 v[62:63], v[64:65], v[62:63]
	v_mul_u64_e32 v[64:65], s[24:25], v[60:61]
	v_add_co_u32 v7, vcc_lo, v62, v66
	s_delay_alu instid0(VALU_DEP_3) | instskip(SKIP_1) | instid1(VALU_DEP_4)
	v_add_co_ci_u32_e32 v62, vcc_lo, v63, v67, vcc_lo
	v_mov_b32_e32 v63, v6
	v_add_co_ci_u32_e32 v65, vcc_lo, 0, v65, vcc_lo
	s_delay_alu instid0(VALU_DEP_1) | instskip(NEXT) | instid1(VALU_DEP_1)
	v_add_nc_u64_e32 v[62:63], v[62:63], v[64:65]
	v_mul_u64_e32 v[64:65], s[6:7], v[62:63]
	v_add_nc_u64_e32 v[66:67], 1, v[62:63]
	s_delay_alu instid0(VALU_DEP_2) | instskip(NEXT) | instid1(VALU_DEP_3)
	v_sub_nc_u32_e32 v35, v60, v65
	v_sub_co_u32 v7, vcc_lo, v58, v64
	v_add_nc_u64_e32 v[58:59], 2, v[62:63]
	s_delay_alu instid0(VALU_DEP_3) | instskip(NEXT) | instid1(VALU_DEP_3)
	v_subrev_co_ci_u32_e64 v35, null, s7, v35, vcc_lo
	v_sub_co_u32 v43, s0, v7, s6
	s_delay_alu instid0(VALU_DEP_1) | instskip(NEXT) | instid1(VALU_DEP_2)
	v_subrev_co_ci_u32_e64 v35, null, 0, v35, s0
	v_cmp_le_u32_e64 s1, s6, v43
	v_sub_co_ci_u32_e64 v43, null, v60, v65, vcc_lo
	s_delay_alu instid0(VALU_DEP_3) | instskip(NEXT) | instid1(VALU_DEP_2)
	v_cmp_le_u32_e64 s0, s7, v35
	v_cmp_le_u32_e32 vcc_lo, s7, v43
	s_delay_alu instid0(VALU_DEP_2) | instskip(SKIP_3) | instid1(VALU_DEP_2)
	v_cndmask_b32_e64 v45, 0, -1, s0
	v_cmp_eq_u32_e64 s0, s7, v35
	v_cndmask_b32_e64 v35, 0, -1, s1
	v_cmp_le_u32_e64 s1, s6, v7
	v_cndmask_b32_e64 v35, v45, v35, s0
	v_cndmask_b32_e64 v45, 0, -1, vcc_lo
	v_cmp_eq_u32_e32 vcc_lo, s7, v43
	s_delay_alu instid0(VALU_DEP_4) | instskip(NEXT) | instid1(VALU_DEP_4)
	v_cndmask_b32_e64 v7, 0, -1, s1
	v_cmp_ne_u32_e64 s0, 0, v35
	s_delay_alu instid0(VALU_DEP_2) | instskip(NEXT) | instid1(VALU_DEP_2)
	v_cndmask_b32_e32 v7, v45, v7, vcc_lo
	v_cndmask_b32_e64 v35, v67, v59, s0
	s_delay_alu instid0(VALU_DEP_2) | instskip(NEXT) | instid1(VALU_DEP_2)
	v_cmp_ne_u32_e32 vcc_lo, 0, v7
	v_dual_cndmask_b32 v7, v63, v35, vcc_lo :: v_dual_cndmask_b32 v35, v66, v58, s0
	s_delay_alu instid0(VALU_DEP_1) | instskip(NEXT) | instid1(VALU_DEP_2)
	v_dual_cndmask_b32 v35, v62, v35, vcc_lo :: v_dual_mov_b32 v45, v44
	v_xor_b32_e32 v59, v7, v44
	s_delay_alu instid0(VALU_DEP_2) | instskip(NEXT) | instid1(VALU_DEP_1)
	v_xor_b32_e32 v58, v35, v44
	v_sub_nc_u64_e32 v[44:45], v[58:59], v[44:45]
.LBB32_15:                              ;   in Loop: Header=BB32_13 Depth=2
	s_and_not1_saveexec_b32 s0, s40
	s_cbranch_execz .LBB32_17
; %bb.16:                               ;   in Loop: Header=BB32_13 Depth=2
	v_cvt_f32_u32_e32 v7, s12
	v_mov_b32_e32 v45, v6
	s_delay_alu instid0(VALU_DEP_2) | instskip(SKIP_1) | instid1(TRANS32_DEP_1)
	v_rcp_iflag_f32_e32 v7, v7
	v_nop
	v_mul_f32_e32 v7, 0x4f7ffffe, v7
	s_delay_alu instid0(VALU_DEP_1) | instskip(NEXT) | instid1(VALU_DEP_1)
	v_cvt_u32_f32_e32 v7, v7
	v_mul_lo_u32 v35, s36, v7
	s_delay_alu instid0(VALU_DEP_1) | instskip(NEXT) | instid1(VALU_DEP_1)
	v_mul_hi_u32 v35, v7, v35
	v_add_nc_u32_e32 v7, v7, v35
	s_delay_alu instid0(VALU_DEP_1) | instskip(NEXT) | instid1(VALU_DEP_1)
	v_mul_hi_u32 v7, v42, v7
	v_mul_lo_u32 v35, v7, s12
	s_delay_alu instid0(VALU_DEP_1) | instskip(NEXT) | instid1(VALU_DEP_1)
	v_sub_nc_u32_e32 v35, v42, v35
	v_subrev_nc_u32_e32 v44, s12, v35
	v_cmp_le_u32_e32 vcc_lo, s12, v35
	s_delay_alu instid0(VALU_DEP_2) | instskip(NEXT) | instid1(VALU_DEP_1)
	v_dual_add_nc_u32 v43, 1, v7 :: v_dual_cndmask_b32 v35, v35, v44, vcc_lo
	v_cndmask_b32_e32 v7, v7, v43, vcc_lo
	s_delay_alu instid0(VALU_DEP_2) | instskip(NEXT) | instid1(VALU_DEP_2)
	v_cmp_le_u32_e32 vcc_lo, s12, v35
	v_add_nc_u32_e32 v43, 1, v7
	s_delay_alu instid0(VALU_DEP_1)
	v_cndmask_b32_e32 v44, v7, v43, vcc_lo
.LBB32_17:                              ;   in Loop: Header=BB32_13 Depth=2
	s_or_b32 exec_lo, exec_lo, s0
	s_delay_alu instid0(VALU_DEP_1) | instskip(SKIP_2) | instid1(SALU_CYCLE_1)
	v_cmp_ne_u64_e64 s0, v[44:45], v[32:33]
	v_cmp_eq_u64_e32 vcc_lo, v[44:45], v[32:33]
	s_and_saveexec_b32 s1, s0
	s_xor_b32 s0, exec_lo, s1
; %bb.18:                               ;   in Loop: Header=BB32_13 Depth=2
	v_min_i64 v[28:29], v[44:45], v[28:29]
                                        ; implicit-def: $vgpr42_vgpr43
                                        ; implicit-def: $vgpr40_vgpr41
; %bb.19:                               ;   in Loop: Header=BB32_13 Depth=2
	s_or_saveexec_b32 s0, s0
	v_mov_b64_e32 v[44:45], v[30:31]
	s_xor_b32 exec_lo, exec_lo, s0
	s_cbranch_execz .LBB32_12
; %bb.20:                               ;   in Loop: Header=BB32_13 Depth=2
	global_load_b32 v7, v[36:37], off
	v_sub_nc_u32_e32 v35, v42, v34
	v_mov_b64_e32 v[44:45], v[40:41]
	s_delay_alu instid0(VALU_DEP_2)
	v_lshl_add_u32 v35, v35, 2, v47
	ds_store_b8 v46, v56 offset:8192
	s_wait_loadcnt 0x0
	ds_store_b32 v35, v7
	s_branch .LBB32_12
.LBB32_21:                              ;   in Loop: Header=BB32_10 Depth=1
	s_or_b32 exec_lo, exec_lo, s39
.LBB32_22:                              ;   in Loop: Header=BB32_10 Depth=1
	s_delay_alu instid0(SALU_CYCLE_1)
	s_or_b32 exec_lo, exec_lo, s38
	ds_bpermute_b32 v30, v49, v44
	ds_bpermute_b32 v31, v49, v45
	s_wait_dscnt 0x0
	ds_load_u8 v7, v46 offset:8192
	v_mov_b64_e32 v[34:35], 0
	s_mov_b32 s0, exec_lo
	v_min_i64 v[30:31], v[30:31], v[44:45]
	s_wait_dscnt 0x0
	v_and_b32_e32 v7, 1, v7
	ds_bpermute_b32 v30, v50, v30
	ds_bpermute_b32 v31, v50, v31
	v_cmpx_eq_u32_e32 1, v7
	s_cbranch_execz .LBB32_9
; %bb.23:                               ;   in Loop: Header=BB32_10 Depth=1
	v_mul_u64_e32 v[34:35], s[22:23], v[4:5]
	v_add_nc_u64_e32 v[38:39], s[16:17], v[32:33]
	s_delay_alu instid0(VALU_DEP_2) | instskip(NEXT) | instid1(VALU_DEP_1)
	v_lshlrev_b64_e32 v[36:37], 2, v[34:35]
	v_add_nc_u64_e32 v[34:35], v[8:9], v[36:37]
	v_add_nc_u64_e32 v[32:33], v[26:27], v[36:37]
	v_lshl_add_u64 v[36:37], v[4:5], 3, s[8:9]
	global_store_b64 v[36:37], v[38:39], off
	s_wait_xcnt 0x0
	s_and_saveexec_b32 s1, s27
	s_cbranch_execz .LBB32_27
; %bb.24:                               ;   in Loop: Header=BB32_10 Depth=1
	ds_load_b32 v7, v48
	s_and_b32 vcc_lo, exec_lo, s26
	s_cbranch_vccz .LBB32_54
; %bb.25:                               ;   in Loop: Header=BB32_10 Depth=1
	v_lshl_add_u64 v[36:37], v[10:11], 2, v[34:35]
	s_wait_dscnt 0x0
	global_store_b32 v[36:37], v7, off
	s_cbranch_execnz .LBB32_27
.LBB32_26:                              ;   in Loop: Header=BB32_10 Depth=1
	s_wait_xcnt 0x0
	v_dual_mov_b32 v37, v6 :: v_dual_lshlrev_b32 v36, 2, v0
	s_delay_alu instid0(VALU_DEP_1)
	v_add_nc_u64_e32 v[36:37], v[32:33], v[36:37]
	s_wait_dscnt 0x0
	global_store_b32 v[36:37], v7, off
.LBB32_27:                              ;   in Loop: Header=BB32_10 Depth=1
	s_wait_xcnt 0x0
	s_or_b32 exec_lo, exec_lo, s1
	s_and_saveexec_b32 s1, s28
	s_cbranch_execz .LBB32_31
; %bb.28:                               ;   in Loop: Header=BB32_10 Depth=1
	s_and_not1_b32 vcc_lo, exec_lo, s26
	s_cbranch_vccnz .LBB32_55
; %bb.29:                               ;   in Loop: Header=BB32_10 Depth=1
	s_wait_dscnt 0x0
	ds_load_b32 v7, v48 offset:8
	v_lshl_add_u64 v[36:37], v[12:13], 2, v[34:35]
	s_wait_dscnt 0x0
	global_store_b32 v[36:37], v7, off
	s_cbranch_execnz .LBB32_31
.LBB32_30:                              ;   in Loop: Header=BB32_10 Depth=1
	s_wait_dscnt 0x0
	s_wait_xcnt 0x0
	ds_load_b32 v7, v48 offset:8
	v_dual_mov_b32 v37, v6 :: v_dual_lshlrev_b32 v36, 2, v0
	s_delay_alu instid0(VALU_DEP_1)
	v_add_nc_u64_e32 v[36:37], v[32:33], v[36:37]
	s_wait_dscnt 0x0
	global_store_b32 v[36:37], v7, off offset:8
.LBB32_31:                              ;   in Loop: Header=BB32_10 Depth=1
	s_wait_xcnt 0x0
	s_or_b32 exec_lo, exec_lo, s1
	s_and_saveexec_b32 s1, s29
	s_cbranch_execz .LBB32_35
; %bb.32:                               ;   in Loop: Header=BB32_10 Depth=1
	s_and_not1_b32 vcc_lo, exec_lo, s26
	s_cbranch_vccnz .LBB32_56
; %bb.33:                               ;   in Loop: Header=BB32_10 Depth=1
	s_wait_dscnt 0x0
	ds_load_b32 v7, v48 offset:16
	v_lshl_add_u64 v[36:37], v[14:15], 2, v[34:35]
	s_wait_dscnt 0x0
	global_store_b32 v[36:37], v7, off
	s_cbranch_execnz .LBB32_35
.LBB32_34:                              ;   in Loop: Header=BB32_10 Depth=1
	s_wait_dscnt 0x0
	s_wait_xcnt 0x0
	ds_load_b32 v7, v48 offset:16
	v_dual_mov_b32 v37, v6 :: v_dual_lshlrev_b32 v36, 2, v0
	s_delay_alu instid0(VALU_DEP_1)
	v_add_nc_u64_e32 v[36:37], v[32:33], v[36:37]
	s_wait_dscnt 0x0
	global_store_b32 v[36:37], v7, off offset:16
.LBB32_35:                              ;   in Loop: Header=BB32_10 Depth=1
	s_wait_xcnt 0x0
	s_or_b32 exec_lo, exec_lo, s1
	s_and_saveexec_b32 s1, s30
	s_cbranch_execz .LBB32_39
; %bb.36:                               ;   in Loop: Header=BB32_10 Depth=1
	s_and_not1_b32 vcc_lo, exec_lo, s26
	s_cbranch_vccnz .LBB32_57
; %bb.37:                               ;   in Loop: Header=BB32_10 Depth=1
	s_wait_dscnt 0x0
	ds_load_b32 v7, v48 offset:24
	v_lshl_add_u64 v[36:37], v[16:17], 2, v[34:35]
	s_wait_dscnt 0x0
	global_store_b32 v[36:37], v7, off
	s_cbranch_execnz .LBB32_39
.LBB32_38:                              ;   in Loop: Header=BB32_10 Depth=1
	s_wait_dscnt 0x0
	s_wait_xcnt 0x0
	ds_load_b32 v7, v48 offset:24
	v_dual_mov_b32 v37, v6 :: v_dual_lshlrev_b32 v36, 2, v0
	s_delay_alu instid0(VALU_DEP_1)
	v_add_nc_u64_e32 v[36:37], v[32:33], v[36:37]
	s_wait_dscnt 0x0
	global_store_b32 v[36:37], v7, off offset:24
.LBB32_39:                              ;   in Loop: Header=BB32_10 Depth=1
	s_wait_xcnt 0x0
	s_or_b32 exec_lo, exec_lo, s1
	s_and_saveexec_b32 s1, s31
	s_cbranch_execz .LBB32_43
; %bb.40:                               ;   in Loop: Header=BB32_10 Depth=1
	s_and_not1_b32 vcc_lo, exec_lo, s26
	s_cbranch_vccnz .LBB32_58
; %bb.41:                               ;   in Loop: Header=BB32_10 Depth=1
	s_wait_dscnt 0x0
	ds_load_b32 v7, v48 offset:32
	v_lshl_add_u64 v[36:37], v[18:19], 2, v[34:35]
	s_wait_dscnt 0x0
	global_store_b32 v[36:37], v7, off
	s_cbranch_execnz .LBB32_43
.LBB32_42:                              ;   in Loop: Header=BB32_10 Depth=1
	s_wait_dscnt 0x0
	s_wait_xcnt 0x0
	ds_load_b32 v7, v48 offset:32
	v_dual_mov_b32 v37, v6 :: v_dual_lshlrev_b32 v36, 2, v0
	s_delay_alu instid0(VALU_DEP_1)
	v_add_nc_u64_e32 v[36:37], v[32:33], v[36:37]
	s_wait_dscnt 0x0
	global_store_b32 v[36:37], v7, off offset:32
.LBB32_43:                              ;   in Loop: Header=BB32_10 Depth=1
	s_wait_xcnt 0x0
	s_or_b32 exec_lo, exec_lo, s1
	s_and_saveexec_b32 s1, s33
	s_cbranch_execz .LBB32_47
; %bb.44:                               ;   in Loop: Header=BB32_10 Depth=1
	s_and_not1_b32 vcc_lo, exec_lo, s26
	s_cbranch_vccnz .LBB32_59
; %bb.45:                               ;   in Loop: Header=BB32_10 Depth=1
	s_wait_dscnt 0x0
	ds_load_b32 v7, v48 offset:40
	v_lshl_add_u64 v[36:37], v[20:21], 2, v[34:35]
	s_wait_dscnt 0x0
	global_store_b32 v[36:37], v7, off
	s_cbranch_execnz .LBB32_47
.LBB32_46:                              ;   in Loop: Header=BB32_10 Depth=1
	s_wait_dscnt 0x0
	s_wait_xcnt 0x0
	ds_load_b32 v7, v48 offset:40
	v_dual_mov_b32 v37, v6 :: v_dual_lshlrev_b32 v36, 2, v0
	s_delay_alu instid0(VALU_DEP_1)
	v_add_nc_u64_e32 v[36:37], v[32:33], v[36:37]
	s_wait_dscnt 0x0
	global_store_b32 v[36:37], v7, off offset:40
.LBB32_47:                              ;   in Loop: Header=BB32_10 Depth=1
	s_wait_xcnt 0x0
	s_or_b32 exec_lo, exec_lo, s1
	s_and_saveexec_b32 s1, s34
	s_cbranch_execz .LBB32_51
; %bb.48:                               ;   in Loop: Header=BB32_10 Depth=1
	s_and_not1_b32 vcc_lo, exec_lo, s26
	s_cbranch_vccnz .LBB32_60
; %bb.49:                               ;   in Loop: Header=BB32_10 Depth=1
	s_wait_dscnt 0x0
	ds_load_b32 v7, v48 offset:48
	v_lshl_add_u64 v[36:37], v[22:23], 2, v[34:35]
	s_wait_dscnt 0x0
	global_store_b32 v[36:37], v7, off
	s_cbranch_execnz .LBB32_51
.LBB32_50:                              ;   in Loop: Header=BB32_10 Depth=1
	s_wait_dscnt 0x0
	s_wait_xcnt 0x0
	ds_load_b32 v7, v48 offset:48
	v_dual_mov_b32 v37, v6 :: v_dual_lshlrev_b32 v36, 2, v0
	s_delay_alu instid0(VALU_DEP_1)
	v_add_nc_u64_e32 v[36:37], v[32:33], v[36:37]
	s_wait_dscnt 0x0
	global_store_b32 v[36:37], v7, off offset:48
.LBB32_51:                              ;   in Loop: Header=BB32_10 Depth=1
	s_wait_xcnt 0x0
	s_or_b32 exec_lo, exec_lo, s1
	s_and_saveexec_b32 s1, s35
	s_cbranch_execz .LBB32_8
; %bb.52:                               ;   in Loop: Header=BB32_10 Depth=1
	s_and_not1_b32 vcc_lo, exec_lo, s26
	s_cbranch_vccnz .LBB32_61
; %bb.53:                               ;   in Loop: Header=BB32_10 Depth=1
	s_wait_dscnt 0x0
	ds_load_b32 v7, v48 offset:56
	v_lshl_add_u64 v[34:35], v[24:25], 2, v[34:35]
	s_wait_dscnt 0x0
	global_store_b32 v[34:35], v7, off
	s_cbranch_execnz .LBB32_8
	s_branch .LBB32_62
.LBB32_54:                              ;   in Loop: Header=BB32_10 Depth=1
	s_branch .LBB32_26
.LBB32_55:                              ;   in Loop: Header=BB32_10 Depth=1
	s_branch .LBB32_30
.LBB32_56:                              ;   in Loop: Header=BB32_10 Depth=1
	s_branch .LBB32_34
.LBB32_57:                              ;   in Loop: Header=BB32_10 Depth=1
	s_branch .LBB32_38
.LBB32_58:                              ;   in Loop: Header=BB32_10 Depth=1
	s_branch .LBB32_42
.LBB32_59:                              ;   in Loop: Header=BB32_10 Depth=1
	s_branch .LBB32_46
.LBB32_60:                              ;   in Loop: Header=BB32_10 Depth=1
	s_branch .LBB32_50
.LBB32_61:                              ;   in Loop: Header=BB32_10 Depth=1
.LBB32_62:                              ;   in Loop: Header=BB32_10 Depth=1
	s_wait_dscnt 0x0
	s_wait_xcnt 0x0
	ds_load_b32 v7, v48 offset:56
	v_dual_mov_b32 v35, v6 :: v_dual_lshlrev_b32 v34, 2, v0
	s_delay_alu instid0(VALU_DEP_1)
	v_add_nc_u64_e32 v[32:33], v[32:33], v[34:35]
	s_wait_dscnt 0x0
	global_store_b32 v[32:33], v7, off offset:56
	s_branch .LBB32_8
.LBB32_63:
	s_endpgm
	.section	.rodata,"a",@progbits
	.p2align	6, 0x0
	.amdhsa_kernel _ZN9rocsparseL42csr2bsr_wavefront_per_row_multipass_kernelILj256ELj32ELj16EillEEv20rocsparse_direction_T4_S2_S2_S2_S2_21rocsparse_index_base_PKT2_PKT3_PKS2_S3_PS4_PS7_PS2_
		.amdhsa_group_segment_fixed_size 8200
		.amdhsa_private_segment_fixed_size 0
		.amdhsa_kernarg_size 112
		.amdhsa_user_sgpr_count 2
		.amdhsa_user_sgpr_dispatch_ptr 0
		.amdhsa_user_sgpr_queue_ptr 0
		.amdhsa_user_sgpr_kernarg_segment_ptr 1
		.amdhsa_user_sgpr_dispatch_id 0
		.amdhsa_user_sgpr_kernarg_preload_length 0
		.amdhsa_user_sgpr_kernarg_preload_offset 0
		.amdhsa_user_sgpr_private_segment_size 0
		.amdhsa_wavefront_size32 1
		.amdhsa_uses_dynamic_stack 0
		.amdhsa_enable_private_segment 0
		.amdhsa_system_sgpr_workgroup_id_x 1
		.amdhsa_system_sgpr_workgroup_id_y 0
		.amdhsa_system_sgpr_workgroup_id_z 0
		.amdhsa_system_sgpr_workgroup_info 0
		.amdhsa_system_vgpr_workitem_id 0
		.amdhsa_next_free_vgpr 68
		.amdhsa_next_free_sgpr 48
		.amdhsa_named_barrier_count 0
		.amdhsa_reserve_vcc 1
		.amdhsa_float_round_mode_32 0
		.amdhsa_float_round_mode_16_64 0
		.amdhsa_float_denorm_mode_32 3
		.amdhsa_float_denorm_mode_16_64 3
		.amdhsa_fp16_overflow 0
		.amdhsa_memory_ordered 1
		.amdhsa_forward_progress 1
		.amdhsa_inst_pref_size 26
		.amdhsa_round_robin_scheduling 0
		.amdhsa_exception_fp_ieee_invalid_op 0
		.amdhsa_exception_fp_denorm_src 0
		.amdhsa_exception_fp_ieee_div_zero 0
		.amdhsa_exception_fp_ieee_overflow 0
		.amdhsa_exception_fp_ieee_underflow 0
		.amdhsa_exception_fp_ieee_inexact 0
		.amdhsa_exception_int_div_zero 0
	.end_amdhsa_kernel
	.section	.text._ZN9rocsparseL42csr2bsr_wavefront_per_row_multipass_kernelILj256ELj32ELj16EillEEv20rocsparse_direction_T4_S2_S2_S2_S2_21rocsparse_index_base_PKT2_PKT3_PKS2_S3_PS4_PS7_PS2_,"axG",@progbits,_ZN9rocsparseL42csr2bsr_wavefront_per_row_multipass_kernelILj256ELj32ELj16EillEEv20rocsparse_direction_T4_S2_S2_S2_S2_21rocsparse_index_base_PKT2_PKT3_PKS2_S3_PS4_PS7_PS2_,comdat
.Lfunc_end32:
	.size	_ZN9rocsparseL42csr2bsr_wavefront_per_row_multipass_kernelILj256ELj32ELj16EillEEv20rocsparse_direction_T4_S2_S2_S2_S2_21rocsparse_index_base_PKT2_PKT3_PKS2_S3_PS4_PS7_PS2_, .Lfunc_end32-_ZN9rocsparseL42csr2bsr_wavefront_per_row_multipass_kernelILj256ELj32ELj16EillEEv20rocsparse_direction_T4_S2_S2_S2_S2_21rocsparse_index_base_PKT2_PKT3_PKS2_S3_PS4_PS7_PS2_
                                        ; -- End function
	.set _ZN9rocsparseL42csr2bsr_wavefront_per_row_multipass_kernelILj256ELj32ELj16EillEEv20rocsparse_direction_T4_S2_S2_S2_S2_21rocsparse_index_base_PKT2_PKT3_PKS2_S3_PS4_PS7_PS2_.num_vgpr, 68
	.set _ZN9rocsparseL42csr2bsr_wavefront_per_row_multipass_kernelILj256ELj32ELj16EillEEv20rocsparse_direction_T4_S2_S2_S2_S2_21rocsparse_index_base_PKT2_PKT3_PKS2_S3_PS4_PS7_PS2_.num_agpr, 0
	.set _ZN9rocsparseL42csr2bsr_wavefront_per_row_multipass_kernelILj256ELj32ELj16EillEEv20rocsparse_direction_T4_S2_S2_S2_S2_21rocsparse_index_base_PKT2_PKT3_PKS2_S3_PS4_PS7_PS2_.numbered_sgpr, 48
	.set _ZN9rocsparseL42csr2bsr_wavefront_per_row_multipass_kernelILj256ELj32ELj16EillEEv20rocsparse_direction_T4_S2_S2_S2_S2_21rocsparse_index_base_PKT2_PKT3_PKS2_S3_PS4_PS7_PS2_.num_named_barrier, 0
	.set _ZN9rocsparseL42csr2bsr_wavefront_per_row_multipass_kernelILj256ELj32ELj16EillEEv20rocsparse_direction_T4_S2_S2_S2_S2_21rocsparse_index_base_PKT2_PKT3_PKS2_S3_PS4_PS7_PS2_.private_seg_size, 0
	.set _ZN9rocsparseL42csr2bsr_wavefront_per_row_multipass_kernelILj256ELj32ELj16EillEEv20rocsparse_direction_T4_S2_S2_S2_S2_21rocsparse_index_base_PKT2_PKT3_PKS2_S3_PS4_PS7_PS2_.uses_vcc, 1
	.set _ZN9rocsparseL42csr2bsr_wavefront_per_row_multipass_kernelILj256ELj32ELj16EillEEv20rocsparse_direction_T4_S2_S2_S2_S2_21rocsparse_index_base_PKT2_PKT3_PKS2_S3_PS4_PS7_PS2_.uses_flat_scratch, 0
	.set _ZN9rocsparseL42csr2bsr_wavefront_per_row_multipass_kernelILj256ELj32ELj16EillEEv20rocsparse_direction_T4_S2_S2_S2_S2_21rocsparse_index_base_PKT2_PKT3_PKS2_S3_PS4_PS7_PS2_.has_dyn_sized_stack, 0
	.set _ZN9rocsparseL42csr2bsr_wavefront_per_row_multipass_kernelILj256ELj32ELj16EillEEv20rocsparse_direction_T4_S2_S2_S2_S2_21rocsparse_index_base_PKT2_PKT3_PKS2_S3_PS4_PS7_PS2_.has_recursion, 0
	.set _ZN9rocsparseL42csr2bsr_wavefront_per_row_multipass_kernelILj256ELj32ELj16EillEEv20rocsparse_direction_T4_S2_S2_S2_S2_21rocsparse_index_base_PKT2_PKT3_PKS2_S3_PS4_PS7_PS2_.has_indirect_call, 0
	.section	.AMDGPU.csdata,"",@progbits
; Kernel info:
; codeLenInByte = 3208
; TotalNumSgprs: 50
; NumVgprs: 68
; ScratchSize: 0
; MemoryBound: 0
; FloatMode: 240
; IeeeMode: 1
; LDSByteSize: 8200 bytes/workgroup (compile time only)
; SGPRBlocks: 0
; VGPRBlocks: 4
; NumSGPRsForWavesPerEU: 50
; NumVGPRsForWavesPerEU: 68
; NamedBarCnt: 0
; Occupancy: 12
; WaveLimiterHint : 0
; COMPUTE_PGM_RSRC2:SCRATCH_EN: 0
; COMPUTE_PGM_RSRC2:USER_SGPR: 2
; COMPUTE_PGM_RSRC2:TRAP_HANDLER: 0
; COMPUTE_PGM_RSRC2:TGID_X_EN: 1
; COMPUTE_PGM_RSRC2:TGID_Y_EN: 0
; COMPUTE_PGM_RSRC2:TGID_Z_EN: 0
; COMPUTE_PGM_RSRC2:TIDIG_COMP_CNT: 0
	.section	.text._ZN9rocsparseL38csr2bsr_block_per_row_multipass_kernelILj256ELj32EillEEv20rocsparse_direction_T3_S2_S2_S2_S2_21rocsparse_index_base_PKT1_PKT2_PKS2_S3_PS4_PS7_PS2_,"axG",@progbits,_ZN9rocsparseL38csr2bsr_block_per_row_multipass_kernelILj256ELj32EillEEv20rocsparse_direction_T3_S2_S2_S2_S2_21rocsparse_index_base_PKT1_PKT2_PKS2_S3_PS4_PS7_PS2_,comdat
	.globl	_ZN9rocsparseL38csr2bsr_block_per_row_multipass_kernelILj256ELj32EillEEv20rocsparse_direction_T3_S2_S2_S2_S2_21rocsparse_index_base_PKT1_PKT2_PKS2_S3_PS4_PS7_PS2_ ; -- Begin function _ZN9rocsparseL38csr2bsr_block_per_row_multipass_kernelILj256ELj32EillEEv20rocsparse_direction_T3_S2_S2_S2_S2_21rocsparse_index_base_PKT1_PKT2_PKS2_S3_PS4_PS7_PS2_
	.p2align	8
	.type	_ZN9rocsparseL38csr2bsr_block_per_row_multipass_kernelILj256ELj32EillEEv20rocsparse_direction_T3_S2_S2_S2_S2_21rocsparse_index_base_PKT1_PKT2_PKS2_S3_PS4_PS7_PS2_,@function
_ZN9rocsparseL38csr2bsr_block_per_row_multipass_kernelILj256ELj32EillEEv20rocsparse_direction_T3_S2_S2_S2_S2_21rocsparse_index_base_PKT1_PKT2_PKS2_S3_PS4_PS7_PS2_: ; @_ZN9rocsparseL38csr2bsr_block_per_row_multipass_kernelILj256ELj32EillEEv20rocsparse_direction_T3_S2_S2_S2_S2_21rocsparse_index_base_PKT1_PKT2_PKS2_S3_PS4_PS7_PS2_
; %bb.0:
	s_clause 0x1
	s_load_b128 s[12:15], s[0:1], 0x20
	s_load_b64 s[6:7], s[0:1], 0x8
	s_bfe_u32 s3, ttmp6, 0x4000c
	s_and_b32 s2, ttmp6, 15
	s_add_co_i32 s3, s3, 1
	s_getreg_b32 s4, hwreg(HW_REG_IB_STS2, 6, 4)
	s_mul_i32 s3, ttmp9, s3
	v_dual_mov_b32 v9, 0 :: v_dual_lshrrev_b32 v8, 3, v0
	s_add_co_i32 s2, s2, s3
	s_cmp_eq_u32 s4, 0
	s_clause 0x1
	s_load_b32 s20, s[0:1], 0x30
	s_load_b64 s[4:5], s[0:1], 0x40
	s_cselect_b32 s2, ttmp9, s2
	v_mov_b64_e32 v[2:3], 0
	s_ashr_i32 s3, s2, 31
	v_mov_b64_e32 v[20:21], 0
	s_mov_b32 s21, 0
	s_wait_kmcnt 0x0
	v_mad_nc_u64_u32 v[4:5], s14, s2, v[8:9]
	s_mul_i32 s8, s14, s3
	s_mul_i32 s9, s15, s2
	s_delay_alu instid0(VALU_DEP_1) | instid1(SALU_CYCLE_1)
	v_add3_u32 v5, s8, s9, v5
	v_cmp_gt_i64_e64 s8, s[14:15], v[8:9]
	s_delay_alu instid0(VALU_DEP_2) | instskip(SKIP_1) | instid1(SALU_CYCLE_1)
	v_cmp_gt_i64_e32 vcc_lo, s[6:7], v[4:5]
	s_and_b32 s6, s8, vcc_lo
	s_and_saveexec_b32 s7, s6
	s_cbranch_execnz .LBB33_3
; %bb.1:
	s_or_b32 exec_lo, exec_lo, s7
	s_and_saveexec_b32 s7, s6
	s_cbranch_execnz .LBB33_4
.LBB33_2:
	s_or_b32 exec_lo, exec_lo, s7
	v_cmp_lt_i64_e64 s4, s[12:13], 1
	s_and_b32 vcc_lo, exec_lo, s4
	s_cbranch_vccz .LBB33_5
	s_branch .LBB33_57
.LBB33_3:
	v_lshl_add_u64 v[6:7], v[4:5], 3, s[4:5]
	global_load_b64 v[6:7], v[6:7], off
	s_wait_loadcnt 0x0
	v_sub_nc_u64_e64 v[20:21], v[6:7], s[20:21]
	s_or_b32 exec_lo, exec_lo, s7
	s_and_saveexec_b32 s7, s6
	s_cbranch_execz .LBB33_2
.LBB33_4:
	v_lshl_add_u64 v[2:3], v[4:5], 3, s[4:5]
	global_load_b64 v[2:3], v[2:3], off offset:8
	s_wait_loadcnt 0x0
	v_sub_nc_u64_e64 v[2:3], v[2:3], s[20:21]
	s_or_b32 exec_lo, exec_lo, s7
	v_cmp_lt_i64_e64 s4, s[12:13], 1
	s_and_b32 vcc_lo, exec_lo, s4
	s_cbranch_vccnz .LBB33_57
.LBB33_5:
	v_mul_u64_e32 v[12:13], s[14:15], v[8:9]
	v_dual_lshlrev_b32 v10, 2, v8 :: v_dual_mov_b32 v4, 0
	v_mbcnt_lo_u32_b32 v1, -1, 0
	s_clause 0x1
	s_load_b128 s[4:7], s[0:1], 0x58
	s_load_b64 s[22:23], s[0:1], 0x68
	v_and_b32_e32 v6, 7, v0
	s_clause 0x2
	s_load_b96 s[16:18], s[0:1], 0x48
	s_load_b64 s[26:27], s[0:1], 0x38
	s_load_b32 s9, s[0:1], 0x0
	v_dual_mov_b32 v7, v4 :: v_dual_bitop2_b32 v5, 4, v1 bitop3:0x14
	v_dual_mov_b32 v11, v4 :: v_dual_lshlrev_b32 v36, 7, v8
	v_dual_lshlrev_b32 v24, 2, v6 :: v_dual_bitop2_b32 v8, 2, v1 bitop3:0x14
	v_mov_b32_e32 v23, v4
	s_delay_alu instid0(VALU_DEP_4)
	v_cmp_gt_i32_e32 vcc_lo, 32, v5
	v_dual_mov_b32 v27, v4 :: v_dual_bitop2_b32 v9, 1, v1 bitop3:0x14
	v_or_b32_e32 v26, 16, v6
	v_dual_mov_b32 v29, v4 :: v_dual_bitop2_b32 v22, 8, v6 bitop3:0x54
	v_cndmask_b32_e32 v5, v1, v5, vcc_lo
	v_cmp_gt_i32_e32 vcc_lo, 32, v8
	v_or_b32_e32 v28, 24, v6
	s_wait_xcnt 0x0
	s_lshl_b64 s[0:1], s[2:3], 3
	v_dual_mov_b32 v25, v4 :: v_dual_lshlrev_b32 v37, 2, v5
	v_cndmask_b32_e32 v14, v1, v8, vcc_lo
	v_cmp_gt_i32_e32 vcc_lo, 32, v9
	v_mul_u64_e32 v[16:17], s[14:15], v[28:29]
	s_wait_kmcnt 0x0
	s_add_nc_u64 s[0:1], s[6:7], s[0:1]
	s_cmp_lg_u32 s9, 0
	v_dual_lshlrev_b32 v38, 2, v14 :: v_dual_cndmask_b32 v30, v1, v9, vcc_lo
	v_mul_u64_e32 v[8:9], s[14:15], v[6:7]
	v_lshl_add_u64 v[18:19], v[12:13], 2, s[4:5]
	v_mul_u64_e32 v[12:13], s[14:15], v[22:23]
	v_mul_u64_e32 v[14:15], s[14:15], v[26:27]
	s_load_b64 s[0:1], s[0:1], 0x0
	v_cmp_gt_i64_e32 vcc_lo, s[14:15], v[6:7]
	s_mov_b32 s11, 0
	s_cselect_b32 s33, -1, 0
	v_cmp_gt_i64_e64 s9, s[14:15], v[22:23]
	v_cmp_gt_i64_e64 s10, s[14:15], v[26:27]
	s_mov_b32 s19, s11
	v_add_nc_u64_e32 v[10:11], s[4:5], v[10:11]
	s_and_b32 s38, s8, vcc_lo
	v_cmp_gt_i64_e32 vcc_lo, s[14:15], v[28:29]
	v_add_nc_u64_e32 v[18:19], v[18:19], v[24:25]
	v_mov_b64_e32 v[22:23], 0
	v_dual_lshlrev_b32 v39, 2, v30 :: v_dual_lshlrev_b32 v41, 3, v0
	v_lshl_or_b32 v40, v1, 2, 28
	v_cmp_gt_u32_e64 s2, 32, v0
	v_cmp_gt_u32_e64 s3, 16, v0
	;; [unrolled: 1-line block ×5, first 2 shown]
	s_wait_kmcnt 0x0
	s_sub_nc_u64 s[28:29], s[0:1], s[18:19]
	v_cmp_gt_u32_e64 s0, 0x80, v0
	v_cmp_gt_u32_e64 s1, 64, v0
	v_cmp_eq_u32_e64 s7, 0, v0
	v_dual_mov_b32 v43, 1 :: v_dual_add_nc_u32 v42, v24, v36
	s_mul_u64 s[24:25], s[14:15], s[14:15]
	s_mov_b32 s21, s11
	s_and_b32 s39, s8, s9
	s_and_b32 s40, s8, s10
	s_mov_b64 s[30:31], 0xffffffff
	s_and_b32 s41, s8, vcc_lo
	s_ashr_i32 s34, s15, 31
	s_sub_co_i32 s42, 0, s14
	s_branch .LBB33_7
.LBB33_6:                               ;   in Loop: Header=BB33_7 Depth=1
	s_or_b32 exec_lo, exec_lo, s10
	s_wait_dscnt 0x0
	s_barrier_signal -1
	s_barrier_wait -1
	ds_load_b64 v[22:23], v4
	s_add_nc_u64 s[28:29], s[8:9], s[28:29]
	s_wait_dscnt 0x0
	s_barrier_signal -1
	s_barrier_wait -1
	v_cmp_gt_i64_e32 vcc_lo, s[12:13], v[22:23]
	s_cbranch_vccz .LBB33_57
.LBB33_7:                               ; =>This Loop Header: Depth=1
                                        ;     Child Loop BB33_10 Depth 2
	v_add_nc_u64_e32 v[20:21], v[20:21], v[6:7]
	v_mov_b64_e32 v[0:1], s[12:13]
	v_mov_b64_e32 v[34:35], v[2:3]
	s_mov_b32 s9, exec_lo
	ds_store_b8 v4, v4 offset:4096
	ds_store_2addr_b32 v42, v4, v4 offset1:8
	ds_store_2addr_b32 v42, v4, v4 offset0:16 offset1:24
	s_wait_dscnt 0x0
	s_barrier_signal -1
	s_barrier_wait -1
	v_cmpx_lt_i64_e64 v[20:21], v[2:3]
	s_cbranch_execz .LBB33_19
; %bb.8:                                ;   in Loop: Header=BB33_7 Depth=1
	v_mul_u64_e32 v[24:25], s[14:15], v[22:23]
	v_mov_b64_e32 v[0:1], s[12:13]
	v_mov_b64_e32 v[30:31], v[2:3]
	v_lshl_add_u64 v[26:27], v[20:21], 2, s[26:27]
	v_lshl_add_u64 v[28:29], v[20:21], 3, s[16:17]
	s_mov_b32 s43, 0
	s_branch .LBB33_10
.LBB33_9:                               ;   in Loop: Header=BB33_10 Depth=2
	s_wait_xcnt 0x0
	s_or_b32 exec_lo, exec_lo, s8
	v_add_nc_u64_e32 v[20:21], 8, v[20:21]
	s_xor_b32 s10, vcc_lo, -1
	v_add_nc_u64_e32 v[26:27], 32, v[26:27]
	v_add_nc_u64_e32 v[28:29], 64, v[28:29]
	v_mov_b64_e32 v[30:31], v[34:35]
	s_delay_alu instid0(VALU_DEP_4) | instskip(SKIP_1) | instid1(SALU_CYCLE_1)
	v_cmp_ge_i64_e64 s8, v[20:21], v[2:3]
	s_or_b32 s8, s10, s8
	s_and_b32 s8, exec_lo, s8
	s_delay_alu instid0(SALU_CYCLE_1) | instskip(NEXT) | instid1(SALU_CYCLE_1)
	s_or_b32 s43, s8, s43
	s_and_not1_b32 exec_lo, exec_lo, s43
	s_cbranch_execz .LBB33_18
.LBB33_10:                              ;   Parent Loop BB33_7 Depth=1
                                        ; =>  This Inner Loop Header: Depth=2
	global_load_b64 v[32:33], v[28:29], off
                                        ; implicit-def: $vgpr34_vgpr35
	s_mov_b32 s8, exec_lo
	s_wait_loadcnt 0x0
	v_sub_nc_u64_e64 v[32:33], v[32:33], s[20:21]
	s_delay_alu instid0(VALU_DEP_1) | instskip(SKIP_1) | instid1(VALU_DEP_1)
	v_or_b32_e32 v5, s15, v33
	s_wait_xcnt 0x0
	v_cmpx_ne_u64_e32 0, v[4:5]
	s_xor_b32 s44, exec_lo, s8
	s_cbranch_execz .LBB33_12
; %bb.11:                               ;   in Loop: Header=BB33_10 Depth=2
	s_mov_b32 s35, s34
	v_dual_mov_b32 v47, v4 :: v_dual_ashrrev_i32 v34, 31, v33
	s_add_nc_u64 s[36:37], s[14:15], s[34:35]
	s_delay_alu instid0(SALU_CYCLE_1) | instskip(NEXT) | instid1(VALU_DEP_1)
	s_xor_b64 s[36:37], s[36:37], s[34:35]
	v_mov_b32_e32 v35, v34
	s_cvt_f32_u32 s8, s36
	s_cvt_f32_u32 s10, s37
	s_sub_nc_u64 s[48:49], 0, s[36:37]
	s_delay_alu instid0(VALU_DEP_1) | instskip(NEXT) | instid1(SALU_CYCLE_1)
	v_add_nc_u64_e32 v[44:45], v[32:33], v[34:35]
	s_fmamk_f32 s8, s10, 0x4f800000, s8
	v_mov_b32_e32 v51, v4
	s_delay_alu instid0(SALU_CYCLE_2) | instskip(NEXT) | instid1(VALU_DEP_2)
	v_s_rcp_f32 s8, s8
	v_xor_b32_e32 v46, v44, v34
	s_delay_alu instid0(VALU_DEP_3) | instskip(NEXT) | instid1(TRANS32_DEP_1)
	v_dual_mov_b32 v55, v4 :: v_dual_bitop2_b32 v50, v45, v34 bitop3:0x14
	s_mul_f32 s8, s8, 0x5f7ffffc
	s_delay_alu instid0(SALU_CYCLE_3) | instskip(NEXT) | instid1(SALU_CYCLE_3)
	s_mul_f32 s10, s8, 0x2f800000
	s_trunc_f32 s10, s10
	s_delay_alu instid0(SALU_CYCLE_3) | instskip(SKIP_1) | instid1(SALU_CYCLE_2)
	s_fmamk_f32 s8, s10, 0xcf800000, s8
	s_cvt_u32_f32 s47, s10
	s_cvt_u32_f32 s46, s8
	s_delay_alu instid0(SALU_CYCLE_3) | instskip(NEXT) | instid1(SALU_CYCLE_1)
	s_mul_u64 s[50:51], s[48:49], s[46:47]
	s_mul_hi_u32 s53, s46, s51
	s_mul_i32 s52, s46, s51
	s_mul_hi_u32 s10, s46, s50
	s_mul_i32 s35, s47, s50
	s_add_nc_u64 s[52:53], s[10:11], s[52:53]
	s_mul_hi_u32 s8, s47, s50
	s_mul_hi_u32 s45, s47, s51
	s_add_co_u32 s10, s52, s35
	s_add_co_ci_u32 s10, s53, s8
	s_mul_i32 s50, s47, s51
	s_add_co_ci_u32 s51, s45, 0
	s_delay_alu instid0(SALU_CYCLE_1) | instskip(NEXT) | instid1(SALU_CYCLE_1)
	s_add_nc_u64 s[50:51], s[10:11], s[50:51]
	s_add_co_u32 s46, s46, s50
	s_cselect_b32 s8, -1, 0
	s_delay_alu instid0(SALU_CYCLE_1) | instskip(SKIP_1) | instid1(SALU_CYCLE_1)
	s_cmp_lg_u32 s8, 0
	s_add_co_ci_u32 s47, s47, s51
	s_mul_u64 s[48:49], s[48:49], s[46:47]
	s_delay_alu instid0(SALU_CYCLE_1)
	s_mul_hi_u32 s51, s46, s49
	s_mul_i32 s50, s46, s49
	s_mul_hi_u32 s10, s46, s48
	s_mul_i32 s35, s47, s48
	s_add_nc_u64 s[50:51], s[10:11], s[50:51]
	s_mul_hi_u32 s8, s47, s48
	s_mul_hi_u32 s45, s47, s49
	s_add_co_u32 s10, s50, s35
	s_add_co_ci_u32 s10, s51, s8
	s_mul_i32 s48, s47, s49
	s_add_co_ci_u32 s49, s45, 0
	s_delay_alu instid0(SALU_CYCLE_1) | instskip(NEXT) | instid1(SALU_CYCLE_1)
	s_add_nc_u64 s[48:49], s[10:11], s[48:49]
	s_add_co_u32 s8, s46, s48
	s_cselect_b32 s10, -1, 0
	v_mul_hi_u32 v54, v46, s8
	s_cmp_lg_u32 s10, 0
	s_add_co_ci_u32 s10, s47, s49
	s_and_b64 s[46:47], s[8:9], s[30:31]
	v_mul_u64_e32 v[48:49], s[10:11], v[46:47]
	v_mul_u64_e32 v[44:45], s[46:47], v[50:51]
	;; [unrolled: 1-line block ×3, first 2 shown]
	s_delay_alu instid0(VALU_DEP_3) | instskip(NEXT) | instid1(VALU_DEP_1)
	v_add_nc_u64_e32 v[48:49], v[54:55], v[48:49]
	v_add_co_u32 v5, vcc_lo, v48, v44
	s_delay_alu instid0(VALU_DEP_2) | instskip(NEXT) | instid1(VALU_DEP_4)
	v_add_co_ci_u32_e32 v54, vcc_lo, v49, v45, vcc_lo
	v_add_co_ci_u32_e32 v53, vcc_lo, 0, v53, vcc_lo
	s_delay_alu instid0(VALU_DEP_1) | instskip(NEXT) | instid1(VALU_DEP_1)
	v_add_nc_u64_e32 v[44:45], v[54:55], v[52:53]
	v_mul_u64_e32 v[48:49], s[36:37], v[44:45]
	s_delay_alu instid0(VALU_DEP_1) | instskip(NEXT) | instid1(VALU_DEP_2)
	v_sub_nc_u32_e32 v5, v50, v49
	v_sub_co_u32 v25, vcc_lo, v46, v48
	s_delay_alu instid0(VALU_DEP_1) | instskip(NEXT) | instid1(VALU_DEP_3)
	v_sub_co_ci_u32_e64 v35, null, v50, v49, vcc_lo
	v_subrev_co_ci_u32_e64 v5, null, s37, v5, vcc_lo
	s_delay_alu instid0(VALU_DEP_3) | instskip(SKIP_1) | instid1(VALU_DEP_3)
	v_sub_co_u32 v33, s8, v25, s36
	v_add_nc_u64_e32 v[48:49], 1, v[44:45]
	v_subrev_co_ci_u32_e64 v5, null, 0, v5, s8
	s_delay_alu instid0(VALU_DEP_3) | instskip(SKIP_1) | instid1(VALU_DEP_3)
	v_cmp_le_u32_e32 vcc_lo, s36, v33
	v_cndmask_b32_e64 v33, 0, -1, vcc_lo
	v_cmp_le_u32_e32 vcc_lo, s37, v5
	v_cndmask_b32_e64 v46, 0, -1, vcc_lo
	;; [unrolled: 2-line block ×4, first 2 shown]
	v_cmp_eq_u32_e32 vcc_lo, s37, v5
	v_cndmask_b32_e32 v5, v46, v33, vcc_lo
	v_cmp_eq_u32_e32 vcc_lo, s37, v35
	v_add_nc_u64_e32 v[46:47], 2, v[44:45]
	v_cndmask_b32_e32 v25, v50, v25, vcc_lo
	s_delay_alu instid0(VALU_DEP_4) | instskip(NEXT) | instid1(VALU_DEP_3)
	v_cmp_ne_u32_e32 vcc_lo, 0, v5
	v_cndmask_b32_e32 v5, v49, v47, vcc_lo
	s_delay_alu instid0(VALU_DEP_3) | instskip(SKIP_1) | instid1(VALU_DEP_2)
	v_cmp_ne_u32_e64 s8, 0, v25
	v_cndmask_b32_e32 v25, v48, v46, vcc_lo
	v_dual_cndmask_b32 v5, v45, v5, s8 :: v_dual_bitop2_b32 v34, s34, v34 bitop3:0x14
	s_delay_alu instid0(VALU_DEP_1) | instskip(NEXT) | instid1(VALU_DEP_2)
	v_dual_cndmask_b32 v25, v44, v25, s8 :: v_dual_mov_b32 v35, v34
	v_xor_b32_e32 v45, v5, v34
	s_delay_alu instid0(VALU_DEP_2) | instskip(NEXT) | instid1(VALU_DEP_1)
	v_xor_b32_e32 v44, v25, v34
	v_sub_nc_u64_e32 v[34:35], v[44:45], v[34:35]
.LBB33_12:                              ;   in Loop: Header=BB33_10 Depth=2
	s_and_not1_saveexec_b32 s8, s44
	s_cbranch_execz .LBB33_14
; %bb.13:                               ;   in Loop: Header=BB33_10 Depth=2
	v_cvt_f32_u32_e32 v5, s14
	v_mov_b32_e32 v35, v4
	s_delay_alu instid0(VALU_DEP_2) | instskip(SKIP_1) | instid1(TRANS32_DEP_1)
	v_rcp_iflag_f32_e32 v5, v5
	v_nop
	v_mul_f32_e32 v5, 0x4f7ffffe, v5
	s_delay_alu instid0(VALU_DEP_1) | instskip(NEXT) | instid1(VALU_DEP_1)
	v_cvt_u32_f32_e32 v5, v5
	v_mul_lo_u32 v25, s42, v5
	s_delay_alu instid0(VALU_DEP_1) | instskip(NEXT) | instid1(VALU_DEP_1)
	v_mul_hi_u32 v25, v5, v25
	v_add_nc_u32_e32 v5, v5, v25
	s_delay_alu instid0(VALU_DEP_1) | instskip(NEXT) | instid1(VALU_DEP_1)
	v_mul_hi_u32 v5, v32, v5
	v_mul_lo_u32 v25, v5, s14
	s_delay_alu instid0(VALU_DEP_1) | instskip(NEXT) | instid1(VALU_DEP_1)
	v_sub_nc_u32_e32 v25, v32, v25
	v_subrev_nc_u32_e32 v34, s14, v25
	v_cmp_le_u32_e32 vcc_lo, s14, v25
	s_delay_alu instid0(VALU_DEP_2) | instskip(NEXT) | instid1(VALU_DEP_1)
	v_dual_add_nc_u32 v33, 1, v5 :: v_dual_cndmask_b32 v25, v25, v34, vcc_lo
	v_cndmask_b32_e32 v5, v5, v33, vcc_lo
	s_delay_alu instid0(VALU_DEP_2) | instskip(NEXT) | instid1(VALU_DEP_2)
	v_cmp_le_u32_e32 vcc_lo, s14, v25
	v_add_nc_u32_e32 v33, 1, v5
	s_delay_alu instid0(VALU_DEP_1)
	v_cndmask_b32_e32 v34, v5, v33, vcc_lo
.LBB33_14:                              ;   in Loop: Header=BB33_10 Depth=2
	s_or_b32 exec_lo, exec_lo, s8
	s_delay_alu instid0(VALU_DEP_1) | instskip(SKIP_2) | instid1(SALU_CYCLE_1)
	v_cmp_ne_u64_e64 s8, v[34:35], v[22:23]
	v_cmp_eq_u64_e32 vcc_lo, v[34:35], v[22:23]
	s_and_saveexec_b32 s10, s8
	s_xor_b32 s8, exec_lo, s10
; %bb.15:                               ;   in Loop: Header=BB33_10 Depth=2
	v_min_i64 v[0:1], v[34:35], v[0:1]
                                        ; implicit-def: $vgpr32_vgpr33
                                        ; implicit-def: $vgpr30_vgpr31
; %bb.16:                               ;   in Loop: Header=BB33_10 Depth=2
	s_or_saveexec_b32 s8, s8
	v_mov_b64_e32 v[34:35], v[20:21]
	s_xor_b32 exec_lo, exec_lo, s8
	s_cbranch_execz .LBB33_9
; %bb.17:                               ;   in Loop: Header=BB33_10 Depth=2
	global_load_b32 v5, v[26:27], off
	v_sub_nc_u32_e32 v25, v32, v24
	v_mov_b64_e32 v[34:35], v[30:31]
	s_delay_alu instid0(VALU_DEP_2)
	v_lshl_add_u32 v25, v25, 2, v36
	ds_store_b8 v4, v43 offset:4096
	s_wait_loadcnt 0x0
	ds_store_b32 v25, v5
	s_branch .LBB33_9
.LBB33_18:                              ;   in Loop: Header=BB33_7 Depth=1
	s_or_b32 exec_lo, exec_lo, s43
.LBB33_19:                              ;   in Loop: Header=BB33_7 Depth=1
	s_delay_alu instid0(SALU_CYCLE_1)
	s_or_b32 exec_lo, exec_lo, s9
	ds_bpermute_b32 v20, v37, v34
	ds_bpermute_b32 v21, v37, v35
	s_wait_dscnt 0x0
	s_barrier_signal -1
	s_barrier_wait -1
	ds_load_u8 v5, v4 offset:4096
	s_mov_b64 s[8:9], 0
	v_min_i64 v[20:21], v[20:21], v[34:35]
	s_wait_dscnt 0x0
	v_and_b32_e32 v5, 1, v5
	s_delay_alu instid0(VALU_DEP_1)
	v_cmp_eq_u32_e32 vcc_lo, 0, v5
	s_and_b32 vcc_lo, exec_lo, vcc_lo
	ds_bpermute_b32 v24, v38, v20
	ds_bpermute_b32 v25, v38, v21
	s_wait_dscnt 0x0
	v_min_i64 v[20:21], v[24:25], v[20:21]
	ds_bpermute_b32 v24, v39, v20
	ds_bpermute_b32 v25, v39, v21
	s_wait_dscnt 0x0
	v_min_i64 v[20:21], v[24:25], v[20:21]
	ds_bpermute_b32 v20, v40, v20
	ds_bpermute_b32 v21, v40, v21
	s_cbranch_vccnz .LBB33_37
; %bb.20:                               ;   in Loop: Header=BB33_7 Depth=1
	s_mul_u64 s[8:9], s[24:25], s[28:29]
	v_add_nc_u64_e32 v[26:27], s[18:19], v[22:23]
	s_lshl_b64 s[8:9], s[8:9], 2
	s_delay_alu instid0(SALU_CYCLE_1) | instskip(SKIP_2) | instid1(SALU_CYCLE_1)
	v_add_nc_u64_e32 v[24:25], s[8:9], v[10:11]
	v_add_nc_u64_e32 v[22:23], s[8:9], v[18:19]
	s_lshl_b64 s[8:9], s[28:29], 3
	s_add_nc_u64 s[8:9], s[22:23], s[8:9]
	global_store_b64 v4, v[26:27], s[8:9]
	s_wait_xcnt 0x0
	s_and_saveexec_b32 s8, s38
	s_cbranch_execz .LBB33_24
; %bb.21:                               ;   in Loop: Header=BB33_7 Depth=1
	ds_load_b32 v5, v42
	s_and_b32 vcc_lo, exec_lo, s33
	s_cbranch_vccz .LBB33_53
; %bb.22:                               ;   in Loop: Header=BB33_7 Depth=1
	v_lshl_add_u64 v[26:27], v[8:9], 2, v[24:25]
	s_wait_dscnt 0x0
	global_store_b32 v[26:27], v5, off
	s_cbranch_execnz .LBB33_24
.LBB33_23:                              ;   in Loop: Header=BB33_7 Depth=1
	s_wait_dscnt 0x0
	global_store_b32 v[22:23], v5, off
.LBB33_24:                              ;   in Loop: Header=BB33_7 Depth=1
	s_wait_xcnt 0x0
	s_or_b32 exec_lo, exec_lo, s8
	s_and_saveexec_b32 s8, s39
	s_cbranch_execz .LBB33_28
; %bb.25:                               ;   in Loop: Header=BB33_7 Depth=1
	s_wait_dscnt 0x0
	ds_load_b32 v5, v42 offset:32
	s_and_not1_b32 vcc_lo, exec_lo, s33
	s_cbranch_vccnz .LBB33_54
; %bb.26:                               ;   in Loop: Header=BB33_7 Depth=1
	v_lshl_add_u64 v[26:27], v[12:13], 2, v[24:25]
	s_wait_dscnt 0x0
	global_store_b32 v[26:27], v5, off
	s_cbranch_execnz .LBB33_28
.LBB33_27:                              ;   in Loop: Header=BB33_7 Depth=1
	s_wait_dscnt 0x0
	global_store_b32 v[22:23], v5, off offset:32
.LBB33_28:                              ;   in Loop: Header=BB33_7 Depth=1
	s_wait_xcnt 0x0
	s_or_b32 exec_lo, exec_lo, s8
	s_and_saveexec_b32 s8, s40
	s_cbranch_execz .LBB33_32
; %bb.29:                               ;   in Loop: Header=BB33_7 Depth=1
	s_wait_dscnt 0x0
	ds_load_b32 v5, v42 offset:64
	s_and_not1_b32 vcc_lo, exec_lo, s33
	s_cbranch_vccnz .LBB33_55
; %bb.30:                               ;   in Loop: Header=BB33_7 Depth=1
	v_lshl_add_u64 v[26:27], v[14:15], 2, v[24:25]
	s_wait_dscnt 0x0
	global_store_b32 v[26:27], v5, off
	s_cbranch_execnz .LBB33_32
.LBB33_31:                              ;   in Loop: Header=BB33_7 Depth=1
	s_wait_dscnt 0x0
	global_store_b32 v[22:23], v5, off offset:64
.LBB33_32:                              ;   in Loop: Header=BB33_7 Depth=1
	s_wait_xcnt 0x0
	s_or_b32 exec_lo, exec_lo, s8
	s_and_saveexec_b32 s8, s41
	s_cbranch_execz .LBB33_36
; %bb.33:                               ;   in Loop: Header=BB33_7 Depth=1
	s_wait_dscnt 0x0
	ds_load_b32 v5, v42 offset:96
	s_and_not1_b32 vcc_lo, exec_lo, s33
	s_cbranch_vccnz .LBB33_56
; %bb.34:                               ;   in Loop: Header=BB33_7 Depth=1
	v_lshl_add_u64 v[24:25], v[16:17], 2, v[24:25]
	s_wait_dscnt 0x0
	global_store_b32 v[24:25], v5, off
	s_cbranch_execnz .LBB33_36
.LBB33_35:                              ;   in Loop: Header=BB33_7 Depth=1
	s_wait_dscnt 0x0
	global_store_b32 v[22:23], v5, off offset:96
.LBB33_36:                              ;   in Loop: Header=BB33_7 Depth=1
	s_wait_xcnt 0x0
	s_or_b32 exec_lo, exec_lo, s8
	s_mov_b64 s[8:9], 1
.LBB33_37:                              ;   in Loop: Header=BB33_7 Depth=1
	s_wait_storecnt_dscnt 0x0
	s_barrier_signal -1
	s_barrier_wait -1
	ds_store_b64 v41, v[0:1]
	s_wait_dscnt 0x0
	s_barrier_signal -1
	s_barrier_wait -1
	s_and_saveexec_b32 s10, s0
	s_cbranch_execz .LBB33_39
; %bb.38:                               ;   in Loop: Header=BB33_7 Depth=1
	ds_load_2addr_stride64_b64 v[22:25], v41 offset1:2
	s_wait_dscnt 0x0
	v_min_i64 v[0:1], v[24:25], v[22:23]
	ds_store_b64 v41, v[0:1]
.LBB33_39:                              ;   in Loop: Header=BB33_7 Depth=1
	s_or_b32 exec_lo, exec_lo, s10
	s_wait_dscnt 0x0
	s_barrier_signal -1
	s_barrier_wait -1
	s_and_saveexec_b32 s10, s1
	s_cbranch_execz .LBB33_41
; %bb.40:                               ;   in Loop: Header=BB33_7 Depth=1
	ds_load_2addr_stride64_b64 v[22:25], v41 offset1:1
	s_wait_dscnt 0x0
	v_min_i64 v[0:1], v[24:25], v[22:23]
	ds_store_b64 v41, v[0:1]
.LBB33_41:                              ;   in Loop: Header=BB33_7 Depth=1
	s_or_b32 exec_lo, exec_lo, s10
	s_wait_dscnt 0x0
	s_barrier_signal -1
	s_barrier_wait -1
	s_and_saveexec_b32 s10, s2
	s_cbranch_execz .LBB33_43
; %bb.42:                               ;   in Loop: Header=BB33_7 Depth=1
	ds_load_2addr_b64 v[22:25], v41 offset1:32
	s_wait_dscnt 0x0
	v_min_i64 v[0:1], v[24:25], v[22:23]
	ds_store_b64 v41, v[0:1]
.LBB33_43:                              ;   in Loop: Header=BB33_7 Depth=1
	s_or_b32 exec_lo, exec_lo, s10
	s_wait_dscnt 0x0
	s_barrier_signal -1
	s_barrier_wait -1
	s_and_saveexec_b32 s10, s3
	s_cbranch_execz .LBB33_45
; %bb.44:                               ;   in Loop: Header=BB33_7 Depth=1
	ds_load_2addr_b64 v[22:25], v41 offset1:16
	s_wait_dscnt 0x0
	v_min_i64 v[0:1], v[24:25], v[22:23]
	ds_store_b64 v41, v[0:1]
.LBB33_45:                              ;   in Loop: Header=BB33_7 Depth=1
	;; [unrolled: 12-line block ×5, first 2 shown]
	s_or_b32 exec_lo, exec_lo, s10
	s_wait_dscnt 0x0
	s_barrier_signal -1
	s_barrier_wait -1
	s_and_saveexec_b32 s10, s7
	s_cbranch_execz .LBB33_6
; %bb.52:                               ;   in Loop: Header=BB33_7 Depth=1
	ds_load_b128 v[22:25], v4
	s_wait_dscnt 0x0
	v_min_i64 v[0:1], v[24:25], v[22:23]
	ds_store_b64 v4, v[0:1]
	s_branch .LBB33_6
.LBB33_53:                              ;   in Loop: Header=BB33_7 Depth=1
	s_branch .LBB33_23
.LBB33_54:                              ;   in Loop: Header=BB33_7 Depth=1
	s_branch .LBB33_27
.LBB33_55:                              ;   in Loop: Header=BB33_7 Depth=1
	s_branch .LBB33_31
.LBB33_56:                              ;   in Loop: Header=BB33_7 Depth=1
	s_branch .LBB33_35
.LBB33_57:
	s_endpgm
	.section	.rodata,"a",@progbits
	.p2align	6, 0x0
	.amdhsa_kernel _ZN9rocsparseL38csr2bsr_block_per_row_multipass_kernelILj256ELj32EillEEv20rocsparse_direction_T3_S2_S2_S2_S2_21rocsparse_index_base_PKT1_PKT2_PKS2_S3_PS4_PS7_PS2_
		.amdhsa_group_segment_fixed_size 4100
		.amdhsa_private_segment_fixed_size 0
		.amdhsa_kernarg_size 112
		.amdhsa_user_sgpr_count 2
		.amdhsa_user_sgpr_dispatch_ptr 0
		.amdhsa_user_sgpr_queue_ptr 0
		.amdhsa_user_sgpr_kernarg_segment_ptr 1
		.amdhsa_user_sgpr_dispatch_id 0
		.amdhsa_user_sgpr_kernarg_preload_length 0
		.amdhsa_user_sgpr_kernarg_preload_offset 0
		.amdhsa_user_sgpr_private_segment_size 0
		.amdhsa_wavefront_size32 1
		.amdhsa_uses_dynamic_stack 0
		.amdhsa_enable_private_segment 0
		.amdhsa_system_sgpr_workgroup_id_x 1
		.amdhsa_system_sgpr_workgroup_id_y 0
		.amdhsa_system_sgpr_workgroup_id_z 0
		.amdhsa_system_sgpr_workgroup_info 0
		.amdhsa_system_vgpr_workitem_id 0
		.amdhsa_next_free_vgpr 56
		.amdhsa_next_free_sgpr 54
		.amdhsa_named_barrier_count 0
		.amdhsa_reserve_vcc 1
		.amdhsa_float_round_mode_32 0
		.amdhsa_float_round_mode_16_64 0
		.amdhsa_float_denorm_mode_32 3
		.amdhsa_float_denorm_mode_16_64 3
		.amdhsa_fp16_overflow 0
		.amdhsa_memory_ordered 1
		.amdhsa_forward_progress 1
		.amdhsa_inst_pref_size 22
		.amdhsa_round_robin_scheduling 0
		.amdhsa_exception_fp_ieee_invalid_op 0
		.amdhsa_exception_fp_denorm_src 0
		.amdhsa_exception_fp_ieee_div_zero 0
		.amdhsa_exception_fp_ieee_overflow 0
		.amdhsa_exception_fp_ieee_underflow 0
		.amdhsa_exception_fp_ieee_inexact 0
		.amdhsa_exception_int_div_zero 0
	.end_amdhsa_kernel
	.section	.text._ZN9rocsparseL38csr2bsr_block_per_row_multipass_kernelILj256ELj32EillEEv20rocsparse_direction_T3_S2_S2_S2_S2_21rocsparse_index_base_PKT1_PKT2_PKS2_S3_PS4_PS7_PS2_,"axG",@progbits,_ZN9rocsparseL38csr2bsr_block_per_row_multipass_kernelILj256ELj32EillEEv20rocsparse_direction_T3_S2_S2_S2_S2_21rocsparse_index_base_PKT1_PKT2_PKS2_S3_PS4_PS7_PS2_,comdat
.Lfunc_end33:
	.size	_ZN9rocsparseL38csr2bsr_block_per_row_multipass_kernelILj256ELj32EillEEv20rocsparse_direction_T3_S2_S2_S2_S2_21rocsparse_index_base_PKT1_PKT2_PKS2_S3_PS4_PS7_PS2_, .Lfunc_end33-_ZN9rocsparseL38csr2bsr_block_per_row_multipass_kernelILj256ELj32EillEEv20rocsparse_direction_T3_S2_S2_S2_S2_21rocsparse_index_base_PKT1_PKT2_PKS2_S3_PS4_PS7_PS2_
                                        ; -- End function
	.set _ZN9rocsparseL38csr2bsr_block_per_row_multipass_kernelILj256ELj32EillEEv20rocsparse_direction_T3_S2_S2_S2_S2_21rocsparse_index_base_PKT1_PKT2_PKS2_S3_PS4_PS7_PS2_.num_vgpr, 56
	.set _ZN9rocsparseL38csr2bsr_block_per_row_multipass_kernelILj256ELj32EillEEv20rocsparse_direction_T3_S2_S2_S2_S2_21rocsparse_index_base_PKT1_PKT2_PKS2_S3_PS4_PS7_PS2_.num_agpr, 0
	.set _ZN9rocsparseL38csr2bsr_block_per_row_multipass_kernelILj256ELj32EillEEv20rocsparse_direction_T3_S2_S2_S2_S2_21rocsparse_index_base_PKT1_PKT2_PKS2_S3_PS4_PS7_PS2_.numbered_sgpr, 54
	.set _ZN9rocsparseL38csr2bsr_block_per_row_multipass_kernelILj256ELj32EillEEv20rocsparse_direction_T3_S2_S2_S2_S2_21rocsparse_index_base_PKT1_PKT2_PKS2_S3_PS4_PS7_PS2_.num_named_barrier, 0
	.set _ZN9rocsparseL38csr2bsr_block_per_row_multipass_kernelILj256ELj32EillEEv20rocsparse_direction_T3_S2_S2_S2_S2_21rocsparse_index_base_PKT1_PKT2_PKS2_S3_PS4_PS7_PS2_.private_seg_size, 0
	.set _ZN9rocsparseL38csr2bsr_block_per_row_multipass_kernelILj256ELj32EillEEv20rocsparse_direction_T3_S2_S2_S2_S2_21rocsparse_index_base_PKT1_PKT2_PKS2_S3_PS4_PS7_PS2_.uses_vcc, 1
	.set _ZN9rocsparseL38csr2bsr_block_per_row_multipass_kernelILj256ELj32EillEEv20rocsparse_direction_T3_S2_S2_S2_S2_21rocsparse_index_base_PKT1_PKT2_PKS2_S3_PS4_PS7_PS2_.uses_flat_scratch, 0
	.set _ZN9rocsparseL38csr2bsr_block_per_row_multipass_kernelILj256ELj32EillEEv20rocsparse_direction_T3_S2_S2_S2_S2_21rocsparse_index_base_PKT1_PKT2_PKS2_S3_PS4_PS7_PS2_.has_dyn_sized_stack, 0
	.set _ZN9rocsparseL38csr2bsr_block_per_row_multipass_kernelILj256ELj32EillEEv20rocsparse_direction_T3_S2_S2_S2_S2_21rocsparse_index_base_PKT1_PKT2_PKS2_S3_PS4_PS7_PS2_.has_recursion, 0
	.set _ZN9rocsparseL38csr2bsr_block_per_row_multipass_kernelILj256ELj32EillEEv20rocsparse_direction_T3_S2_S2_S2_S2_21rocsparse_index_base_PKT1_PKT2_PKS2_S3_PS4_PS7_PS2_.has_indirect_call, 0
	.section	.AMDGPU.csdata,"",@progbits
; Kernel info:
; codeLenInByte = 2788
; TotalNumSgprs: 56
; NumVgprs: 56
; ScratchSize: 0
; MemoryBound: 0
; FloatMode: 240
; IeeeMode: 1
; LDSByteSize: 4100 bytes/workgroup (compile time only)
; SGPRBlocks: 0
; VGPRBlocks: 3
; NumSGPRsForWavesPerEU: 56
; NumVGPRsForWavesPerEU: 56
; NamedBarCnt: 0
; Occupancy: 16
; WaveLimiterHint : 1
; COMPUTE_PGM_RSRC2:SCRATCH_EN: 0
; COMPUTE_PGM_RSRC2:USER_SGPR: 2
; COMPUTE_PGM_RSRC2:TRAP_HANDLER: 0
; COMPUTE_PGM_RSRC2:TGID_X_EN: 1
; COMPUTE_PGM_RSRC2:TGID_Y_EN: 0
; COMPUTE_PGM_RSRC2:TGID_Z_EN: 0
; COMPUTE_PGM_RSRC2:TIDIG_COMP_CNT: 0
	.section	.text._ZN9rocsparseL38csr2bsr_block_per_row_multipass_kernelILj256ELj64EillEEv20rocsparse_direction_T3_S2_S2_S2_S2_21rocsparse_index_base_PKT1_PKT2_PKS2_S3_PS4_PS7_PS2_,"axG",@progbits,_ZN9rocsparseL38csr2bsr_block_per_row_multipass_kernelILj256ELj64EillEEv20rocsparse_direction_T3_S2_S2_S2_S2_21rocsparse_index_base_PKT1_PKT2_PKS2_S3_PS4_PS7_PS2_,comdat
	.globl	_ZN9rocsparseL38csr2bsr_block_per_row_multipass_kernelILj256ELj64EillEEv20rocsparse_direction_T3_S2_S2_S2_S2_21rocsparse_index_base_PKT1_PKT2_PKS2_S3_PS4_PS7_PS2_ ; -- Begin function _ZN9rocsparseL38csr2bsr_block_per_row_multipass_kernelILj256ELj64EillEEv20rocsparse_direction_T3_S2_S2_S2_S2_21rocsparse_index_base_PKT1_PKT2_PKS2_S3_PS4_PS7_PS2_
	.p2align	8
	.type	_ZN9rocsparseL38csr2bsr_block_per_row_multipass_kernelILj256ELj64EillEEv20rocsparse_direction_T3_S2_S2_S2_S2_21rocsparse_index_base_PKT1_PKT2_PKS2_S3_PS4_PS7_PS2_,@function
_ZN9rocsparseL38csr2bsr_block_per_row_multipass_kernelILj256ELj64EillEEv20rocsparse_direction_T3_S2_S2_S2_S2_21rocsparse_index_base_PKT1_PKT2_PKS2_S3_PS4_PS7_PS2_: ; @_ZN9rocsparseL38csr2bsr_block_per_row_multipass_kernelILj256ELj64EillEEv20rocsparse_direction_T3_S2_S2_S2_S2_21rocsparse_index_base_PKT1_PKT2_PKS2_S3_PS4_PS7_PS2_
; %bb.0:
	s_clause 0x1
	s_load_b128 s[12:15], s[0:1], 0x20
	s_load_b64 s[2:3], s[0:1], 0x8
	s_bfe_u32 s5, ttmp6, 0x4000c
	s_and_b32 s4, ttmp6, 15
	s_add_co_i32 s5, s5, 1
	s_getreg_b32 s6, hwreg(HW_REG_IB_STS2, 6, 4)
	s_mul_i32 s5, ttmp9, s5
	v_dual_mov_b32 v11, 0 :: v_dual_lshrrev_b32 v10, 2, v0
	s_add_co_i32 s4, s4, s5
	s_cmp_eq_u32 s6, 0
	s_clause 0x1
	s_load_b32 s10, s[0:1], 0x30
	s_load_b64 s[6:7], s[0:1], 0x40
	s_cselect_b32 s4, ttmp9, s4
	v_mov_b64_e32 v[2:3], 0
	s_ashr_i32 s5, s4, 31
	v_mov_b64_e32 v[18:19], 0
	s_mov_b32 s11, 0
	s_wait_kmcnt 0x0
	v_mad_nc_u64_u32 v[4:5], s14, s4, v[10:11]
	s_mul_i32 s8, s14, s5
	s_mul_i32 s9, s15, s4
	s_delay_alu instid0(VALU_DEP_1) | instid1(SALU_CYCLE_1)
	v_add3_u32 v5, s8, s9, v5
	s_delay_alu instid0(VALU_DEP_1) | instskip(SKIP_2) | instid1(SALU_CYCLE_1)
	v_cmp_gt_i64_e32 vcc_lo, s[2:3], v[4:5]
	v_cmp_gt_i64_e64 s2, s[14:15], v[10:11]
	s_and_b32 s3, s2, vcc_lo
	s_and_saveexec_b32 s8, s3
	s_cbranch_execnz .LBB34_3
; %bb.1:
	s_or_b32 exec_lo, exec_lo, s8
	s_and_saveexec_b32 s8, s3
	s_cbranch_execnz .LBB34_4
.LBB34_2:
	s_or_b32 exec_lo, exec_lo, s8
	v_cmp_lt_i64_e64 s3, s[12:13], 1
	s_and_b32 vcc_lo, exec_lo, s3
	s_cbranch_vccz .LBB34_5
	s_branch .LBB34_59
.LBB34_3:
	v_lshl_add_u64 v[6:7], v[4:5], 3, s[6:7]
	global_load_b64 v[6:7], v[6:7], off
	s_wait_loadcnt 0x0
	v_sub_nc_u64_e64 v[18:19], v[6:7], s[10:11]
	s_or_b32 exec_lo, exec_lo, s8
	s_and_saveexec_b32 s8, s3
	s_cbranch_execz .LBB34_2
.LBB34_4:
	v_lshl_add_u64 v[2:3], v[4:5], 3, s[6:7]
	global_load_b64 v[2:3], v[2:3], off offset:8
	s_wait_loadcnt 0x0
	v_sub_nc_u64_e64 v[2:3], v[2:3], s[10:11]
	s_or_b32 exec_lo, exec_lo, s8
	v_cmp_lt_i64_e64 s3, s[12:13], 1
	s_and_b32 vcc_lo, exec_lo, s3
	s_cbranch_vccnz .LBB34_59
.LBB34_5:
	v_mbcnt_lo_u32_b32 v1, -1, 0
	s_clause 0x4
	s_load_b128 s[16:19], s[0:1], 0x58
	s_load_b64 s[24:25], s[0:1], 0x68
	s_load_b96 s[20:22], s[0:1], 0x48
	s_load_b64 s[26:27], s[0:1], 0x38
	s_load_b32 s8, s[0:1], 0x0
	v_cvt_f32_u32_e32 v5, s14
	v_dual_lshlrev_b32 v34, 8, v10 :: v_dual_bitop2_b32 v4, 3, v0 bitop3:0x40
	v_xor_b32_e32 v11, 1, v1
	v_xor_b32_e32 v9, 2, v1
	s_delay_alu instid0(VALU_DEP_4) | instskip(SKIP_2) | instid1(VALU_DEP_3)
	v_rcp_iflag_f32_e32 v7, v5
	v_dual_mov_b32 v6, 0 :: v_dual_lshlrev_b32 v35, 3, v0
	v_lshlrev_b32_e32 v8, 2, v4
	v_cmp_gt_i32_e32 vcc_lo, 32, v9
	s_lshl_b64 s[6:7], s[4:5], 3
	s_delay_alu instid0(VALU_DEP_3)
	v_mov_b32_e32 v5, v6
	v_lshl_or_b32 v36, v1, 2, 12
	v_dual_cndmask_b32 v9, v1, v9, vcc_lo :: v_dual_bitop2_b32 v37, v34, v8 bitop3:0x54
	v_mul_f32_e32 v7, 0x4f7ffffe, v7
	v_cmp_gt_i32_e32 vcc_lo, 32, v11
	s_wait_kmcnt 0x0
	s_add_nc_u64 s[6:7], s[18:19], s[6:7]
	s_mov_b32 s23, 0
	v_lshlrev_b32_e32 v38, 2, v9
	v_cvt_u32_f32_e32 v7, v7
	s_cmp_lg_u32 s8, 0
	v_cndmask_b32_e32 v1, v1, v11, vcc_lo
	s_cselect_b32 s33, -1, 0
	s_sub_co_i32 s8, 0, s14
	s_load_b64 s[6:7], s[6:7], 0x0
	v_mul_lo_u32 v11, s8, v7
	s_mov_b32 s29, s23
	s_mov_b32 s28, s22
	v_mov_b64_e32 v[20:21], 0
	v_cmp_gt_u32_e64 s0, 0x80, v0
	v_cmp_gt_u32_e64 s1, 64, v0
	;; [unrolled: 1-line block ×5, first 2 shown]
	v_lshlrev_b32_e32 v39, 2, v1
	v_cmp_eq_u32_e64 s8, 0, v0
	v_mul_hi_u32 v16, v7, v11
	v_dual_mov_b32 v1, v6 :: v_dual_mov_b32 v9, v6
	v_dual_mov_b32 v11, v6 :: v_dual_bitop2_b32 v12, 16, v8 bitop3:0x54
	v_dual_mov_b32 v13, v6 :: v_dual_bitop2_b32 v14, 48, v8 bitop3:0x54
	v_dual_mov_b32 v15, v6 :: v_dual_mov_b32 v40, 1
	s_wait_kmcnt 0x0
	s_sub_nc_u64 s[18:19], s[6:7], s[28:29]
	v_cmp_gt_u32_e64 s6, 4, v0
	v_cmp_gt_u32_e64 s7, 2, v0
	v_dual_lshlrev_b32 v0, 2, v10 :: v_dual_bitop2_b32 v10, 32, v8 bitop3:0x54
	v_add_nc_u32_e32 v41, v7, v16
	s_mov_b32 s11, s23
	s_mov_b64 s[30:31], 0xffffffff
	s_lshl_b64 s[34:35], s[14:15], 2
	s_lshl_b64 s[36:37], s[14:15], 6
	s_ashr_i32 s38, s15, 31
	s_branch .LBB34_7
.LBB34_6:                               ;   in Loop: Header=BB34_7 Depth=1
	s_or_b32 exec_lo, exec_lo, s9
	s_wait_dscnt 0x0
	s_barrier_signal -1
	s_barrier_wait -1
	ds_load_b64 v[20:21], v6
	s_add_nc_u64 s[18:19], s[40:41], s[18:19]
	s_wait_dscnt 0x0
	s_barrier_signal -1
	s_barrier_wait -1
	v_cmp_gt_i64_e32 vcc_lo, s[12:13], v[20:21]
	s_cbranch_vccz .LBB34_59
.LBB34_7:                               ; =>This Loop Header: Depth=1
                                        ;     Child Loop BB34_10 Depth 2
                                        ;     Child Loop BB34_22 Depth 2
	v_add_nc_u64_e32 v[18:19], v[18:19], v[4:5]
	v_mov_b64_e32 v[16:17], s[12:13]
	v_mov_b64_e32 v[32:33], v[2:3]
	s_mov_b32 s42, exec_lo
	ds_store_b8 v6, v6 offset:16384
	ds_store_2addr_b32 v37, v6, v6 offset1:4
	ds_store_2addr_b32 v37, v6, v6 offset0:8 offset1:12
	ds_store_2addr_b32 v37, v6, v6 offset0:16 offset1:20
	;; [unrolled: 1-line block ×7, first 2 shown]
	s_wait_dscnt 0x0
	s_barrier_signal -1
	s_barrier_wait -1
	v_cmpx_lt_i64_e64 v[18:19], v[2:3]
	s_cbranch_execz .LBB34_19
; %bb.8:                                ;   in Loop: Header=BB34_7 Depth=1
	v_mul_u64_e32 v[22:23], s[14:15], v[20:21]
	v_mov_b64_e32 v[16:17], s[12:13]
	v_mov_b64_e32 v[28:29], v[2:3]
	v_lshl_add_u64 v[24:25], v[18:19], 2, s[26:27]
	v_lshl_add_u64 v[26:27], v[18:19], 3, s[20:21]
	s_mov_b32 s43, 0
	s_branch .LBB34_10
.LBB34_9:                               ;   in Loop: Header=BB34_10 Depth=2
	s_wait_xcnt 0x0
	s_or_b32 exec_lo, exec_lo, s9
	v_add_nc_u64_e32 v[18:19], 4, v[18:19]
	s_xor_b32 s22, vcc_lo, -1
	v_add_nc_u64_e32 v[24:25], 16, v[24:25]
	v_add_nc_u64_e32 v[26:27], 32, v[26:27]
	v_mov_b64_e32 v[28:29], v[32:33]
	s_delay_alu instid0(VALU_DEP_4) | instskip(SKIP_1) | instid1(SALU_CYCLE_1)
	v_cmp_ge_i64_e64 s9, v[18:19], v[2:3]
	s_or_b32 s9, s22, s9
	s_and_b32 s9, exec_lo, s9
	s_delay_alu instid0(SALU_CYCLE_1) | instskip(NEXT) | instid1(SALU_CYCLE_1)
	s_or_b32 s43, s9, s43
	s_and_not1_b32 exec_lo, exec_lo, s43
	s_cbranch_execz .LBB34_18
.LBB34_10:                              ;   Parent Loop BB34_7 Depth=1
                                        ; =>  This Inner Loop Header: Depth=2
	global_load_b64 v[30:31], v[26:27], off
                                        ; implicit-def: $vgpr32_vgpr33
	s_mov_b32 s9, exec_lo
	s_wait_loadcnt 0x0
	v_sub_nc_u64_e64 v[30:31], v[30:31], s[10:11]
	s_delay_alu instid0(VALU_DEP_1) | instskip(SKIP_1) | instid1(VALU_DEP_1)
	v_or_b32_e32 v7, s15, v31
	s_wait_xcnt 0x0
	v_cmpx_ne_u64_e32 0, v[6:7]
	s_xor_b32 s44, exec_lo, s9
	s_cbranch_execz .LBB34_12
; %bb.11:                               ;   in Loop: Header=BB34_10 Depth=2
	s_mov_b32 s39, s38
	v_dual_mov_b32 v45, v6 :: v_dual_ashrrev_i32 v32, 31, v31
	s_add_nc_u64 s[40:41], s[14:15], s[38:39]
	s_delay_alu instid0(SALU_CYCLE_1) | instskip(NEXT) | instid1(VALU_DEP_1)
	s_xor_b64 s[40:41], s[40:41], s[38:39]
	v_mov_b32_e32 v33, v32
	s_cvt_f32_u32 s9, s40
	s_cvt_f32_u32 s22, s41
	s_sub_nc_u64 s[48:49], 0, s[40:41]
	s_delay_alu instid0(VALU_DEP_1) | instskip(NEXT) | instid1(SALU_CYCLE_1)
	v_add_nc_u64_e32 v[42:43], v[30:31], v[32:33]
	s_fmamk_f32 s9, s22, 0x4f800000, s9
	v_mov_b32_e32 v49, v6
	s_delay_alu instid0(SALU_CYCLE_2) | instskip(NEXT) | instid1(VALU_DEP_2)
	v_s_rcp_f32 s9, s9
	v_xor_b32_e32 v44, v42, v32
	s_delay_alu instid0(VALU_DEP_3) | instskip(NEXT) | instid1(TRANS32_DEP_1)
	v_dual_mov_b32 v53, v6 :: v_dual_bitop2_b32 v48, v43, v32 bitop3:0x14
	s_mul_f32 s9, s9, 0x5f7ffffc
	s_delay_alu instid0(SALU_CYCLE_3) | instskip(NEXT) | instid1(SALU_CYCLE_3)
	s_mul_f32 s22, s9, 0x2f800000
	s_trunc_f32 s22, s22
	s_delay_alu instid0(SALU_CYCLE_3) | instskip(SKIP_1) | instid1(SALU_CYCLE_2)
	s_fmamk_f32 s9, s22, 0xcf800000, s9
	s_cvt_u32_f32 s47, s22
	s_cvt_u32_f32 s46, s9
	s_delay_alu instid0(SALU_CYCLE_3) | instskip(NEXT) | instid1(SALU_CYCLE_1)
	s_mul_u64 s[50:51], s[48:49], s[46:47]
	s_mul_hi_u32 s53, s46, s51
	s_mul_i32 s52, s46, s51
	s_mul_hi_u32 s22, s46, s50
	s_mul_i32 s39, s47, s50
	s_add_nc_u64 s[52:53], s[22:23], s[52:53]
	s_mul_hi_u32 s9, s47, s50
	s_mul_hi_u32 s45, s47, s51
	s_add_co_u32 s22, s52, s39
	s_add_co_ci_u32 s22, s53, s9
	s_mul_i32 s50, s47, s51
	s_add_co_ci_u32 s51, s45, 0
	s_delay_alu instid0(SALU_CYCLE_1) | instskip(NEXT) | instid1(SALU_CYCLE_1)
	s_add_nc_u64 s[50:51], s[22:23], s[50:51]
	s_add_co_u32 s46, s46, s50
	s_cselect_b32 s9, -1, 0
	s_delay_alu instid0(SALU_CYCLE_1) | instskip(SKIP_1) | instid1(SALU_CYCLE_1)
	s_cmp_lg_u32 s9, 0
	s_add_co_ci_u32 s47, s47, s51
	s_mul_u64 s[48:49], s[48:49], s[46:47]
	s_delay_alu instid0(SALU_CYCLE_1)
	s_mul_hi_u32 s51, s46, s49
	s_mul_i32 s50, s46, s49
	s_mul_hi_u32 s22, s46, s48
	s_mul_i32 s39, s47, s48
	s_add_nc_u64 s[50:51], s[22:23], s[50:51]
	s_mul_hi_u32 s9, s47, s48
	s_mul_hi_u32 s45, s47, s49
	s_add_co_u32 s22, s50, s39
	s_add_co_ci_u32 s22, s51, s9
	s_mul_i32 s48, s47, s49
	s_add_co_ci_u32 s49, s45, 0
	s_delay_alu instid0(SALU_CYCLE_1) | instskip(NEXT) | instid1(SALU_CYCLE_1)
	s_add_nc_u64 s[48:49], s[22:23], s[48:49]
	s_add_co_u32 s46, s46, s48
	s_cselect_b32 s9, -1, 0
	v_mul_hi_u32 v52, v44, s46
	s_cmp_lg_u32 s9, 0
	s_add_co_ci_u32 s22, s47, s49
	s_and_b64 s[48:49], s[46:47], s[30:31]
	v_mul_u64_e32 v[46:47], s[22:23], v[44:45]
	v_mul_u64_e32 v[42:43], s[48:49], v[48:49]
	;; [unrolled: 1-line block ×3, first 2 shown]
	s_delay_alu instid0(VALU_DEP_3) | instskip(NEXT) | instid1(VALU_DEP_1)
	v_add_nc_u64_e32 v[46:47], v[52:53], v[46:47]
	v_add_co_u32 v7, vcc_lo, v46, v42
	s_delay_alu instid0(VALU_DEP_2) | instskip(NEXT) | instid1(VALU_DEP_4)
	v_add_co_ci_u32_e32 v52, vcc_lo, v47, v43, vcc_lo
	v_add_co_ci_u32_e32 v51, vcc_lo, 0, v51, vcc_lo
	s_delay_alu instid0(VALU_DEP_1) | instskip(NEXT) | instid1(VALU_DEP_1)
	v_add_nc_u64_e32 v[42:43], v[52:53], v[50:51]
	v_mul_u64_e32 v[46:47], s[40:41], v[42:43]
	s_delay_alu instid0(VALU_DEP_1) | instskip(NEXT) | instid1(VALU_DEP_2)
	v_sub_nc_u32_e32 v7, v48, v47
	v_sub_co_u32 v23, vcc_lo, v44, v46
	s_delay_alu instid0(VALU_DEP_1) | instskip(NEXT) | instid1(VALU_DEP_3)
	v_sub_co_ci_u32_e64 v33, null, v48, v47, vcc_lo
	v_subrev_co_ci_u32_e64 v7, null, s41, v7, vcc_lo
	s_delay_alu instid0(VALU_DEP_3) | instskip(SKIP_1) | instid1(VALU_DEP_3)
	v_sub_co_u32 v31, s9, v23, s40
	v_add_nc_u64_e32 v[46:47], 1, v[42:43]
	v_subrev_co_ci_u32_e64 v7, null, 0, v7, s9
	s_delay_alu instid0(VALU_DEP_3) | instskip(SKIP_1) | instid1(VALU_DEP_3)
	v_cmp_le_u32_e32 vcc_lo, s40, v31
	v_cndmask_b32_e64 v31, 0, -1, vcc_lo
	v_cmp_le_u32_e32 vcc_lo, s41, v7
	v_cndmask_b32_e64 v44, 0, -1, vcc_lo
	;; [unrolled: 2-line block ×4, first 2 shown]
	v_cmp_eq_u32_e32 vcc_lo, s41, v7
	v_cndmask_b32_e32 v7, v44, v31, vcc_lo
	v_cmp_eq_u32_e32 vcc_lo, s41, v33
	v_add_nc_u64_e32 v[44:45], 2, v[42:43]
	v_cndmask_b32_e32 v23, v48, v23, vcc_lo
	s_delay_alu instid0(VALU_DEP_4) | instskip(NEXT) | instid1(VALU_DEP_3)
	v_cmp_ne_u32_e32 vcc_lo, 0, v7
	v_cndmask_b32_e32 v7, v47, v45, vcc_lo
	s_delay_alu instid0(VALU_DEP_3) | instskip(SKIP_1) | instid1(VALU_DEP_2)
	v_cmp_ne_u32_e64 s9, 0, v23
	v_cndmask_b32_e32 v23, v46, v44, vcc_lo
	v_dual_cndmask_b32 v7, v43, v7, s9 :: v_dual_bitop2_b32 v32, s38, v32 bitop3:0x14
	s_delay_alu instid0(VALU_DEP_1) | instskip(NEXT) | instid1(VALU_DEP_2)
	v_dual_cndmask_b32 v23, v42, v23, s9 :: v_dual_mov_b32 v33, v32
	v_xor_b32_e32 v43, v7, v32
	s_delay_alu instid0(VALU_DEP_2) | instskip(NEXT) | instid1(VALU_DEP_1)
	v_xor_b32_e32 v42, v23, v32
	v_sub_nc_u64_e32 v[32:33], v[42:43], v[32:33]
.LBB34_12:                              ;   in Loop: Header=BB34_10 Depth=2
	s_and_not1_saveexec_b32 s9, s44
	s_cbranch_execz .LBB34_14
; %bb.13:                               ;   in Loop: Header=BB34_10 Depth=2
	v_mul_hi_u32 v7, v30, v41
	v_mov_b32_e32 v33, v6
	s_delay_alu instid0(VALU_DEP_2) | instskip(NEXT) | instid1(VALU_DEP_1)
	v_mul_lo_u32 v23, v7, s14
	v_sub_nc_u32_e32 v23, v30, v23
	s_delay_alu instid0(VALU_DEP_1) | instskip(SKIP_1) | instid1(VALU_DEP_2)
	v_subrev_nc_u32_e32 v32, s14, v23
	v_cmp_le_u32_e32 vcc_lo, s14, v23
	v_dual_add_nc_u32 v31, 1, v7 :: v_dual_cndmask_b32 v23, v23, v32, vcc_lo
	s_delay_alu instid0(VALU_DEP_1) | instskip(NEXT) | instid1(VALU_DEP_2)
	v_cndmask_b32_e32 v7, v7, v31, vcc_lo
	v_cmp_le_u32_e32 vcc_lo, s14, v23
	s_delay_alu instid0(VALU_DEP_2) | instskip(NEXT) | instid1(VALU_DEP_1)
	v_add_nc_u32_e32 v31, 1, v7
	v_cndmask_b32_e32 v32, v7, v31, vcc_lo
.LBB34_14:                              ;   in Loop: Header=BB34_10 Depth=2
	s_or_b32 exec_lo, exec_lo, s9
	s_delay_alu instid0(VALU_DEP_1) | instskip(SKIP_2) | instid1(SALU_CYCLE_1)
	v_cmp_ne_u64_e64 s9, v[32:33], v[20:21]
	v_cmp_eq_u64_e32 vcc_lo, v[32:33], v[20:21]
	s_and_saveexec_b32 s22, s9
	s_xor_b32 s9, exec_lo, s22
; %bb.15:                               ;   in Loop: Header=BB34_10 Depth=2
	v_min_i64 v[16:17], v[32:33], v[16:17]
                                        ; implicit-def: $vgpr30_vgpr31
                                        ; implicit-def: $vgpr28_vgpr29
; %bb.16:                               ;   in Loop: Header=BB34_10 Depth=2
	s_or_saveexec_b32 s9, s9
	v_mov_b64_e32 v[32:33], v[18:19]
	s_xor_b32 exec_lo, exec_lo, s9
	s_cbranch_execz .LBB34_9
; %bb.17:                               ;   in Loop: Header=BB34_10 Depth=2
	global_load_b32 v7, v[24:25], off
	v_sub_nc_u32_e32 v23, v30, v22
	v_mov_b64_e32 v[32:33], v[28:29]
	s_delay_alu instid0(VALU_DEP_2)
	v_lshl_add_u32 v23, v23, 2, v34
	ds_store_b8 v6, v40 offset:16384
	s_wait_loadcnt 0x0
	ds_store_b32 v23, v7
	s_branch .LBB34_9
.LBB34_18:                              ;   in Loop: Header=BB34_7 Depth=1
	s_or_b32 exec_lo, exec_lo, s43
.LBB34_19:                              ;   in Loop: Header=BB34_7 Depth=1
	s_delay_alu instid0(SALU_CYCLE_1)
	s_or_b32 exec_lo, exec_lo, s42
	ds_bpermute_b32 v18, v38, v32
	ds_bpermute_b32 v19, v38, v33
	s_wait_dscnt 0x0
	s_barrier_signal -1
	s_barrier_wait -1
	ds_load_u8 v7, v6 offset:16384
	s_mov_b64 s[40:41], 0
	v_min_i64 v[18:19], v[18:19], v[32:33]
	s_wait_dscnt 0x0
	v_and_b32_e32 v7, 1, v7
	s_delay_alu instid0(VALU_DEP_1)
	v_cmp_eq_u32_e32 vcc_lo, 0, v7
	s_and_b32 vcc_lo, exec_lo, vcc_lo
	ds_bpermute_b32 v22, v39, v18
	ds_bpermute_b32 v23, v39, v19
	s_wait_dscnt 0x0
	v_min_i64 v[18:19], v[22:23], v[18:19]
	ds_bpermute_b32 v18, v36, v18
	ds_bpermute_b32 v19, v36, v19
	s_cbranch_vccnz .LBB34_43
; %bb.20:                               ;   in Loop: Header=BB34_7 Depth=1
	s_mul_u64 s[40:41], s[34:35], s[18:19]
	v_add_nc_u64_e32 v[20:21], s[28:29], v[20:21]
	v_add_nc_u64_e32 v[32:33], s[40:41], v[10:11]
	;; [unrolled: 1-line block ×6, first 2 shown]
	s_lshl_b64 s[40:41], s[18:19], 3
	s_delay_alu instid0(SALU_CYCLE_1)
	s_add_nc_u64 s[42:43], s[24:25], s[40:41]
	v_mad_nc_u64_u32 v[22:23], s14, v32, v[0:1]
	v_mad_nc_u64_u32 v[24:25], s14, v42, v[0:1]
	;; [unrolled: 1-line block ×5, first 2 shown]
	s_mov_b64 s[40:41], 0
	global_store_b64 v6, v[20:21], s[42:43]
	v_mad_u32 v7, s15, v32, v23
	v_mad_u32 v25, s15, v42, v25
	v_mad_u32 v27, s15, v44, v27
	v_mad_u32 v29, s15, v46, v29
	v_mad_u32 v31, s15, v48, v31
	v_mad_u32 v23, s14, v33, v7
	v_mad_u32 v25, s14, v43, v25
	v_mad_u32 v27, s14, v45, v27
	v_mad_u32 v29, s14, v47, v29
	v_mad_u32 v31, s14, v49, v31
	v_mov_b32_e32 v7, v37
	s_branch .LBB34_22
.LBB34_21:                              ;   in Loop: Header=BB34_22 Depth=2
	s_wait_xcnt 0x0
	s_or_b32 exec_lo, exec_lo, s9
	v_add_nc_u64_e32 v[22:23], s[36:37], v[22:23]
	v_add_nc_u64_e32 v[24:25], s[36:37], v[24:25]
	;; [unrolled: 1-line block ×5, first 2 shown]
	s_add_nc_u64 s[40:41], s[40:41], 16
	v_add_nc_u32_e32 v7, 64, v7
	s_add_co_i32 s9, s40, -4
	s_delay_alu instid0(SALU_CYCLE_1)
	s_cmp_lt_u32 s9, 60
	s_cbranch_scc0 .LBB34_42
.LBB34_22:                              ;   Parent Loop BB34_7 Depth=1
                                        ; =>  This Inner Loop Header: Depth=2
	s_wait_xcnt 0x0
	s_wait_dscnt 0x0
	v_add_nc_u64_e32 v[20:21], s[40:41], v[4:5]
	s_delay_alu instid0(VALU_DEP_1) | instskip(SKIP_1) | instid1(SALU_CYCLE_1)
	v_cmp_gt_i64_e32 vcc_lo, s[14:15], v[20:21]
	s_and_b32 s22, s2, vcc_lo
	s_and_saveexec_b32 s9, s22
	s_cbranch_execz .LBB34_26
; %bb.23:                               ;   in Loop: Header=BB34_22 Depth=2
	ds_load_b32 v32, v7
	s_and_b32 vcc_lo, exec_lo, s33
	s_cbranch_vccz .LBB34_37
; %bb.24:                               ;   in Loop: Header=BB34_22 Depth=2
	v_add_nc_u64_e32 v[42:43], s[16:17], v[26:27]
	s_wait_dscnt 0x0
	global_store_b32 v[42:43], v32, off
	s_cbranch_execnz .LBB34_26
.LBB34_25:                              ;   in Loop: Header=BB34_22 Depth=2
	s_wait_xcnt 0x0
	v_add_nc_u64_e32 v[42:43], s[16:17], v[28:29]
	s_wait_dscnt 0x0
	global_store_b32 v[42:43], v32, off
.LBB34_26:                              ;   in Loop: Header=BB34_22 Depth=2
	s_wait_xcnt 0x0
	s_or_b32 exec_lo, exec_lo, s9
	s_wait_dscnt 0x0
	v_add_nc_u64_e32 v[32:33], 4, v[20:21]
	s_delay_alu instid0(VALU_DEP_1) | instskip(SKIP_1) | instid1(SALU_CYCLE_1)
	v_cmp_gt_i64_e32 vcc_lo, s[14:15], v[32:33]
	s_and_b32 s22, s2, vcc_lo
	s_and_saveexec_b32 s9, s22
	s_cbranch_execz .LBB34_30
; %bb.27:                               ;   in Loop: Header=BB34_22 Depth=2
	ds_load_b32 v32, v7 offset:16
	s_and_not1_b32 vcc_lo, exec_lo, s33
	s_cbranch_vccnz .LBB34_38
; %bb.28:                               ;   in Loop: Header=BB34_22 Depth=2
	v_add_nc_u64_e32 v[42:43], s[16:17], v[24:25]
	s_wait_dscnt 0x0
	global_store_b32 v[42:43], v32, off
	s_cbranch_execnz .LBB34_30
.LBB34_29:                              ;   in Loop: Header=BB34_22 Depth=2
	s_wait_xcnt 0x0
	v_add_nc_u64_e32 v[42:43], s[16:17], v[28:29]
	s_wait_dscnt 0x0
	global_store_b32 v[42:43], v32, off offset:16
.LBB34_30:                              ;   in Loop: Header=BB34_22 Depth=2
	s_wait_xcnt 0x0
	s_or_b32 exec_lo, exec_lo, s9
	s_wait_dscnt 0x0
	v_add_nc_u64_e32 v[32:33], 8, v[20:21]
	s_delay_alu instid0(VALU_DEP_1) | instskip(SKIP_1) | instid1(SALU_CYCLE_1)
	v_cmp_gt_i64_e32 vcc_lo, s[14:15], v[32:33]
	s_and_b32 s22, s2, vcc_lo
	s_and_saveexec_b32 s9, s22
	s_cbranch_execz .LBB34_34
; %bb.31:                               ;   in Loop: Header=BB34_22 Depth=2
	ds_load_b32 v32, v7 offset:32
	s_and_not1_b32 vcc_lo, exec_lo, s33
	s_cbranch_vccnz .LBB34_39
; %bb.32:                               ;   in Loop: Header=BB34_22 Depth=2
	v_add_nc_u64_e32 v[42:43], s[16:17], v[22:23]
	s_wait_dscnt 0x0
	global_store_b32 v[42:43], v32, off
	s_cbranch_execnz .LBB34_34
.LBB34_33:                              ;   in Loop: Header=BB34_22 Depth=2
	s_wait_xcnt 0x0
	v_add_nc_u64_e32 v[42:43], s[16:17], v[28:29]
	s_wait_dscnt 0x0
	global_store_b32 v[42:43], v32, off offset:32
.LBB34_34:                              ;   in Loop: Header=BB34_22 Depth=2
	s_wait_xcnt 0x0
	s_or_b32 exec_lo, exec_lo, s9
	v_add_nc_u64_e32 v[20:21], 12, v[20:21]
	s_delay_alu instid0(VALU_DEP_1) | instskip(SKIP_1) | instid1(SALU_CYCLE_1)
	v_cmp_gt_i64_e32 vcc_lo, s[14:15], v[20:21]
	s_and_b32 s22, s2, vcc_lo
	s_and_saveexec_b32 s9, s22
	s_cbranch_execz .LBB34_21
; %bb.35:                               ;   in Loop: Header=BB34_22 Depth=2
	ds_load_b32 v20, v7 offset:48
	s_and_not1_b32 vcc_lo, exec_lo, s33
	s_cbranch_vccnz .LBB34_40
; %bb.36:                               ;   in Loop: Header=BB34_22 Depth=2
	s_wait_dscnt 0x1
	v_add_nc_u64_e32 v[32:33], s[16:17], v[30:31]
	s_wait_dscnt 0x0
	global_store_b32 v[32:33], v20, off
	s_cbranch_execnz .LBB34_21
	s_branch .LBB34_41
.LBB34_37:                              ;   in Loop: Header=BB34_22 Depth=2
	s_branch .LBB34_25
.LBB34_38:                              ;   in Loop: Header=BB34_22 Depth=2
	s_branch .LBB34_29
.LBB34_39:                              ;   in Loop: Header=BB34_22 Depth=2
	s_branch .LBB34_33
.LBB34_40:                              ;   in Loop: Header=BB34_22 Depth=2
.LBB34_41:                              ;   in Loop: Header=BB34_22 Depth=2
	s_wait_dscnt 0x1
	s_wait_xcnt 0x0
	v_add_nc_u64_e32 v[32:33], s[16:17], v[28:29]
	s_wait_dscnt 0x0
	global_store_b32 v[32:33], v20, off offset:48
	s_branch .LBB34_21
.LBB34_42:                              ;   in Loop: Header=BB34_7 Depth=1
	s_mov_b64 s[40:41], 1
.LBB34_43:                              ;   in Loop: Header=BB34_7 Depth=1
	s_wait_storecnt_dscnt 0x0
	s_barrier_signal -1
	s_barrier_wait -1
	ds_store_b64 v35, v[16:17]
	s_wait_dscnt 0x0
	s_barrier_signal -1
	s_barrier_wait -1
	s_and_saveexec_b32 s9, s0
	s_cbranch_execz .LBB34_45
; %bb.44:                               ;   in Loop: Header=BB34_7 Depth=1
	ds_load_2addr_stride64_b64 v[20:23], v35 offset1:2
	s_wait_dscnt 0x0
	v_min_i64 v[16:17], v[22:23], v[20:21]
	ds_store_b64 v35, v[16:17]
.LBB34_45:                              ;   in Loop: Header=BB34_7 Depth=1
	s_or_b32 exec_lo, exec_lo, s9
	s_wait_dscnt 0x0
	s_barrier_signal -1
	s_barrier_wait -1
	s_and_saveexec_b32 s9, s1
	s_cbranch_execz .LBB34_47
; %bb.46:                               ;   in Loop: Header=BB34_7 Depth=1
	ds_load_2addr_stride64_b64 v[20:23], v35 offset1:1
	s_wait_dscnt 0x0
	v_min_i64 v[16:17], v[22:23], v[20:21]
	ds_store_b64 v35, v[16:17]
.LBB34_47:                              ;   in Loop: Header=BB34_7 Depth=1
	s_or_b32 exec_lo, exec_lo, s9
	s_wait_dscnt 0x0
	s_barrier_signal -1
	s_barrier_wait -1
	s_and_saveexec_b32 s9, s3
	s_cbranch_execz .LBB34_49
; %bb.48:                               ;   in Loop: Header=BB34_7 Depth=1
	ds_load_2addr_b64 v[20:23], v35 offset1:32
	s_wait_dscnt 0x0
	v_min_i64 v[16:17], v[22:23], v[20:21]
	ds_store_b64 v35, v[16:17]
.LBB34_49:                              ;   in Loop: Header=BB34_7 Depth=1
	s_or_b32 exec_lo, exec_lo, s9
	s_wait_dscnt 0x0
	s_barrier_signal -1
	s_barrier_wait -1
	s_and_saveexec_b32 s9, s4
	s_cbranch_execz .LBB34_51
; %bb.50:                               ;   in Loop: Header=BB34_7 Depth=1
	ds_load_2addr_b64 v[20:23], v35 offset1:16
	s_wait_dscnt 0x0
	v_min_i64 v[16:17], v[22:23], v[20:21]
	ds_store_b64 v35, v[16:17]
.LBB34_51:                              ;   in Loop: Header=BB34_7 Depth=1
	;; [unrolled: 12-line block ×5, first 2 shown]
	s_or_b32 exec_lo, exec_lo, s9
	s_wait_dscnt 0x0
	s_barrier_signal -1
	s_barrier_wait -1
	s_and_saveexec_b32 s9, s8
	s_cbranch_execz .LBB34_6
; %bb.58:                               ;   in Loop: Header=BB34_7 Depth=1
	ds_load_b128 v[20:23], v6
	s_wait_dscnt 0x0
	v_min_i64 v[16:17], v[22:23], v[20:21]
	ds_store_b64 v6, v[16:17]
	s_branch .LBB34_6
.LBB34_59:
	s_endpgm
	.section	.rodata,"a",@progbits
	.p2align	6, 0x0
	.amdhsa_kernel _ZN9rocsparseL38csr2bsr_block_per_row_multipass_kernelILj256ELj64EillEEv20rocsparse_direction_T3_S2_S2_S2_S2_21rocsparse_index_base_PKT1_PKT2_PKS2_S3_PS4_PS7_PS2_
		.amdhsa_group_segment_fixed_size 16388
		.amdhsa_private_segment_fixed_size 0
		.amdhsa_kernarg_size 112
		.amdhsa_user_sgpr_count 2
		.amdhsa_user_sgpr_dispatch_ptr 0
		.amdhsa_user_sgpr_queue_ptr 0
		.amdhsa_user_sgpr_kernarg_segment_ptr 1
		.amdhsa_user_sgpr_dispatch_id 0
		.amdhsa_user_sgpr_kernarg_preload_length 0
		.amdhsa_user_sgpr_kernarg_preload_offset 0
		.amdhsa_user_sgpr_private_segment_size 0
		.amdhsa_wavefront_size32 1
		.amdhsa_uses_dynamic_stack 0
		.amdhsa_enable_private_segment 0
		.amdhsa_system_sgpr_workgroup_id_x 1
		.amdhsa_system_sgpr_workgroup_id_y 0
		.amdhsa_system_sgpr_workgroup_id_z 0
		.amdhsa_system_sgpr_workgroup_info 0
		.amdhsa_system_vgpr_workitem_id 0
		.amdhsa_next_free_vgpr 54
		.amdhsa_next_free_sgpr 54
		.amdhsa_named_barrier_count 0
		.amdhsa_reserve_vcc 1
		.amdhsa_float_round_mode_32 0
		.amdhsa_float_round_mode_16_64 0
		.amdhsa_float_denorm_mode_32 3
		.amdhsa_float_denorm_mode_16_64 3
		.amdhsa_fp16_overflow 0
		.amdhsa_memory_ordered 1
		.amdhsa_forward_progress 1
		.amdhsa_inst_pref_size 24
		.amdhsa_round_robin_scheduling 0
		.amdhsa_exception_fp_ieee_invalid_op 0
		.amdhsa_exception_fp_denorm_src 0
		.amdhsa_exception_fp_ieee_div_zero 0
		.amdhsa_exception_fp_ieee_overflow 0
		.amdhsa_exception_fp_ieee_underflow 0
		.amdhsa_exception_fp_ieee_inexact 0
		.amdhsa_exception_int_div_zero 0
	.end_amdhsa_kernel
	.section	.text._ZN9rocsparseL38csr2bsr_block_per_row_multipass_kernelILj256ELj64EillEEv20rocsparse_direction_T3_S2_S2_S2_S2_21rocsparse_index_base_PKT1_PKT2_PKS2_S3_PS4_PS7_PS2_,"axG",@progbits,_ZN9rocsparseL38csr2bsr_block_per_row_multipass_kernelILj256ELj64EillEEv20rocsparse_direction_T3_S2_S2_S2_S2_21rocsparse_index_base_PKT1_PKT2_PKS2_S3_PS4_PS7_PS2_,comdat
.Lfunc_end34:
	.size	_ZN9rocsparseL38csr2bsr_block_per_row_multipass_kernelILj256ELj64EillEEv20rocsparse_direction_T3_S2_S2_S2_S2_21rocsparse_index_base_PKT1_PKT2_PKS2_S3_PS4_PS7_PS2_, .Lfunc_end34-_ZN9rocsparseL38csr2bsr_block_per_row_multipass_kernelILj256ELj64EillEEv20rocsparse_direction_T3_S2_S2_S2_S2_21rocsparse_index_base_PKT1_PKT2_PKS2_S3_PS4_PS7_PS2_
                                        ; -- End function
	.set _ZN9rocsparseL38csr2bsr_block_per_row_multipass_kernelILj256ELj64EillEEv20rocsparse_direction_T3_S2_S2_S2_S2_21rocsparse_index_base_PKT1_PKT2_PKS2_S3_PS4_PS7_PS2_.num_vgpr, 54
	.set _ZN9rocsparseL38csr2bsr_block_per_row_multipass_kernelILj256ELj64EillEEv20rocsparse_direction_T3_S2_S2_S2_S2_21rocsparse_index_base_PKT1_PKT2_PKS2_S3_PS4_PS7_PS2_.num_agpr, 0
	.set _ZN9rocsparseL38csr2bsr_block_per_row_multipass_kernelILj256ELj64EillEEv20rocsparse_direction_T3_S2_S2_S2_S2_21rocsparse_index_base_PKT1_PKT2_PKS2_S3_PS4_PS7_PS2_.numbered_sgpr, 54
	.set _ZN9rocsparseL38csr2bsr_block_per_row_multipass_kernelILj256ELj64EillEEv20rocsparse_direction_T3_S2_S2_S2_S2_21rocsparse_index_base_PKT1_PKT2_PKS2_S3_PS4_PS7_PS2_.num_named_barrier, 0
	.set _ZN9rocsparseL38csr2bsr_block_per_row_multipass_kernelILj256ELj64EillEEv20rocsparse_direction_T3_S2_S2_S2_S2_21rocsparse_index_base_PKT1_PKT2_PKS2_S3_PS4_PS7_PS2_.private_seg_size, 0
	.set _ZN9rocsparseL38csr2bsr_block_per_row_multipass_kernelILj256ELj64EillEEv20rocsparse_direction_T3_S2_S2_S2_S2_21rocsparse_index_base_PKT1_PKT2_PKS2_S3_PS4_PS7_PS2_.uses_vcc, 1
	.set _ZN9rocsparseL38csr2bsr_block_per_row_multipass_kernelILj256ELj64EillEEv20rocsparse_direction_T3_S2_S2_S2_S2_21rocsparse_index_base_PKT1_PKT2_PKS2_S3_PS4_PS7_PS2_.uses_flat_scratch, 0
	.set _ZN9rocsparseL38csr2bsr_block_per_row_multipass_kernelILj256ELj64EillEEv20rocsparse_direction_T3_S2_S2_S2_S2_21rocsparse_index_base_PKT1_PKT2_PKS2_S3_PS4_PS7_PS2_.has_dyn_sized_stack, 0
	.set _ZN9rocsparseL38csr2bsr_block_per_row_multipass_kernelILj256ELj64EillEEv20rocsparse_direction_T3_S2_S2_S2_S2_21rocsparse_index_base_PKT1_PKT2_PKS2_S3_PS4_PS7_PS2_.has_recursion, 0
	.set _ZN9rocsparseL38csr2bsr_block_per_row_multipass_kernelILj256ELj64EillEEv20rocsparse_direction_T3_S2_S2_S2_S2_21rocsparse_index_base_PKT1_PKT2_PKS2_S3_PS4_PS7_PS2_.has_indirect_call, 0
	.section	.AMDGPU.csdata,"",@progbits
; Kernel info:
; codeLenInByte = 2968
; TotalNumSgprs: 56
; NumVgprs: 54
; ScratchSize: 0
; MemoryBound: 0
; FloatMode: 240
; IeeeMode: 1
; LDSByteSize: 16388 bytes/workgroup (compile time only)
; SGPRBlocks: 0
; VGPRBlocks: 3
; NumSGPRsForWavesPerEU: 56
; NumVGPRsForWavesPerEU: 54
; NamedBarCnt: 0
; Occupancy: 16
; WaveLimiterHint : 1
; COMPUTE_PGM_RSRC2:SCRATCH_EN: 0
; COMPUTE_PGM_RSRC2:USER_SGPR: 2
; COMPUTE_PGM_RSRC2:TRAP_HANDLER: 0
; COMPUTE_PGM_RSRC2:TGID_X_EN: 1
; COMPUTE_PGM_RSRC2:TGID_Y_EN: 0
; COMPUTE_PGM_RSRC2:TGID_Z_EN: 0
; COMPUTE_PGM_RSRC2:TIDIG_COMP_CNT: 0
	.section	.text._ZN9rocsparseL21csr2bsr_65_inf_kernelILj32EillEEv20rocsparse_direction_T2_S2_S2_S2_S2_S2_21rocsparse_index_base_PKT0_PKT1_PKS2_S3_PS4_PS7_PS2_SD_SE_SC_,"axG",@progbits,_ZN9rocsparseL21csr2bsr_65_inf_kernelILj32EillEEv20rocsparse_direction_T2_S2_S2_S2_S2_S2_21rocsparse_index_base_PKT0_PKT1_PKS2_S3_PS4_PS7_PS2_SD_SE_SC_,comdat
	.globl	_ZN9rocsparseL21csr2bsr_65_inf_kernelILj32EillEEv20rocsparse_direction_T2_S2_S2_S2_S2_S2_21rocsparse_index_base_PKT0_PKT1_PKS2_S3_PS4_PS7_PS2_SD_SE_SC_ ; -- Begin function _ZN9rocsparseL21csr2bsr_65_inf_kernelILj32EillEEv20rocsparse_direction_T2_S2_S2_S2_S2_S2_21rocsparse_index_base_PKT0_PKT1_PKS2_S3_PS4_PS7_PS2_SD_SE_SC_
	.p2align	8
	.type	_ZN9rocsparseL21csr2bsr_65_inf_kernelILj32EillEEv20rocsparse_direction_T2_S2_S2_S2_S2_S2_21rocsparse_index_base_PKT0_PKT1_PKS2_S3_PS4_PS7_PS2_SD_SE_SC_,@function
_ZN9rocsparseL21csr2bsr_65_inf_kernelILj32EillEEv20rocsparse_direction_T2_S2_S2_S2_S2_S2_21rocsparse_index_base_PKT0_PKT1_PKS2_S3_PS4_PS7_PS2_SD_SE_SC_: ; @_ZN9rocsparseL21csr2bsr_65_inf_kernelILj32EillEEv20rocsparse_direction_T2_S2_S2_S2_S2_S2_21rocsparse_index_base_PKT0_PKT1_PKS2_S3_PS4_PS7_PS2_SD_SE_SC_
; %bb.0:
	s_clause 0x1
	s_load_b64 s[8:9], s[0:1], 0x18
	s_load_b128 s[4:7], s[0:1], 0x8
	s_bfe_u32 s10, ttmp6, 0x4000c
	s_clause 0x1
	s_load_b64 s[2:3], s[0:1], 0x78
	s_load_b32 s12, s[0:1], 0x58
	s_add_co_i32 s10, s10, 1
	s_and_b32 s11, ttmp6, 15
	s_mul_i32 s10, ttmp9, s10
	s_getreg_b32 s13, hwreg(HW_REG_IB_STS2, 6, 4)
	s_add_co_i32 s11, s11, s10
	s_cmp_eq_u32 s13, 0
	s_mov_b32 s21, 0
	s_cselect_b32 s20, ttmp9, s11
	s_mov_b64 s[22:23], 0
	s_wait_kmcnt 0x0
	v_cmp_le_i64_e64 s8, s[8:9], s[20:21]
	s_and_b32 vcc_lo, exec_lo, s8
	s_cbranch_vccnz .LBB35_2
; %bb.1:
	s_load_b64 s[8:9], s[0:1], 0x68
	s_lshl_b64 s[10:11], s[20:21], 3
	s_mov_b32 s13, s21
	s_wait_kmcnt 0x0
	s_add_nc_u64 s[8:9], s[8:9], s[10:11]
	s_load_b64 s[8:9], s[8:9], 0x0
	s_wait_kmcnt 0x0
	s_sub_nc_u64 s[22:23], s[8:9], s[12:13]
.LBB35_2:
	s_clause 0x1
	s_load_b128 s[8:11], s[0:1], 0x28
	s_load_b32 s14, s[0:1], 0x38
	v_mov_b32_e32 v1, 0
	s_wait_kmcnt 0x0
	s_delay_alu instid0(VALU_DEP_1)
	v_mul_u64_e32 v[8:9], s[10:11], v[0:1]
	s_mul_u64 s[16:17], s[20:21], s[10:11]
	s_lshl_b64 s[18:19], s[10:11], 8
	s_lshl_b64 s[16:17], s[16:17], 9
	v_cmp_lt_i64_e64 s13, s[10:11], 1
	s_add_nc_u64 s[2:3], s[2:3], s[16:17]
	v_cmp_gt_i64_e64 s33, s[10:11], 0
	s_add_nc_u64 s[16:17], s[2:3], s[18:19]
	s_and_b32 vcc_lo, exec_lo, s13
	v_lshlrev_b64_e32 v[4:5], 3, v[8:9]
	s_delay_alu instid0(VALU_DEP_1)
	v_add_nc_u64_e32 v[2:3], s[2:3], v[4:5]
	v_add_nc_u64_e32 v[4:5], s[16:17], v[4:5]
	s_cbranch_vccnz .LBB35_7
; %bb.3:
	s_load_b64 s[2:3], s[0:1], 0x48
	s_mul_u64 s[16:17], s[8:9], s[20:21]
	s_delay_alu instid0(VALU_DEP_1)
	v_mov_b64_e32 v[12:13], v[4:5]
	v_add_nc_u64_e32 v[6:7], s[16:17], v[0:1]
	v_mov_b64_e32 v[14:15], v[0:1]
	v_mov_b64_e32 v[16:17], v[2:3]
	s_mov_b32 s15, 0
	s_mov_b64 s[18:19], s[10:11]
	s_wait_kmcnt 0x0
	s_delay_alu instid0(VALU_DEP_3) | instskip(SKIP_1) | instid1(VALU_DEP_2)
	v_lshl_add_u64 v[10:11], v[6:7], 3, s[2:3]
	v_mov_b64_e32 v[6:7], 0
	v_add_nc_u64_e32 v[10:11], 8, v[10:11]
	s_branch .LBB35_5
.LBB35_4:                               ;   in Loop: Header=BB35_5 Depth=1
	s_wait_xcnt 0x0
	s_or_b32 exec_lo, exec_lo, s2
	v_add_nc_u64_e32 v[16:17], 8, v[16:17]
	v_add_nc_u64_e32 v[10:11], 0x100, v[10:11]
	;; [unrolled: 1-line block ×4, first 2 shown]
	s_add_nc_u64 s[18:19], s[18:19], -1
	s_delay_alu instid0(SALU_CYCLE_1)
	s_cmp_eq_u64 s[18:19], 0
	s_cbranch_scc1 .LBB35_7
.LBB35_5:                               ; =>This Inner Loop Header: Depth=1
	s_delay_alu instid0(VALU_DEP_2)
	v_add_nc_u64_e32 v[18:19], s[16:17], v[14:15]
	v_cmp_gt_i64_e64 s2, s[8:9], v[14:15]
	global_store_b64 v[16:17], v[6:7], off
	global_store_b64 v[12:13], v[6:7], off
	v_cmp_gt_i64_e32 vcc_lo, s[4:5], v[18:19]
	s_and_b32 s3, vcc_lo, s2
	s_wait_xcnt 0x0
	s_and_saveexec_b32 s2, s3
	s_cbranch_execz .LBB35_4
; %bb.6:                                ;   in Loop: Header=BB35_5 Depth=1
	global_load_b128 v[18:21], v[10:11], off offset:-8
	s_wait_loadcnt 0x0
	v_sub_nc_u64_e64 v[18:19], v[18:19], s[14:15]
	v_sub_nc_u64_e64 v[20:21], v[20:21], s[14:15]
	global_store_b64 v[16:17], v[18:19], off
	global_store_b64 v[12:13], v[20:21], off
	s_branch .LBB35_4
.LBB35_7:
	v_cmp_lt_i64_e64 s2, s[6:7], 1
	s_and_b32 vcc_lo, exec_lo, s2
	s_cbranch_vccnz .LBB35_52
; %bb.8:
	v_mbcnt_lo_u32_b32 v10, -1, 0
	s_clause 0x5
	s_load_b128 s[24:27], s[0:1], 0x80
	s_load_b64 s[28:29], s[0:1], 0x70
	s_load_b64 s[2:3], s[0:1], 0x60
	;; [unrolled: 1-line block ×4, first 2 shown]
	s_load_b32 s18, s[0:1], 0x0
	s_lshl_b64 s[30:31], s[10:11], 5
	v_mov_b64_e32 v[18:19], 0
	v_xor_b32_e32 v15, 1, v10
	v_xor_b32_e32 v13, 2, v10
	v_xor_b32_e32 v12, 4, v10
	v_xor_b32_e32 v11, 8, v10
	v_xor_b32_e32 v6, 16, v10
	s_wait_xcnt 0x0
	s_mul_u64 s[0:1], s[30:31], s[20:21]
	v_mov_b64_e32 v[16:17], 0
	s_lshl_b64 s[20:21], s[0:1], 3
	s_lshl_b64 s[0:1], s[0:1], 2
	v_cmp_gt_i32_e32 vcc_lo, 32, v6
	v_mov_b32_e32 v43, 0x7c
	s_mov_b32 s19, 0
	s_mov_b32 s40, 0
	;; [unrolled: 1-line block ×3, first 2 shown]
	v_cndmask_b32_e32 v14, v10, v6, vcc_lo
	v_cmp_gt_i32_e32 vcc_lo, 32, v11
	s_wait_kmcnt 0x0
	s_add_nc_u64 s[20:21], s[24:25], s[20:21]
	s_add_nc_u64 s[0:1], s[26:27], s[0:1]
	v_lshl_add_u64 v[6:7], v[8:9], 3, s[20:21]
	v_lshl_add_u64 v[8:9], v[8:9], 2, s[0:1]
	v_cndmask_b32_e32 v11, v10, v11, vcc_lo
	v_cmp_gt_i32_e32 vcc_lo, 32, v12
	v_cmp_eq_u32_e64 s0, 31, v0
	s_lshl_b64 s[20:21], s[22:23], 3
	s_cmp_lg_u32 s18, 0
	v_dual_cndmask_b32 v12, v10, v12 :: v_dual_lshlrev_b32 v39, 2, v11
	v_cmp_gt_i32_e32 vcc_lo, 32, v13
	s_mov_b32 s13, s19
	s_add_nc_u64 s[20:21], s[28:29], s[20:21]
	s_cselect_b32 s38, -1, 0
	v_dual_cndmask_b32 v13, v10, v13 :: v_dual_lshlrev_b32 v40, 2, v12
	v_cmp_gt_i32_e32 vcc_lo, 32, v15
	v_lshlrev_b32_e32 v38, 2, v14
	s_add_nc_u64 s[22:23], s[22:23], -1
	s_lshl_b64 s[24:25], s[8:9], 2
	v_dual_cndmask_b32 v10, v10, v15 :: v_dual_lshlrev_b32 v41, 2, v13
	v_mov_b64_e32 v[14:15], 0
	s_mov_b64 s[26:27], 0xffffffff
	s_lshl_b64 s[28:29], s[8:9], 7
	s_ashr_i32 s30, s9, 31
	v_dual_lshlrev_b32 v42, 2, v10 :: v_dual_mov_b32 v10, 0
	v_lshlrev_b32_e32 v12, 2, v0
	s_sub_co_i32 s39, 0, s8
	s_delay_alu instid0(VALU_DEP_2) | instskip(NEXT) | instid1(VALU_DEP_1)
	v_mov_b32_e32 v13, v10
	v_add_nc_u64_e32 v[12:13], s[2:3], v[12:13]
	s_branch .LBB35_10
.LBB35_9:                               ;   in Loop: Header=BB35_10 Depth=1
	s_wait_dscnt 0x2
	v_add_nc_u64_e32 v[18:19], 1, v[18:19]
	s_delay_alu instid0(VALU_DEP_1) | instskip(SKIP_1) | instid1(SALU_CYCLE_1)
	v_cmp_le_i64_e32 vcc_lo, s[6:7], v[18:19]
	s_or_b32 s40, vcc_lo, s40
	s_and_not1_b32 exec_lo, exec_lo, s40
	s_cbranch_execz .LBB35_52
.LBB35_10:                              ; =>This Loop Header: Depth=1
                                        ;     Child Loop BB35_14 Depth 2
                                        ;       Child Loop BB35_17 Depth 3
                                        ;     Child Loop BB35_33 Depth 2
	v_mov_b64_e32 v[20:21], s[6:7]
	s_and_not1_b32 vcc_lo, exec_lo, s33
	s_cbranch_vccnz .LBB35_23
; %bb.11:                               ;   in Loop: Header=BB35_10 Depth=1
	v_mov_b64_e32 v[20:21], s[6:7]
	s_mov_b64 s[34:35], 0
	s_branch .LBB35_14
.LBB35_12:                              ;   in Loop: Header=BB35_14 Depth=2
	s_wait_xcnt 0x0
	s_or_b32 exec_lo, exec_lo, s18
.LBB35_13:                              ;   in Loop: Header=BB35_14 Depth=2
	s_delay_alu instid0(SALU_CYCLE_1) | instskip(SKIP_1) | instid1(SALU_CYCLE_1)
	s_or_b32 exec_lo, exec_lo, s1
	s_add_nc_u64 s[34:35], s[34:35], 1
	s_cmp_eq_u64 s[34:35], s[10:11]
	s_cbranch_scc1 .LBB35_23
.LBB35_14:                              ;   Parent Loop BB35_10 Depth=1
                                        ; =>  This Loop Header: Depth=2
                                        ;       Child Loop BB35_17 Depth 3
	s_lshl_b64 s[36:37], s[34:35], 3
	v_mov_b64_e32 v[28:29], s[6:7]
	v_add_nc_u64_e32 v[22:23], s[36:37], v[2:3]
	v_add_nc_u64_e32 v[24:25], s[36:37], v[4:5]
	;; [unrolled: 1-line block ×3, first 2 shown]
	s_mov_b32 s1, exec_lo
	s_clause 0x1
	global_load_b64 v[34:35], v[22:23], off
	global_load_b64 v[32:33], v[24:25], off
	s_wait_xcnt 0x0
	v_lshl_add_u64 v[24:25], s[34:35], 2, v[8:9]
	global_store_b32 v[24:25], v10, off
	global_store_b64 v[26:27], v[28:29], off
	s_wait_loadcnt 0x0
	s_wait_xcnt 0x0
	v_cmpx_lt_i64_e64 v[34:35], v[32:33]
	s_cbranch_execz .LBB35_13
; %bb.15:                               ;   in Loop: Header=BB35_14 Depth=2
	v_lshl_add_u64 v[36:37], v[34:35], 3, s[4:5]
	s_mov_b32 s18, 0
                                        ; implicit-def: $sgpr31
                                        ; implicit-def: $sgpr37
                                        ; implicit-def: $sgpr36
	s_branch .LBB35_17
.LBB35_16:                              ;   in Loop: Header=BB35_17 Depth=3
	s_or_b32 exec_lo, exec_lo, s41
	s_delay_alu instid0(SALU_CYCLE_1) | instskip(NEXT) | instid1(SALU_CYCLE_1)
	s_and_b32 s41, exec_lo, s37
	s_or_b32 s18, s41, s18
	s_and_not1_b32 s31, s31, exec_lo
	s_and_b32 s41, s36, exec_lo
	s_delay_alu instid0(SALU_CYCLE_1)
	s_or_b32 s31, s31, s41
	s_and_not1_b32 exec_lo, exec_lo, s18
	s_cbranch_execz .LBB35_19
.LBB35_17:                              ;   Parent Loop BB35_10 Depth=1
                                        ;     Parent Loop BB35_14 Depth=2
                                        ; =>    This Inner Loop Header: Depth=3
	global_load_b64 v[28:29], v[36:37], off
	s_or_b32 s36, s36, exec_lo
	s_or_b32 s37, s37, exec_lo
	s_mov_b32 s41, exec_lo
	s_wait_loadcnt 0x0
	v_sub_nc_u64_e64 v[30:31], v[28:29], s[14:15]
	v_mov_b64_e32 v[28:29], v[34:35]
                                        ; implicit-def: $vgpr34_vgpr35
	s_wait_xcnt 0x0
	s_delay_alu instid0(VALU_DEP_2)
	v_cmpx_lt_i64_e64 v[30:31], v[18:19]
	s_cbranch_execz .LBB35_16
; %bb.18:                               ;   in Loop: Header=BB35_17 Depth=3
	s_delay_alu instid0(VALU_DEP_2) | instskip(SKIP_3) | instid1(VALU_DEP_2)
	v_add_nc_u64_e32 v[34:35], 1, v[28:29]
	v_add_nc_u64_e32 v[36:37], 8, v[36:37]
	s_and_not1_b32 s37, s37, exec_lo
	s_and_not1_b32 s36, s36, exec_lo
	v_cmp_ge_i64_e32 vcc_lo, v[34:35], v[32:33]
	s_and_b32 s42, vcc_lo, exec_lo
	s_delay_alu instid0(SALU_CYCLE_1)
	s_or_b32 s37, s37, s42
	s_branch .LBB35_16
.LBB35_19:                              ;   in Loop: Header=BB35_14 Depth=2
	s_or_b32 exec_lo, exec_lo, s18
	v_lshl_add_u64 v[32:33], v[28:29], 2, s[16:17]
	s_xor_b32 s18, s31, -1
	s_delay_alu instid0(SALU_CYCLE_1) | instskip(NEXT) | instid1(SALU_CYCLE_1)
	s_and_saveexec_b32 s31, s18
	s_xor_b32 s18, exec_lo, s31
	s_cbranch_execz .LBB35_21
; %bb.20:                               ;   in Loop: Header=BB35_14 Depth=2
	global_load_b32 v11, v[32:33], off
                                        ; implicit-def: $vgpr32_vgpr33
                                        ; implicit-def: $vgpr22_vgpr23
	s_wait_loadcnt 0x0
	global_store_b32 v[24:25], v11, off
	global_store_b64 v[26:27], v[30:31], off
                                        ; implicit-def: $vgpr24_vgpr25
                                        ; implicit-def: $vgpr26_vgpr27
.LBB35_21:                              ;   in Loop: Header=BB35_14 Depth=2
	s_wait_xcnt 0x0
	s_and_not1_saveexec_b32 s18, s18
	s_cbranch_execz .LBB35_12
; %bb.22:                               ;   in Loop: Header=BB35_14 Depth=2
	global_load_b32 v11, v[32:33], off
	v_min_i64 v[20:21], v[30:31], v[20:21]
	global_store_b64 v[26:27], v[30:31], off
	s_wait_loadcnt 0x0
	global_store_b32 v[24:25], v11, off
	global_store_b64 v[22:23], v[28:29], off
	s_branch .LBB35_12
.LBB35_23:                              ;   in Loop: Header=BB35_10 Depth=1
	ds_bpermute_b32 v18, v38, v20
	ds_bpermute_b32 v19, v38, v21
	s_wait_dscnt 0x0
	v_min_i64 v[18:19], v[18:19], v[20:21]
	ds_bpermute_b32 v20, v39, v18
	ds_bpermute_b32 v21, v39, v19
	s_wait_dscnt 0x0
	v_min_i64 v[18:19], v[20:21], v[18:19]
	ds_bpermute_b32 v20, v40, v18
	ds_bpermute_b32 v21, v40, v19
	s_wait_dscnt 0x0
	v_min_i64 v[18:19], v[20:21], v[18:19]
	ds_bpermute_b32 v20, v41, v18
	ds_bpermute_b32 v21, v41, v19
	s_wait_dscnt 0x0
	v_min_i64 v[18:19], v[20:21], v[18:19]
	ds_bpermute_b32 v20, v42, v18
	ds_bpermute_b32 v21, v42, v19
	s_wait_dscnt 0x0
	v_min_i64 v[18:19], v[20:21], v[18:19]
	s_delay_alu instid0(VALU_DEP_1) | instskip(SKIP_1) | instid1(SALU_CYCLE_1)
	v_cmp_gt_i64_e32 vcc_lo, s[6:7], v[18:19]
	s_and_b32 s1, s0, vcc_lo
	s_and_saveexec_b32 s36, s1
	s_cbranch_execz .LBB35_29
; %bb.24:                               ;   in Loop: Header=BB35_10 Depth=1
	v_or_b32_e32 v11, s9, v19
                                        ; implicit-def: $vgpr20_vgpr21
	s_mov_b32 s1, exec_lo
	s_delay_alu instid0(VALU_DEP_1)
	v_cmpx_ne_u64_e32 0, v[10:11]
	s_xor_b32 s37, exec_lo, s1
	s_cbranch_execnz .LBB35_50
; %bb.25:                               ;   in Loop: Header=BB35_10 Depth=1
	s_and_not1_saveexec_b32 s1, s37
	s_cbranch_execnz .LBB35_51
.LBB35_26:                              ;   in Loop: Header=BB35_10 Depth=1
	s_or_b32 exec_lo, exec_lo, s1
	s_delay_alu instid0(SALU_CYCLE_1) | instskip(NEXT) | instid1(VALU_DEP_1)
	s_mov_b32 s1, exec_lo
	v_cmpx_ge_i64_e64 v[20:21], v[16:17]
	s_cbranch_execz .LBB35_28
.LBB35_27:                              ;   in Loop: Header=BB35_10 Depth=1
	v_add_nc_u64_e32 v[22:23], s[12:13], v[20:21]
	v_lshl_add_u64 v[24:25], v[14:15], 3, s[20:21]
	v_add_nc_u64_e32 v[14:15], 1, v[14:15]
	v_add_nc_u64_e32 v[16:17], 1, v[20:21]
	global_store_b64 v[24:25], v[22:23], off
.LBB35_28:                              ;   in Loop: Header=BB35_10 Depth=1
	s_wait_xcnt 0x0
	s_or_b32 exec_lo, exec_lo, s1
.LBB35_29:                              ;   in Loop: Header=BB35_10 Depth=1
	s_delay_alu instid0(SALU_CYCLE_1)
	s_or_b32 exec_lo, exec_lo, s36
	ds_bpermute_b32 v18, v43, v18
	ds_bpermute_b32 v19, v43, v19
	;; [unrolled: 1-line block ×4, first 2 shown]
	s_and_not1_b32 vcc_lo, exec_lo, s33
	s_cbranch_vccnz .LBB35_9
; %bb.30:                               ;   in Loop: Header=BB35_10 Depth=1
	s_wait_dscnt 0x0
	v_dual_mov_b32 v11, v15 :: v_dual_mov_b32 v22, v14
	v_mov_b32_e32 v23, v10
	v_mov_b64_e32 v[28:29], v[12:13]
	s_mov_b64 s[34:35], s[10:11]
	s_delay_alu instid0(VALU_DEP_3) | instskip(NEXT) | instid1(VALU_DEP_1)
	v_add_nc_u64_e32 v[20:21], s[22:23], v[10:11]
	v_add_nc_u64_e32 v[24:25], v[20:21], v[22:23]
	;; [unrolled: 1-line block ×3, first 2 shown]
	s_delay_alu instid0(VALU_DEP_2) | instskip(NEXT) | instid1(VALU_DEP_2)
	v_mad_nc_u64_u32 v[26:27], s8, v24, v[0:1]
	v_mul_u64_e32 v[22:23], s[8:9], v[22:23]
	s_delay_alu instid0(VALU_DEP_2) | instskip(NEXT) | instid1(VALU_DEP_3)
	v_mad_u32 v11, s9, v24, v27
	v_mad_nc_u64_u32 v[20:21], s24, v26, s[2:3]
	s_delay_alu instid0(VALU_DEP_2) | instskip(NEXT) | instid1(VALU_DEP_2)
	v_mad_u32 v11, s8, v25, v11
	v_mad_u32 v21, s25, v26, v21
	v_mov_b64_e32 v[24:25], v[6:7]
	v_mov_b64_e32 v[26:27], v[8:9]
	s_delay_alu instid0(VALU_DEP_3)
	v_mad_u32 v21, s24, v11, v21
	s_branch .LBB35_33
.LBB35_31:                              ;   in Loop: Header=BB35_33 Depth=2
	s_or_b32 exec_lo, exec_lo, s1
	global_load_b32 v11, v[26:27], off
	v_lshl_add_u64 v[30:31], v[32:33], 2, v[20:21]
	s_wait_loadcnt 0x0
	global_store_b32 v[30:31], v11, off
.LBB35_32:                              ;   in Loop: Header=BB35_33 Depth=2
	s_wait_xcnt 0x0
	s_or_b32 exec_lo, exec_lo, s41
	v_add_nc_u64_e32 v[20:21], s[28:29], v[20:21]
	v_add_nc_u64_e32 v[28:29], 0x80, v[28:29]
	;; [unrolled: 1-line block ×4, first 2 shown]
	s_add_nc_u64 s[34:35], s[34:35], -1
	s_delay_alu instid0(SALU_CYCLE_1)
	s_cmp_eq_u64 s[34:35], 0
	s_cbranch_scc1 .LBB35_9
.LBB35_33:                              ;   Parent Loop BB35_10 Depth=1
                                        ; =>  This Inner Loop Header: Depth=2
	global_load_b64 v[30:31], v[24:25], off
	s_mov_b32 s41, exec_lo
	s_wait_loadcnt 0x0
	v_cmpx_gt_i64_e64 s[6:7], v[30:31]
	s_cbranch_execz .LBB35_32
; %bb.34:                               ;   in Loop: Header=BB35_33 Depth=2
	v_or_b32_e32 v36, s9, v31
                                        ; implicit-def: $vgpr32_vgpr33
	s_mov_b32 s1, exec_lo
	s_delay_alu instid0(VALU_DEP_1) | instskip(NEXT) | instid1(VALU_DEP_1)
	v_mov_b32_e32 v11, v36
	v_cmpx_ne_u64_e32 0, v[10:11]
	s_xor_b32 s42, exec_lo, s1
	s_cbranch_execz .LBB35_36
; %bb.35:                               ;   in Loop: Header=BB35_33 Depth=2
	s_mov_b32 s31, s30
	v_dual_mov_b32 v45, v10 :: v_dual_ashrrev_i32 v32, 31, v31
	s_add_nc_u64 s[36:37], s[8:9], s[30:31]
	s_delay_alu instid0(SALU_CYCLE_1) | instskip(NEXT) | instid1(VALU_DEP_1)
	s_xor_b64 s[36:37], s[36:37], s[30:31]
	v_mov_b32_e32 v33, v32
	s_cvt_f32_u32 s1, s36
	s_cvt_f32_u32 s18, s37
	s_sub_nc_u64 s[46:47], 0, s[36:37]
	s_delay_alu instid0(VALU_DEP_1) | instskip(NEXT) | instid1(SALU_CYCLE_1)
	v_add_nc_u64_e32 v[34:35], v[30:31], v[32:33]
	s_fmamk_f32 s1, s18, 0x4f800000, s1
	v_mov_b32_e32 v49, v10
	s_delay_alu instid0(SALU_CYCLE_2) | instskip(NEXT) | instid1(VALU_DEP_2)
	v_s_rcp_f32 s1, s1
	v_xor_b32_e32 v44, v34, v32
	s_delay_alu instid0(VALU_DEP_3) | instskip(SKIP_1) | instid1(TRANS32_DEP_1)
	v_dual_mov_b32 v53, v10 :: v_dual_bitop2_b32 v48, v35, v32 bitop3:0x14
	v_xor_b32_e32 v32, s30, v32
	s_mul_f32 s1, s1, 0x5f7ffffc
	s_delay_alu instid0(SALU_CYCLE_3) | instskip(NEXT) | instid1(SALU_CYCLE_3)
	s_mul_f32 s18, s1, 0x2f800000
	s_trunc_f32 s18, s18
	s_delay_alu instid0(SALU_CYCLE_3) | instskip(SKIP_1) | instid1(SALU_CYCLE_2)
	s_fmamk_f32 s1, s18, 0xcf800000, s1
	s_cvt_u32_f32 s45, s18
	s_cvt_u32_f32 s44, s1
	s_delay_alu instid0(SALU_CYCLE_3) | instskip(NEXT) | instid1(SALU_CYCLE_1)
	s_mul_u64 s[48:49], s[46:47], s[44:45]
	s_mul_hi_u32 s51, s44, s49
	s_mul_i32 s50, s44, s49
	s_mul_hi_u32 s18, s44, s48
	s_mul_i32 s31, s45, s48
	s_add_nc_u64 s[50:51], s[18:19], s[50:51]
	s_mul_hi_u32 s1, s45, s48
	s_mul_hi_u32 s43, s45, s49
	s_add_co_u32 s18, s50, s31
	s_add_co_ci_u32 s18, s51, s1
	s_mul_i32 s48, s45, s49
	s_add_co_ci_u32 s49, s43, 0
	s_delay_alu instid0(SALU_CYCLE_1) | instskip(NEXT) | instid1(SALU_CYCLE_1)
	s_add_nc_u64 s[48:49], s[18:19], s[48:49]
	s_add_co_u32 s44, s44, s48
	s_cselect_b32 s1, -1, 0
	s_delay_alu instid0(SALU_CYCLE_1) | instskip(SKIP_1) | instid1(SALU_CYCLE_1)
	s_cmp_lg_u32 s1, 0
	s_add_co_ci_u32 s45, s45, s49
	s_mul_u64 s[46:47], s[46:47], s[44:45]
	s_delay_alu instid0(SALU_CYCLE_1)
	s_mul_hi_u32 s49, s44, s47
	s_mul_i32 s48, s44, s47
	s_mul_hi_u32 s18, s44, s46
	s_mul_i32 s31, s45, s46
	s_add_nc_u64 s[48:49], s[18:19], s[48:49]
	s_mul_hi_u32 s1, s45, s46
	s_mul_hi_u32 s43, s45, s47
	s_add_co_u32 s18, s48, s31
	s_add_co_ci_u32 s18, s49, s1
	s_mul_i32 s46, s45, s47
	s_add_co_ci_u32 s47, s43, 0
	s_delay_alu instid0(SALU_CYCLE_1) | instskip(NEXT) | instid1(SALU_CYCLE_1)
	s_add_nc_u64 s[46:47], s[18:19], s[46:47]
	s_add_co_u32 s44, s44, s46
	s_cselect_b32 s1, -1, 0
	v_mul_hi_u32 v52, v44, s44
	s_cmp_lg_u32 s1, 0
	s_add_co_ci_u32 s18, s45, s47
	s_and_b64 s[46:47], s[44:45], s[26:27]
	v_mul_u64_e32 v[46:47], s[18:19], v[44:45]
	v_mul_u64_e32 v[34:35], s[46:47], v[48:49]
	;; [unrolled: 1-line block ×3, first 2 shown]
	s_delay_alu instid0(VALU_DEP_3) | instskip(NEXT) | instid1(VALU_DEP_1)
	v_add_nc_u64_e32 v[46:47], v[52:53], v[46:47]
	v_add_co_u32 v11, vcc_lo, v46, v34
	s_delay_alu instid0(VALU_DEP_2) | instskip(NEXT) | instid1(VALU_DEP_4)
	v_add_co_ci_u32_e32 v52, vcc_lo, v47, v35, vcc_lo
	v_add_co_ci_u32_e32 v51, vcc_lo, 0, v51, vcc_lo
	s_delay_alu instid0(VALU_DEP_1) | instskip(NEXT) | instid1(VALU_DEP_1)
	v_add_nc_u64_e32 v[34:35], v[52:53], v[50:51]
	v_mul_u64_e32 v[46:47], s[36:37], v[34:35]
	s_delay_alu instid0(VALU_DEP_1) | instskip(NEXT) | instid1(VALU_DEP_2)
	v_sub_nc_u32_e32 v11, v48, v47
	v_sub_co_u32 v33, vcc_lo, v44, v46
	s_delay_alu instid0(VALU_DEP_1) | instskip(NEXT) | instid1(VALU_DEP_3)
	v_sub_co_ci_u32_e64 v48, null, v48, v47, vcc_lo
	v_subrev_co_ci_u32_e64 v11, null, s37, v11, vcc_lo
	s_delay_alu instid0(VALU_DEP_3) | instskip(SKIP_1) | instid1(VALU_DEP_3)
	v_sub_co_u32 v37, s1, v33, s36
	v_add_nc_u64_e32 v[46:47], 1, v[34:35]
	v_subrev_co_ci_u32_e64 v11, null, 0, v11, s1
	s_delay_alu instid0(VALU_DEP_3) | instskip(SKIP_1) | instid1(VALU_DEP_3)
	v_cmp_le_u32_e32 vcc_lo, s36, v37
	v_cndmask_b32_e64 v37, 0, -1, vcc_lo
	v_cmp_le_u32_e32 vcc_lo, s37, v11
	v_cndmask_b32_e64 v44, 0, -1, vcc_lo
	;; [unrolled: 2-line block ×4, first 2 shown]
	v_cmp_eq_u32_e32 vcc_lo, s37, v11
	v_cndmask_b32_e32 v11, v44, v37, vcc_lo
	v_cmp_eq_u32_e32 vcc_lo, s37, v48
	v_add_nc_u64_e32 v[44:45], 2, v[34:35]
	v_cndmask_b32_e32 v33, v49, v33, vcc_lo
	s_delay_alu instid0(VALU_DEP_4) | instskip(NEXT) | instid1(VALU_DEP_2)
	v_cmp_ne_u32_e32 vcc_lo, 0, v11
	v_cmp_ne_u32_e64 s1, 0, v33
	s_delay_alu instid0(VALU_DEP_4) | instskip(NEXT) | instid1(VALU_DEP_1)
	v_dual_cndmask_b32 v11, v47, v45, vcc_lo :: v_dual_cndmask_b32 v33, v46, v44, vcc_lo
	v_dual_cndmask_b32 v34, v34, v33, s1 :: v_dual_mov_b32 v33, v32
	s_delay_alu instid0(VALU_DEP_1) | instskip(NEXT) | instid1(VALU_DEP_1)
	v_dual_cndmask_b32 v11, v35, v11, s1 :: v_dual_bitop2_b32 v34, v34, v32 bitop3:0x14
	v_xor_b32_e32 v35, v11, v32
	s_delay_alu instid0(VALU_DEP_1)
	v_sub_nc_u64_e32 v[32:33], v[34:35], v[32:33]
.LBB35_36:                              ;   in Loop: Header=BB35_33 Depth=2
	s_and_not1_saveexec_b32 s1, s42
	s_cbranch_execz .LBB35_38
; %bb.37:                               ;   in Loop: Header=BB35_33 Depth=2
	v_cvt_f32_u32_e32 v11, s8
	s_delay_alu instid0(VALU_DEP_1) | instskip(SKIP_1) | instid1(TRANS32_DEP_1)
	v_rcp_iflag_f32_e32 v11, v11
	v_nop
	v_mul_f32_e32 v11, 0x4f7ffffe, v11
	s_delay_alu instid0(VALU_DEP_1) | instskip(NEXT) | instid1(VALU_DEP_1)
	v_cvt_u32_f32_e32 v11, v11
	v_mul_lo_u32 v32, s39, v11
	s_delay_alu instid0(VALU_DEP_1) | instskip(NEXT) | instid1(VALU_DEP_1)
	v_mul_hi_u32 v32, v11, v32
	v_add_nc_u32_e32 v11, v11, v32
	s_delay_alu instid0(VALU_DEP_1) | instskip(NEXT) | instid1(VALU_DEP_1)
	v_mul_hi_u32 v11, v30, v11
	v_mul_lo_u32 v32, v11, s8
	s_delay_alu instid0(VALU_DEP_1) | instskip(NEXT) | instid1(VALU_DEP_1)
	v_dual_add_nc_u32 v33, 1, v11 :: v_dual_sub_nc_u32 v32, v30, v32
	v_subrev_nc_u32_e32 v34, s8, v32
	v_cmp_le_u32_e32 vcc_lo, s8, v32
	s_delay_alu instid0(VALU_DEP_2) | instskip(NEXT) | instid1(VALU_DEP_1)
	v_dual_cndmask_b32 v32, v32, v34 :: v_dual_cndmask_b32 v11, v11, v33
	v_cmp_le_u32_e32 vcc_lo, s8, v32
	s_delay_alu instid0(VALU_DEP_2) | instskip(NEXT) | instid1(VALU_DEP_1)
	v_add_nc_u32_e32 v33, 1, v11
	v_dual_cndmask_b32 v32, v11, v33 :: v_dual_mov_b32 v33, v10
.LBB35_38:                              ;   in Loop: Header=BB35_33 Depth=2
	s_or_b32 exec_lo, exec_lo, s1
	v_or_b32_e32 v11, s9, v19
                                        ; implicit-def: $vgpr34_vgpr35
	s_mov_b32 s1, exec_lo
	s_delay_alu instid0(VALU_DEP_1)
	v_cmpx_ne_u64_e32 0, v[10:11]
	s_xor_b32 s42, exec_lo, s1
	s_cbranch_execnz .LBB35_41
; %bb.39:                               ;   in Loop: Header=BB35_33 Depth=2
	s_and_not1_saveexec_b32 s1, s42
	s_cbranch_execnz .LBB35_42
.LBB35_40:                              ;   in Loop: Header=BB35_33 Depth=2
	s_or_b32 exec_lo, exec_lo, s1
	s_delay_alu instid0(VALU_DEP_1)
	v_cmp_eq_u64_e32 vcc_lo, v[32:33], v[34:35]
	s_and_b32 exec_lo, exec_lo, vcc_lo
	s_cbranch_execz .LBB35_32
	s_branch .LBB35_43
.LBB35_41:                              ;   in Loop: Header=BB35_33 Depth=2
	s_mov_b32 s31, s30
	v_dual_mov_b32 v47, v10 :: v_dual_ashrrev_i32 v34, 31, v19
	s_add_nc_u64 s[36:37], s[8:9], s[30:31]
	v_mov_b32_e32 v55, v10
	s_xor_b64 s[36:37], s[36:37], s[30:31]
	s_delay_alu instid0(VALU_DEP_2) | instskip(SKIP_3) | instid1(VALU_DEP_1)
	v_mov_b32_e32 v35, v34
	s_cvt_f32_u32 s1, s36
	s_cvt_f32_u32 s18, s37
	s_sub_nc_u64 s[46:47], 0, s[36:37]
	v_add_nc_u64_e32 v[44:45], v[18:19], v[34:35]
	s_delay_alu instid0(SALU_CYCLE_1) | instskip(SKIP_1) | instid1(SALU_CYCLE_2)
	s_fmamk_f32 s1, s18, 0x4f800000, s1
	v_mov_b32_e32 v51, v10
	v_s_rcp_f32 s1, s1
	s_delay_alu instid0(VALU_DEP_2) | instskip(NEXT) | instid1(VALU_DEP_3)
	v_xor_b32_e32 v46, v44, v34
	v_xor_b32_e32 v50, v45, v34
	;; [unrolled: 1-line block ×3, first 2 shown]
	s_delay_alu instid0(TRANS32_DEP_1) | instskip(NEXT) | instid1(SALU_CYCLE_3)
	s_mul_f32 s1, s1, 0x5f7ffffc
	s_mul_f32 s18, s1, 0x2f800000
	s_delay_alu instid0(SALU_CYCLE_3) | instskip(NEXT) | instid1(SALU_CYCLE_3)
	s_trunc_f32 s18, s18
	s_fmamk_f32 s1, s18, 0xcf800000, s1
	s_cvt_u32_f32 s45, s18
	s_delay_alu instid0(SALU_CYCLE_2) | instskip(NEXT) | instid1(SALU_CYCLE_3)
	s_cvt_u32_f32 s44, s1
	s_mul_u64 s[48:49], s[46:47], s[44:45]
	s_delay_alu instid0(SALU_CYCLE_1)
	s_mul_hi_u32 s51, s44, s49
	s_mul_i32 s50, s44, s49
	s_mul_hi_u32 s18, s44, s48
	s_mul_i32 s31, s45, s48
	s_add_nc_u64 s[50:51], s[18:19], s[50:51]
	s_mul_hi_u32 s1, s45, s48
	s_mul_hi_u32 s43, s45, s49
	s_add_co_u32 s18, s50, s31
	s_add_co_ci_u32 s18, s51, s1
	s_mul_i32 s48, s45, s49
	s_add_co_ci_u32 s49, s43, 0
	s_delay_alu instid0(SALU_CYCLE_1) | instskip(NEXT) | instid1(SALU_CYCLE_1)
	s_add_nc_u64 s[48:49], s[18:19], s[48:49]
	s_add_co_u32 s44, s44, s48
	s_cselect_b32 s1, -1, 0
	s_delay_alu instid0(SALU_CYCLE_1) | instskip(SKIP_1) | instid1(SALU_CYCLE_1)
	s_cmp_lg_u32 s1, 0
	s_add_co_ci_u32 s45, s45, s49
	s_mul_u64 s[46:47], s[46:47], s[44:45]
	s_delay_alu instid0(SALU_CYCLE_1)
	s_mul_hi_u32 s49, s44, s47
	s_mul_i32 s48, s44, s47
	s_mul_hi_u32 s18, s44, s46
	s_mul_i32 s31, s45, s46
	s_add_nc_u64 s[48:49], s[18:19], s[48:49]
	s_mul_hi_u32 s1, s45, s46
	s_mul_hi_u32 s43, s45, s47
	s_add_co_u32 s18, s48, s31
	s_add_co_ci_u32 s18, s49, s1
	s_mul_i32 s46, s45, s47
	s_add_co_ci_u32 s47, s43, 0
	s_delay_alu instid0(SALU_CYCLE_1) | instskip(NEXT) | instid1(SALU_CYCLE_1)
	s_add_nc_u64 s[46:47], s[18:19], s[46:47]
	s_add_co_u32 s44, s44, s46
	s_cselect_b32 s1, -1, 0
	v_mul_hi_u32 v54, v46, s44
	s_cmp_lg_u32 s1, 0
	s_add_co_ci_u32 s18, s45, s47
	s_and_b64 s[46:47], s[44:45], s[26:27]
	v_mul_u64_e32 v[48:49], s[18:19], v[46:47]
	v_mul_u64_e32 v[44:45], s[46:47], v[50:51]
	;; [unrolled: 1-line block ×3, first 2 shown]
	s_delay_alu instid0(VALU_DEP_3) | instskip(NEXT) | instid1(VALU_DEP_1)
	v_add_nc_u64_e32 v[48:49], v[54:55], v[48:49]
	v_add_co_u32 v11, vcc_lo, v48, v44
	s_delay_alu instid0(VALU_DEP_2) | instskip(NEXT) | instid1(VALU_DEP_4)
	v_add_co_ci_u32_e32 v54, vcc_lo, v49, v45, vcc_lo
	v_add_co_ci_u32_e32 v53, vcc_lo, 0, v53, vcc_lo
	s_delay_alu instid0(VALU_DEP_1) | instskip(NEXT) | instid1(VALU_DEP_1)
	v_add_nc_u64_e32 v[44:45], v[54:55], v[52:53]
	v_mul_u64_e32 v[48:49], s[36:37], v[44:45]
	s_delay_alu instid0(VALU_DEP_1) | instskip(NEXT) | instid1(VALU_DEP_2)
	v_sub_nc_u32_e32 v11, v50, v49
	v_sub_co_u32 v35, vcc_lo, v46, v48
	s_delay_alu instid0(VALU_DEP_1) | instskip(NEXT) | instid1(VALU_DEP_3)
	v_sub_co_ci_u32_e64 v50, null, v50, v49, vcc_lo
	v_subrev_co_ci_u32_e64 v11, null, s37, v11, vcc_lo
	s_delay_alu instid0(VALU_DEP_3) | instskip(SKIP_1) | instid1(VALU_DEP_3)
	v_sub_co_u32 v37, s1, v35, s36
	v_add_nc_u64_e32 v[48:49], 1, v[44:45]
	v_subrev_co_ci_u32_e64 v11, null, 0, v11, s1
	s_delay_alu instid0(VALU_DEP_3) | instskip(SKIP_1) | instid1(VALU_DEP_3)
	v_cmp_le_u32_e32 vcc_lo, s36, v37
	v_cndmask_b32_e64 v37, 0, -1, vcc_lo
	v_cmp_le_u32_e32 vcc_lo, s37, v11
	v_cndmask_b32_e64 v46, 0, -1, vcc_lo
	;; [unrolled: 2-line block ×4, first 2 shown]
	v_cmp_eq_u32_e32 vcc_lo, s37, v11
	v_cndmask_b32_e32 v11, v46, v37, vcc_lo
	v_cmp_eq_u32_e32 vcc_lo, s37, v50
	v_add_nc_u64_e32 v[46:47], 2, v[44:45]
	v_cndmask_b32_e32 v35, v51, v35, vcc_lo
	s_delay_alu instid0(VALU_DEP_4) | instskip(NEXT) | instid1(VALU_DEP_2)
	v_cmp_ne_u32_e32 vcc_lo, 0, v11
	v_cmp_ne_u32_e64 s1, 0, v35
	s_delay_alu instid0(VALU_DEP_4) | instskip(NEXT) | instid1(VALU_DEP_1)
	v_dual_cndmask_b32 v11, v49, v47, vcc_lo :: v_dual_cndmask_b32 v35, v48, v46, vcc_lo
	v_dual_cndmask_b32 v37, v44, v35, s1 :: v_dual_mov_b32 v35, v34
	s_delay_alu instid0(VALU_DEP_2) | instskip(NEXT) | instid1(VALU_DEP_1)
	v_cndmask_b32_e64 v11, v45, v11, s1
	v_xor_b32_e32 v45, v11, v34
	s_delay_alu instid0(VALU_DEP_3) | instskip(NEXT) | instid1(VALU_DEP_1)
	v_xor_b32_e32 v44, v37, v34
	v_sub_nc_u64_e32 v[34:35], v[44:45], v[34:35]
	s_and_not1_saveexec_b32 s1, s42
	s_cbranch_execz .LBB35_40
.LBB35_42:                              ;   in Loop: Header=BB35_33 Depth=2
	v_cvt_f32_u32_e32 v11, s8
	s_delay_alu instid0(VALU_DEP_1) | instskip(SKIP_1) | instid1(TRANS32_DEP_1)
	v_rcp_iflag_f32_e32 v11, v11
	v_nop
	v_mul_f32_e32 v11, 0x4f7ffffe, v11
	s_delay_alu instid0(VALU_DEP_1) | instskip(NEXT) | instid1(VALU_DEP_1)
	v_cvt_u32_f32_e32 v11, v11
	v_mul_lo_u32 v34, s39, v11
	s_delay_alu instid0(VALU_DEP_1) | instskip(NEXT) | instid1(VALU_DEP_1)
	v_mul_hi_u32 v34, v11, v34
	v_add_nc_u32_e32 v11, v11, v34
	s_delay_alu instid0(VALU_DEP_1) | instskip(NEXT) | instid1(VALU_DEP_1)
	v_mul_hi_u32 v11, v18, v11
	v_mul_lo_u32 v34, v11, s8
	s_delay_alu instid0(VALU_DEP_1) | instskip(NEXT) | instid1(VALU_DEP_1)
	v_dual_add_nc_u32 v35, 1, v11 :: v_dual_sub_nc_u32 v34, v18, v34
	v_subrev_nc_u32_e32 v37, s8, v34
	v_cmp_le_u32_e32 vcc_lo, s8, v34
	s_delay_alu instid0(VALU_DEP_2) | instskip(NEXT) | instid1(VALU_DEP_1)
	v_dual_cndmask_b32 v34, v34, v37 :: v_dual_cndmask_b32 v11, v11, v35
	v_cmp_le_u32_e32 vcc_lo, s8, v34
	s_delay_alu instid0(VALU_DEP_2) | instskip(NEXT) | instid1(VALU_DEP_1)
	v_add_nc_u32_e32 v35, 1, v11
	v_dual_cndmask_b32 v34, v11, v35 :: v_dual_mov_b32 v35, v10
	s_or_b32 exec_lo, exec_lo, s1
	s_delay_alu instid0(VALU_DEP_1)
	v_cmp_eq_u64_e32 vcc_lo, v[32:33], v[34:35]
	s_and_b32 exec_lo, exec_lo, vcc_lo
	s_cbranch_execz .LBB35_32
.LBB35_43:                              ;   in Loop: Header=BB35_33 Depth=2
	s_and_b32 vcc_lo, exec_lo, s38
	s_cbranch_vccz .LBB35_45
; %bb.44:                               ;   in Loop: Header=BB35_33 Depth=2
	global_load_b32 v11, v[26:27], off
	v_mul_u64_e32 v[32:33], s[8:9], v[32:33]
	s_delay_alu instid0(VALU_DEP_1) | instskip(NEXT) | instid1(VALU_DEP_1)
	v_sub_nc_u64_e32 v[32:33], v[30:31], v[32:33]
	v_add_nc_u64_e32 v[32:33], v[32:33], v[22:23]
	s_delay_alu instid0(VALU_DEP_1) | instskip(NEXT) | instid1(VALU_DEP_1)
	v_mad_nc_u64_u32 v[34:35], s24, v32, v[28:29]
	v_mad_u32 v32, s25, v32, v35
	s_delay_alu instid0(VALU_DEP_1)
	v_mad_u32 v35, s24, v33, v32
	s_wait_loadcnt 0x0
	global_store_b32 v[34:35], v11, off
	s_cbranch_execnz .LBB35_32
	s_branch .LBB35_46
.LBB35_45:                              ;   in Loop: Header=BB35_33 Depth=2
.LBB35_46:                              ;   in Loop: Header=BB35_33 Depth=2
	s_wait_xcnt 0x0
	v_mov_b32_e32 v11, v36
                                        ; implicit-def: $vgpr32_vgpr33
	s_mov_b32 s1, exec_lo
	s_delay_alu instid0(VALU_DEP_1)
	v_cmpx_ne_u64_e32 0, v[10:11]
	s_xor_b32 s42, exec_lo, s1
	s_cbranch_execz .LBB35_48
; %bb.47:                               ;   in Loop: Header=BB35_33 Depth=2
	s_mov_b32 s31, s30
	v_dual_mov_b32 v35, v10 :: v_dual_ashrrev_i32 v32, 31, v31
	s_add_nc_u64 s[36:37], s[8:9], s[30:31]
	s_delay_alu instid0(SALU_CYCLE_1) | instskip(NEXT) | instid1(VALU_DEP_1)
	s_xor_b64 s[36:37], s[36:37], s[30:31]
	v_mov_b32_e32 v33, v32
	s_cvt_f32_u32 s1, s36
	s_cvt_f32_u32 s18, s37
	s_sub_nc_u64 s[46:47], 0, s[36:37]
	s_delay_alu instid0(VALU_DEP_1) | instskip(NEXT) | instid1(SALU_CYCLE_1)
	v_add_nc_u64_e32 v[30:31], v[30:31], v[32:33]
	s_fmamk_f32 s1, s18, 0x4f800000, s1
	v_mov_b32_e32 v45, v10
	s_delay_alu instid0(SALU_CYCLE_2) | instskip(NEXT) | instid1(VALU_DEP_2)
	v_s_rcp_f32 s1, s1
	v_xor_b32_e32 v34, v30, v32
	s_delay_alu instid0(VALU_DEP_3) | instskip(NEXT) | instid1(TRANS32_DEP_1)
	v_dual_mov_b32 v49, v10 :: v_dual_bitop2_b32 v44, v31, v32 bitop3:0x14
	s_mul_f32 s1, s1, 0x5f7ffffc
	s_delay_alu instid0(SALU_CYCLE_3) | instskip(NEXT) | instid1(SALU_CYCLE_3)
	s_mul_f32 s18, s1, 0x2f800000
	s_trunc_f32 s18, s18
	s_delay_alu instid0(SALU_CYCLE_3) | instskip(SKIP_1) | instid1(SALU_CYCLE_2)
	s_fmamk_f32 s1, s18, 0xcf800000, s1
	s_cvt_u32_f32 s45, s18
	s_cvt_u32_f32 s44, s1
	s_delay_alu instid0(SALU_CYCLE_3) | instskip(NEXT) | instid1(SALU_CYCLE_1)
	s_mul_u64 s[48:49], s[46:47], s[44:45]
	s_mul_hi_u32 s51, s44, s49
	s_mul_i32 s50, s44, s49
	s_mul_hi_u32 s18, s44, s48
	s_mul_i32 s31, s45, s48
	s_add_nc_u64 s[50:51], s[18:19], s[50:51]
	s_mul_hi_u32 s1, s45, s48
	s_mul_hi_u32 s43, s45, s49
	s_add_co_u32 s18, s50, s31
	s_add_co_ci_u32 s18, s51, s1
	s_mul_i32 s48, s45, s49
	s_add_co_ci_u32 s49, s43, 0
	s_delay_alu instid0(SALU_CYCLE_1) | instskip(NEXT) | instid1(SALU_CYCLE_1)
	s_add_nc_u64 s[48:49], s[18:19], s[48:49]
	s_add_co_u32 s44, s44, s48
	s_cselect_b32 s1, -1, 0
	s_delay_alu instid0(SALU_CYCLE_1) | instskip(SKIP_1) | instid1(SALU_CYCLE_1)
	s_cmp_lg_u32 s1, 0
	s_add_co_ci_u32 s45, s45, s49
	s_mul_u64 s[46:47], s[46:47], s[44:45]
	s_delay_alu instid0(SALU_CYCLE_1)
	s_mul_hi_u32 s49, s44, s47
	s_mul_i32 s48, s44, s47
	s_mul_hi_u32 s18, s44, s46
	s_mul_i32 s31, s45, s46
	s_add_nc_u64 s[48:49], s[18:19], s[48:49]
	s_mul_hi_u32 s1, s45, s46
	s_mul_hi_u32 s43, s45, s47
	s_add_co_u32 s18, s48, s31
	s_add_co_ci_u32 s18, s49, s1
	s_mul_i32 s46, s45, s47
	s_add_co_ci_u32 s47, s43, 0
	s_delay_alu instid0(SALU_CYCLE_1) | instskip(NEXT) | instid1(SALU_CYCLE_1)
	s_add_nc_u64 s[46:47], s[18:19], s[46:47]
	s_add_co_u32 s44, s44, s46
	s_cselect_b32 s1, -1, 0
	v_mul_hi_u32 v48, v34, s44
	s_cmp_lg_u32 s1, 0
	s_add_co_ci_u32 s18, s45, s47
	s_and_b64 s[46:47], s[44:45], s[26:27]
	v_mul_u64_e32 v[36:37], s[18:19], v[34:35]
	v_mul_u64_e32 v[30:31], s[46:47], v[44:45]
	;; [unrolled: 1-line block ×3, first 2 shown]
	s_delay_alu instid0(VALU_DEP_3) | instskip(NEXT) | instid1(VALU_DEP_1)
	v_add_nc_u64_e32 v[36:37], v[48:49], v[36:37]
	v_add_co_u32 v11, vcc_lo, v36, v30
	s_delay_alu instid0(VALU_DEP_2) | instskip(NEXT) | instid1(VALU_DEP_4)
	v_add_co_ci_u32_e32 v48, vcc_lo, v37, v31, vcc_lo
	v_add_co_ci_u32_e32 v47, vcc_lo, 0, v47, vcc_lo
	s_delay_alu instid0(VALU_DEP_1) | instskip(NEXT) | instid1(VALU_DEP_1)
	v_add_nc_u64_e32 v[30:31], v[48:49], v[46:47]
	v_mul_u64_e32 v[30:31], s[36:37], v[30:31]
	s_delay_alu instid0(VALU_DEP_1) | instskip(NEXT) | instid1(VALU_DEP_2)
	v_sub_nc_u32_e32 v11, v44, v31
	v_sub_co_u32 v30, vcc_lo, v34, v30
	s_delay_alu instid0(VALU_DEP_1) | instskip(NEXT) | instid1(VALU_DEP_3)
	v_sub_co_ci_u32_e64 v31, null, v44, v31, vcc_lo
	v_subrev_co_ci_u32_e64 v11, null, s37, v11, vcc_lo
	s_delay_alu instid0(VALU_DEP_3) | instskip(SKIP_1) | instid1(VALU_DEP_3)
	v_sub_co_u32 v34, vcc_lo, v30, s36
	v_cmp_le_u32_e64 s1, s36, v30
	v_subrev_co_ci_u32_e64 v35, null, 0, v11, vcc_lo
	v_subrev_co_ci_u32_e64 v11, null, s37, v11, vcc_lo
	s_delay_alu instid0(VALU_DEP_3) | instskip(SKIP_2) | instid1(VALU_DEP_2)
	v_cndmask_b32_e64 v36, 0, -1, s1
	v_cmp_le_u32_e64 s1, s36, v34
	v_cmp_le_u32_e32 vcc_lo, s37, v31
	v_cndmask_b32_e64 v37, 0, -1, s1
	v_cmp_le_u32_e64 s1, s37, v35
	v_cndmask_b32_e64 v45, 0, -1, vcc_lo
	v_cmp_eq_u32_e32 vcc_lo, s37, v35
	s_delay_alu instid0(VALU_DEP_3) | instskip(SKIP_1) | instid1(VALU_DEP_1)
	v_cndmask_b32_e64 v44, 0, -1, s1
	v_cmp_eq_u32_e64 s1, s37, v31
	v_dual_cndmask_b32 v37, v44, v37, vcc_lo :: v_dual_cndmask_b32 v36, v45, v36, s1
	v_sub_co_u32 v44, vcc_lo, v34, s36
	s_delay_alu instid0(VALU_DEP_1) | instskip(NEXT) | instid1(VALU_DEP_3)
	v_subrev_co_ci_u32_e64 v11, null, 0, v11, vcc_lo
	v_cmp_ne_u32_e32 vcc_lo, 0, v37
	s_delay_alu instid0(VALU_DEP_2) | instskip(SKIP_1) | instid1(VALU_DEP_2)
	v_dual_cndmask_b32 v11, v35, v11 :: v_dual_cndmask_b32 v34, v34, v44
	v_cmp_ne_u32_e32 vcc_lo, 0, v36
	v_dual_cndmask_b32 v11, v31, v11 :: v_dual_cndmask_b32 v30, v30, v34
	s_delay_alu instid0(VALU_DEP_1) | instskip(NEXT) | instid1(VALU_DEP_2)
	v_xor_b32_e32 v31, v11, v32
	v_xor_b32_e32 v30, v30, v32
	s_delay_alu instid0(VALU_DEP_1)
	v_sub_nc_u64_e32 v[32:33], v[30:31], v[32:33]
                                        ; implicit-def: $vgpr30_vgpr31
.LBB35_48:                              ;   in Loop: Header=BB35_33 Depth=2
	s_and_not1_saveexec_b32 s1, s42
	s_cbranch_execz .LBB35_31
; %bb.49:                               ;   in Loop: Header=BB35_33 Depth=2
	v_cvt_f32_u32_e32 v11, s8
	v_mov_b32_e32 v33, v10
	s_delay_alu instid0(VALU_DEP_2) | instskip(SKIP_1) | instid1(TRANS32_DEP_1)
	v_rcp_iflag_f32_e32 v11, v11
	v_nop
	v_mul_f32_e32 v11, 0x4f7ffffe, v11
	s_delay_alu instid0(VALU_DEP_1) | instskip(NEXT) | instid1(VALU_DEP_1)
	v_cvt_u32_f32_e32 v11, v11
	v_mul_lo_u32 v31, s39, v11
	s_delay_alu instid0(VALU_DEP_1) | instskip(NEXT) | instid1(VALU_DEP_1)
	v_mul_hi_u32 v31, v11, v31
	v_add_nc_u32_e32 v11, v11, v31
	s_delay_alu instid0(VALU_DEP_1) | instskip(NEXT) | instid1(VALU_DEP_1)
	v_mul_hi_u32 v11, v30, v11
	v_mul_lo_u32 v11, v11, s8
	s_delay_alu instid0(VALU_DEP_1) | instskip(NEXT) | instid1(VALU_DEP_1)
	v_sub_nc_u32_e32 v11, v30, v11
	v_subrev_nc_u32_e32 v30, s8, v11
	v_cmp_le_u32_e32 vcc_lo, s8, v11
	s_delay_alu instid0(VALU_DEP_2) | instskip(NEXT) | instid1(VALU_DEP_1)
	v_cndmask_b32_e32 v11, v11, v30, vcc_lo
	v_subrev_nc_u32_e32 v30, s8, v11
	v_cmp_le_u32_e32 vcc_lo, s8, v11
	s_delay_alu instid0(VALU_DEP_2)
	v_cndmask_b32_e32 v32, v11, v30, vcc_lo
	s_branch .LBB35_31
.LBB35_50:                              ;   in Loop: Header=BB35_10 Depth=1
	s_mov_b32 s31, s30
	v_dual_mov_b32 v25, v10 :: v_dual_ashrrev_i32 v20, 31, v19
	s_add_nc_u64 s[34:35], s[8:9], s[30:31]
	s_delay_alu instid0(SALU_CYCLE_1) | instskip(NEXT) | instid1(VALU_DEP_1)
	s_xor_b64 s[34:35], s[34:35], s[30:31]
	v_mov_b32_e32 v21, v20
	s_cvt_f32_u32 s1, s34
	s_cvt_f32_u32 s18, s35
	s_sub_nc_u64 s[44:45], 0, s[34:35]
	s_delay_alu instid0(VALU_DEP_1) | instskip(NEXT) | instid1(SALU_CYCLE_1)
	v_add_nc_u64_e32 v[22:23], v[18:19], v[20:21]
	s_fmamk_f32 s1, s18, 0x4f800000, s1
	v_mov_b32_e32 v29, v10
	s_delay_alu instid0(SALU_CYCLE_2) | instskip(NEXT) | instid1(VALU_DEP_2)
	v_s_rcp_f32 s1, s1
	v_xor_b32_e32 v24, v22, v20
	s_delay_alu instid0(VALU_DEP_3) | instskip(SKIP_1) | instid1(TRANS32_DEP_1)
	v_dual_mov_b32 v33, v10 :: v_dual_bitop2_b32 v28, v23, v20 bitop3:0x14
	v_xor_b32_e32 v20, s30, v20
	s_mul_f32 s1, s1, 0x5f7ffffc
	s_delay_alu instid0(SALU_CYCLE_3) | instskip(NEXT) | instid1(SALU_CYCLE_3)
	s_mul_f32 s18, s1, 0x2f800000
	s_trunc_f32 s18, s18
	s_delay_alu instid0(SALU_CYCLE_3) | instskip(SKIP_1) | instid1(SALU_CYCLE_2)
	s_fmamk_f32 s1, s18, 0xcf800000, s1
	s_cvt_u32_f32 s43, s18
	s_cvt_u32_f32 s42, s1
	s_delay_alu instid0(SALU_CYCLE_3) | instskip(NEXT) | instid1(SALU_CYCLE_1)
	s_mul_u64 s[46:47], s[44:45], s[42:43]
	s_mul_hi_u32 s49, s42, s47
	s_mul_i32 s48, s42, s47
	s_mul_hi_u32 s18, s42, s46
	s_mul_i32 s31, s43, s46
	s_add_nc_u64 s[48:49], s[18:19], s[48:49]
	s_mul_hi_u32 s1, s43, s46
	s_mul_hi_u32 s41, s43, s47
	s_add_co_u32 s18, s48, s31
	s_add_co_ci_u32 s18, s49, s1
	s_mul_i32 s46, s43, s47
	s_add_co_ci_u32 s47, s41, 0
	s_delay_alu instid0(SALU_CYCLE_1) | instskip(NEXT) | instid1(SALU_CYCLE_1)
	s_add_nc_u64 s[46:47], s[18:19], s[46:47]
	s_add_co_u32 s42, s42, s46
	s_cselect_b32 s1, -1, 0
	s_delay_alu instid0(SALU_CYCLE_1) | instskip(SKIP_1) | instid1(SALU_CYCLE_1)
	s_cmp_lg_u32 s1, 0
	s_add_co_ci_u32 s43, s43, s47
	s_mul_u64 s[44:45], s[44:45], s[42:43]
	s_delay_alu instid0(SALU_CYCLE_1)
	s_mul_hi_u32 s47, s42, s45
	s_mul_i32 s46, s42, s45
	s_mul_hi_u32 s18, s42, s44
	s_mul_i32 s31, s43, s44
	s_add_nc_u64 s[46:47], s[18:19], s[46:47]
	s_mul_hi_u32 s1, s43, s44
	s_mul_hi_u32 s41, s43, s45
	s_add_co_u32 s18, s46, s31
	s_add_co_ci_u32 s18, s47, s1
	s_mul_i32 s44, s43, s45
	s_add_co_ci_u32 s45, s41, 0
	s_delay_alu instid0(SALU_CYCLE_1) | instskip(NEXT) | instid1(SALU_CYCLE_1)
	s_add_nc_u64 s[44:45], s[18:19], s[44:45]
	s_add_co_u32 s42, s42, s44
	s_cselect_b32 s1, -1, 0
	v_mul_hi_u32 v32, v24, s42
	s_cmp_lg_u32 s1, 0
	s_add_co_ci_u32 s18, s43, s45
	s_and_b64 s[44:45], s[42:43], s[26:27]
	v_mul_u64_e32 v[26:27], s[18:19], v[24:25]
	v_mul_u64_e32 v[22:23], s[44:45], v[28:29]
	;; [unrolled: 1-line block ×3, first 2 shown]
	s_delay_alu instid0(VALU_DEP_3) | instskip(NEXT) | instid1(VALU_DEP_1)
	v_add_nc_u64_e32 v[26:27], v[32:33], v[26:27]
	v_add_co_u32 v11, vcc_lo, v26, v22
	s_delay_alu instid0(VALU_DEP_2) | instskip(NEXT) | instid1(VALU_DEP_4)
	v_add_co_ci_u32_e32 v32, vcc_lo, v27, v23, vcc_lo
	v_add_co_ci_u32_e32 v31, vcc_lo, 0, v31, vcc_lo
	s_delay_alu instid0(VALU_DEP_1) | instskip(NEXT) | instid1(VALU_DEP_1)
	v_add_nc_u64_e32 v[22:23], v[32:33], v[30:31]
	v_mul_u64_e32 v[26:27], s[34:35], v[22:23]
	s_delay_alu instid0(VALU_DEP_1) | instskip(NEXT) | instid1(VALU_DEP_2)
	v_sub_nc_u32_e32 v11, v28, v27
	v_sub_co_u32 v21, vcc_lo, v24, v26
	s_delay_alu instid0(VALU_DEP_1) | instskip(NEXT) | instid1(VALU_DEP_3)
	v_sub_co_ci_u32_e64 v28, null, v28, v27, vcc_lo
	v_subrev_co_ci_u32_e64 v11, null, s35, v11, vcc_lo
	s_delay_alu instid0(VALU_DEP_3) | instskip(SKIP_1) | instid1(VALU_DEP_3)
	v_sub_co_u32 v24, s1, v21, s34
	v_add_nc_u64_e32 v[26:27], 1, v[22:23]
	v_subrev_co_ci_u32_e64 v11, null, 0, v11, s1
	s_delay_alu instid0(VALU_DEP_3) | instskip(SKIP_1) | instid1(VALU_DEP_3)
	v_cmp_le_u32_e32 vcc_lo, s34, v24
	v_cndmask_b32_e64 v24, 0, -1, vcc_lo
	v_cmp_le_u32_e32 vcc_lo, s35, v11
	v_cndmask_b32_e64 v25, 0, -1, vcc_lo
	;; [unrolled: 2-line block ×4, first 2 shown]
	v_cmp_eq_u32_e32 vcc_lo, s35, v11
	v_cndmask_b32_e32 v11, v25, v24, vcc_lo
	v_cmp_eq_u32_e32 vcc_lo, s35, v28
	v_add_nc_u64_e32 v[24:25], 2, v[22:23]
	v_cndmask_b32_e32 v21, v29, v21, vcc_lo
	s_delay_alu instid0(VALU_DEP_4) | instskip(NEXT) | instid1(VALU_DEP_2)
	v_cmp_ne_u32_e32 vcc_lo, 0, v11
	v_cmp_ne_u32_e64 s1, 0, v21
	s_delay_alu instid0(VALU_DEP_4) | instskip(NEXT) | instid1(VALU_DEP_1)
	v_dual_cndmask_b32 v11, v27, v25, vcc_lo :: v_dual_cndmask_b32 v21, v26, v24, vcc_lo
	v_dual_cndmask_b32 v22, v22, v21, s1 :: v_dual_mov_b32 v21, v20
	s_delay_alu instid0(VALU_DEP_1) | instskip(NEXT) | instid1(VALU_DEP_1)
	v_dual_cndmask_b32 v11, v23, v11, s1 :: v_dual_bitop2_b32 v22, v22, v20 bitop3:0x14
	v_xor_b32_e32 v23, v11, v20
	s_delay_alu instid0(VALU_DEP_1)
	v_sub_nc_u64_e32 v[20:21], v[22:23], v[20:21]
	s_and_not1_saveexec_b32 s1, s37
	s_cbranch_execz .LBB35_26
.LBB35_51:                              ;   in Loop: Header=BB35_10 Depth=1
	v_cvt_f32_u32_e32 v11, s8
	s_delay_alu instid0(VALU_DEP_1) | instskip(SKIP_1) | instid1(TRANS32_DEP_1)
	v_rcp_iflag_f32_e32 v11, v11
	v_nop
	v_mul_f32_e32 v11, 0x4f7ffffe, v11
	s_delay_alu instid0(VALU_DEP_1) | instskip(NEXT) | instid1(VALU_DEP_1)
	v_cvt_u32_f32_e32 v11, v11
	v_mul_lo_u32 v20, s39, v11
	s_delay_alu instid0(VALU_DEP_1) | instskip(NEXT) | instid1(VALU_DEP_1)
	v_mul_hi_u32 v20, v11, v20
	v_add_nc_u32_e32 v11, v11, v20
	s_delay_alu instid0(VALU_DEP_1) | instskip(NEXT) | instid1(VALU_DEP_1)
	v_mul_hi_u32 v11, v18, v11
	v_mul_lo_u32 v20, v11, s8
	s_delay_alu instid0(VALU_DEP_1) | instskip(NEXT) | instid1(VALU_DEP_1)
	v_dual_add_nc_u32 v21, 1, v11 :: v_dual_sub_nc_u32 v20, v18, v20
	v_subrev_nc_u32_e32 v22, s8, v20
	v_cmp_le_u32_e32 vcc_lo, s8, v20
	s_delay_alu instid0(VALU_DEP_2) | instskip(NEXT) | instid1(VALU_DEP_1)
	v_dual_cndmask_b32 v20, v20, v22 :: v_dual_cndmask_b32 v11, v11, v21
	v_cmp_le_u32_e32 vcc_lo, s8, v20
	s_delay_alu instid0(VALU_DEP_2) | instskip(NEXT) | instid1(VALU_DEP_1)
	v_add_nc_u32_e32 v21, 1, v11
	v_dual_cndmask_b32 v20, v11, v21 :: v_dual_mov_b32 v21, v10
	s_or_b32 exec_lo, exec_lo, s1
	s_delay_alu instid0(SALU_CYCLE_1) | instskip(NEXT) | instid1(VALU_DEP_1)
	s_mov_b32 s1, exec_lo
	v_cmpx_ge_i64_e64 v[20:21], v[16:17]
	s_cbranch_execnz .LBB35_27
	s_branch .LBB35_28
.LBB35_52:
	s_endpgm
	.section	.rodata,"a",@progbits
	.p2align	6, 0x0
	.amdhsa_kernel _ZN9rocsparseL21csr2bsr_65_inf_kernelILj32EillEEv20rocsparse_direction_T2_S2_S2_S2_S2_S2_21rocsparse_index_base_PKT0_PKT1_PKS2_S3_PS4_PS7_PS2_SD_SE_SC_
		.amdhsa_group_segment_fixed_size 0
		.amdhsa_private_segment_fixed_size 0
		.amdhsa_kernarg_size 144
		.amdhsa_user_sgpr_count 2
		.amdhsa_user_sgpr_dispatch_ptr 0
		.amdhsa_user_sgpr_queue_ptr 0
		.amdhsa_user_sgpr_kernarg_segment_ptr 1
		.amdhsa_user_sgpr_dispatch_id 0
		.amdhsa_user_sgpr_kernarg_preload_length 0
		.amdhsa_user_sgpr_kernarg_preload_offset 0
		.amdhsa_user_sgpr_private_segment_size 0
		.amdhsa_wavefront_size32 1
		.amdhsa_uses_dynamic_stack 0
		.amdhsa_enable_private_segment 0
		.amdhsa_system_sgpr_workgroup_id_x 1
		.amdhsa_system_sgpr_workgroup_id_y 0
		.amdhsa_system_sgpr_workgroup_id_z 0
		.amdhsa_system_sgpr_workgroup_info 0
		.amdhsa_system_vgpr_workitem_id 0
		.amdhsa_next_free_vgpr 56
		.amdhsa_next_free_sgpr 52
		.amdhsa_named_barrier_count 0
		.amdhsa_reserve_vcc 1
		.amdhsa_float_round_mode_32 0
		.amdhsa_float_round_mode_16_64 0
		.amdhsa_float_denorm_mode_32 3
		.amdhsa_float_denorm_mode_16_64 3
		.amdhsa_fp16_overflow 0
		.amdhsa_memory_ordered 1
		.amdhsa_forward_progress 1
		.amdhsa_inst_pref_size 39
		.amdhsa_round_robin_scheduling 0
		.amdhsa_exception_fp_ieee_invalid_op 0
		.amdhsa_exception_fp_denorm_src 0
		.amdhsa_exception_fp_ieee_div_zero 0
		.amdhsa_exception_fp_ieee_overflow 0
		.amdhsa_exception_fp_ieee_underflow 0
		.amdhsa_exception_fp_ieee_inexact 0
		.amdhsa_exception_int_div_zero 0
	.end_amdhsa_kernel
	.section	.text._ZN9rocsparseL21csr2bsr_65_inf_kernelILj32EillEEv20rocsparse_direction_T2_S2_S2_S2_S2_S2_21rocsparse_index_base_PKT0_PKT1_PKS2_S3_PS4_PS7_PS2_SD_SE_SC_,"axG",@progbits,_ZN9rocsparseL21csr2bsr_65_inf_kernelILj32EillEEv20rocsparse_direction_T2_S2_S2_S2_S2_S2_21rocsparse_index_base_PKT0_PKT1_PKS2_S3_PS4_PS7_PS2_SD_SE_SC_,comdat
.Lfunc_end35:
	.size	_ZN9rocsparseL21csr2bsr_65_inf_kernelILj32EillEEv20rocsparse_direction_T2_S2_S2_S2_S2_S2_21rocsparse_index_base_PKT0_PKT1_PKS2_S3_PS4_PS7_PS2_SD_SE_SC_, .Lfunc_end35-_ZN9rocsparseL21csr2bsr_65_inf_kernelILj32EillEEv20rocsparse_direction_T2_S2_S2_S2_S2_S2_21rocsparse_index_base_PKT0_PKT1_PKS2_S3_PS4_PS7_PS2_SD_SE_SC_
                                        ; -- End function
	.set _ZN9rocsparseL21csr2bsr_65_inf_kernelILj32EillEEv20rocsparse_direction_T2_S2_S2_S2_S2_S2_21rocsparse_index_base_PKT0_PKT1_PKS2_S3_PS4_PS7_PS2_SD_SE_SC_.num_vgpr, 56
	.set _ZN9rocsparseL21csr2bsr_65_inf_kernelILj32EillEEv20rocsparse_direction_T2_S2_S2_S2_S2_S2_21rocsparse_index_base_PKT0_PKT1_PKS2_S3_PS4_PS7_PS2_SD_SE_SC_.num_agpr, 0
	.set _ZN9rocsparseL21csr2bsr_65_inf_kernelILj32EillEEv20rocsparse_direction_T2_S2_S2_S2_S2_S2_21rocsparse_index_base_PKT0_PKT1_PKS2_S3_PS4_PS7_PS2_SD_SE_SC_.numbered_sgpr, 52
	.set _ZN9rocsparseL21csr2bsr_65_inf_kernelILj32EillEEv20rocsparse_direction_T2_S2_S2_S2_S2_S2_21rocsparse_index_base_PKT0_PKT1_PKS2_S3_PS4_PS7_PS2_SD_SE_SC_.num_named_barrier, 0
	.set _ZN9rocsparseL21csr2bsr_65_inf_kernelILj32EillEEv20rocsparse_direction_T2_S2_S2_S2_S2_S2_21rocsparse_index_base_PKT0_PKT1_PKS2_S3_PS4_PS7_PS2_SD_SE_SC_.private_seg_size, 0
	.set _ZN9rocsparseL21csr2bsr_65_inf_kernelILj32EillEEv20rocsparse_direction_T2_S2_S2_S2_S2_S2_21rocsparse_index_base_PKT0_PKT1_PKS2_S3_PS4_PS7_PS2_SD_SE_SC_.uses_vcc, 1
	.set _ZN9rocsparseL21csr2bsr_65_inf_kernelILj32EillEEv20rocsparse_direction_T2_S2_S2_S2_S2_S2_21rocsparse_index_base_PKT0_PKT1_PKS2_S3_PS4_PS7_PS2_SD_SE_SC_.uses_flat_scratch, 0
	.set _ZN9rocsparseL21csr2bsr_65_inf_kernelILj32EillEEv20rocsparse_direction_T2_S2_S2_S2_S2_S2_21rocsparse_index_base_PKT0_PKT1_PKS2_S3_PS4_PS7_PS2_SD_SE_SC_.has_dyn_sized_stack, 0
	.set _ZN9rocsparseL21csr2bsr_65_inf_kernelILj32EillEEv20rocsparse_direction_T2_S2_S2_S2_S2_S2_21rocsparse_index_base_PKT0_PKT1_PKS2_S3_PS4_PS7_PS2_SD_SE_SC_.has_recursion, 0
	.set _ZN9rocsparseL21csr2bsr_65_inf_kernelILj32EillEEv20rocsparse_direction_T2_S2_S2_S2_S2_S2_21rocsparse_index_base_PKT0_PKT1_PKS2_S3_PS4_PS7_PS2_SD_SE_SC_.has_indirect_call, 0
	.section	.AMDGPU.csdata,"",@progbits
; Kernel info:
; codeLenInByte = 4904
; TotalNumSgprs: 54
; NumVgprs: 56
; ScratchSize: 0
; MemoryBound: 0
; FloatMode: 240
; IeeeMode: 1
; LDSByteSize: 0 bytes/workgroup (compile time only)
; SGPRBlocks: 0
; VGPRBlocks: 3
; NumSGPRsForWavesPerEU: 54
; NumVGPRsForWavesPerEU: 56
; NamedBarCnt: 0
; Occupancy: 16
; WaveLimiterHint : 1
; COMPUTE_PGM_RSRC2:SCRATCH_EN: 0
; COMPUTE_PGM_RSRC2:USER_SGPR: 2
; COMPUTE_PGM_RSRC2:TRAP_HANDLER: 0
; COMPUTE_PGM_RSRC2:TGID_X_EN: 1
; COMPUTE_PGM_RSRC2:TGID_Y_EN: 0
; COMPUTE_PGM_RSRC2:TGID_Z_EN: 0
; COMPUTE_PGM_RSRC2:TIDIG_COMP_CNT: 0
	.section	.text._ZN9rocsparseL35csr2bsr_block_dim_equals_one_kernelILj256EfiiEEvT2_S1_S1_S1_21rocsparse_index_base_PKT0_PKT1_PKS1_S2_PS3_PS6_PS1_,"axG",@progbits,_ZN9rocsparseL35csr2bsr_block_dim_equals_one_kernelILj256EfiiEEvT2_S1_S1_S1_21rocsparse_index_base_PKT0_PKT1_PKS1_S2_PS3_PS6_PS1_,comdat
	.globl	_ZN9rocsparseL35csr2bsr_block_dim_equals_one_kernelILj256EfiiEEvT2_S1_S1_S1_21rocsparse_index_base_PKT0_PKT1_PKS1_S2_PS3_PS6_PS1_ ; -- Begin function _ZN9rocsparseL35csr2bsr_block_dim_equals_one_kernelILj256EfiiEEvT2_S1_S1_S1_21rocsparse_index_base_PKT0_PKT1_PKS1_S2_PS3_PS6_PS1_
	.p2align	8
	.type	_ZN9rocsparseL35csr2bsr_block_dim_equals_one_kernelILj256EfiiEEvT2_S1_S1_S1_21rocsparse_index_base_PKT0_PKT1_PKS1_S2_PS3_PS6_PS1_,@function
_ZN9rocsparseL35csr2bsr_block_dim_equals_one_kernelILj256EfiiEEvT2_S1_S1_S1_21rocsparse_index_base_PKT0_PKT1_PKS1_S2_PS3_PS6_PS1_: ; @_ZN9rocsparseL35csr2bsr_block_dim_equals_one_kernelILj256EfiiEEvT2_S1_S1_S1_21rocsparse_index_base_PKT0_PKT1_PKS1_S2_PS3_PS6_PS1_
; %bb.0:
	s_clause 0x1
	s_load_b32 s2, s[0:1], 0x0
	s_load_b128 s[4:7], s[0:1], 0x18
	s_bfe_u32 s3, ttmp6, 0x4000c
	s_and_b32 s8, ttmp6, 15
	s_add_co_i32 s3, s3, 1
	s_getreg_b32 s9, hwreg(HW_REG_IB_STS2, 6, 4)
	s_mul_i32 s3, ttmp9, s3
	s_delay_alu instid0(SALU_CYCLE_1)
	s_add_co_i32 s8, s8, s3
	s_wait_kmcnt 0x0
	s_ashr_i32 s3, s2, 31
	s_cmp_eq_u32 s9, 0
	s_cselect_b32 s8, ttmp9, s8
	s_lshl_b64 s[2:3], s[2:3], 2
	v_lshl_or_b32 v0, s8, 8, v0
	s_add_nc_u64 s[2:3], s[6:7], s[2:3]
	s_clause 0x1
	s_load_b32 s9, s[2:3], 0x0
	s_load_b32 s10, s[6:7], 0x0
	s_wait_xcnt 0x0
	s_mov_b32 s7, 0
	s_mov_b32 s2, exec_lo
	s_wait_kmcnt 0x0
	s_sub_co_i32 s6, s9, s10
	s_delay_alu instid0(SALU_CYCLE_1)
	v_cmpx_gt_i32_e64 s6, v0
	s_cbranch_execz .LBB36_3
; %bb.1:
	s_clause 0x3
	s_load_b96 s[8:10], s[0:1], 0x28
	s_load_b64 s[2:3], s[0:1], 0x38
	s_load_b32 s11, s[0:1], 0x10
	s_load_b96 s[12:14], s[0:1], 0x48
	s_wait_kmcnt 0x0
	s_sub_co_i32 s0, s10, s11
	s_lshl_b32 s1, s14, 8
.LBB36_2:                               ; =>This Inner Loop Header: Depth=1
	s_clause 0x1
	global_load_b32 v1, v0, s[8:9] scale_offset
	global_load_b32 v2, v0, s[4:5] scale_offset
	s_wait_loadcnt 0x1
	v_add_nc_u32_e32 v1, s0, v1
	global_store_b32 v0, v1, s[12:13] scale_offset
	s_wait_loadcnt 0x0
	global_store_b32 v0, v2, s[2:3] scale_offset
	s_wait_xcnt 0x0
	v_add_nc_u32_e32 v0, s1, v0
	s_delay_alu instid0(VALU_DEP_1) | instskip(SKIP_1) | instid1(SALU_CYCLE_1)
	v_cmp_le_i32_e32 vcc_lo, s6, v0
	s_or_b32 s7, vcc_lo, s7
	s_and_not1_b32 exec_lo, exec_lo, s7
	s_cbranch_execnz .LBB36_2
.LBB36_3:
	s_endpgm
	.section	.rodata,"a",@progbits
	.p2align	6, 0x0
	.amdhsa_kernel _ZN9rocsparseL35csr2bsr_block_dim_equals_one_kernelILj256EfiiEEvT2_S1_S1_S1_21rocsparse_index_base_PKT0_PKT1_PKS1_S2_PS3_PS6_PS1_
		.amdhsa_group_segment_fixed_size 0
		.amdhsa_private_segment_fixed_size 0
		.amdhsa_kernarg_size 336
		.amdhsa_user_sgpr_count 2
		.amdhsa_user_sgpr_dispatch_ptr 0
		.amdhsa_user_sgpr_queue_ptr 0
		.amdhsa_user_sgpr_kernarg_segment_ptr 1
		.amdhsa_user_sgpr_dispatch_id 0
		.amdhsa_user_sgpr_kernarg_preload_length 0
		.amdhsa_user_sgpr_kernarg_preload_offset 0
		.amdhsa_user_sgpr_private_segment_size 0
		.amdhsa_wavefront_size32 1
		.amdhsa_uses_dynamic_stack 0
		.amdhsa_enable_private_segment 0
		.amdhsa_system_sgpr_workgroup_id_x 1
		.amdhsa_system_sgpr_workgroup_id_y 0
		.amdhsa_system_sgpr_workgroup_id_z 0
		.amdhsa_system_sgpr_workgroup_info 0
		.amdhsa_system_vgpr_workitem_id 0
		.amdhsa_next_free_vgpr 3
		.amdhsa_next_free_sgpr 15
		.amdhsa_named_barrier_count 0
		.amdhsa_reserve_vcc 1
		.amdhsa_float_round_mode_32 0
		.amdhsa_float_round_mode_16_64 0
		.amdhsa_float_denorm_mode_32 3
		.amdhsa_float_denorm_mode_16_64 3
		.amdhsa_fp16_overflow 0
		.amdhsa_memory_ordered 1
		.amdhsa_forward_progress 1
		.amdhsa_inst_pref_size 3
		.amdhsa_round_robin_scheduling 0
		.amdhsa_exception_fp_ieee_invalid_op 0
		.amdhsa_exception_fp_denorm_src 0
		.amdhsa_exception_fp_ieee_div_zero 0
		.amdhsa_exception_fp_ieee_overflow 0
		.amdhsa_exception_fp_ieee_underflow 0
		.amdhsa_exception_fp_ieee_inexact 0
		.amdhsa_exception_int_div_zero 0
	.end_amdhsa_kernel
	.section	.text._ZN9rocsparseL35csr2bsr_block_dim_equals_one_kernelILj256EfiiEEvT2_S1_S1_S1_21rocsparse_index_base_PKT0_PKT1_PKS1_S2_PS3_PS6_PS1_,"axG",@progbits,_ZN9rocsparseL35csr2bsr_block_dim_equals_one_kernelILj256EfiiEEvT2_S1_S1_S1_21rocsparse_index_base_PKT0_PKT1_PKS1_S2_PS3_PS6_PS1_,comdat
.Lfunc_end36:
	.size	_ZN9rocsparseL35csr2bsr_block_dim_equals_one_kernelILj256EfiiEEvT2_S1_S1_S1_21rocsparse_index_base_PKT0_PKT1_PKS1_S2_PS3_PS6_PS1_, .Lfunc_end36-_ZN9rocsparseL35csr2bsr_block_dim_equals_one_kernelILj256EfiiEEvT2_S1_S1_S1_21rocsparse_index_base_PKT0_PKT1_PKS1_S2_PS3_PS6_PS1_
                                        ; -- End function
	.set _ZN9rocsparseL35csr2bsr_block_dim_equals_one_kernelILj256EfiiEEvT2_S1_S1_S1_21rocsparse_index_base_PKT0_PKT1_PKS1_S2_PS3_PS6_PS1_.num_vgpr, 3
	.set _ZN9rocsparseL35csr2bsr_block_dim_equals_one_kernelILj256EfiiEEvT2_S1_S1_S1_21rocsparse_index_base_PKT0_PKT1_PKS1_S2_PS3_PS6_PS1_.num_agpr, 0
	.set _ZN9rocsparseL35csr2bsr_block_dim_equals_one_kernelILj256EfiiEEvT2_S1_S1_S1_21rocsparse_index_base_PKT0_PKT1_PKS1_S2_PS3_PS6_PS1_.numbered_sgpr, 15
	.set _ZN9rocsparseL35csr2bsr_block_dim_equals_one_kernelILj256EfiiEEvT2_S1_S1_S1_21rocsparse_index_base_PKT0_PKT1_PKS1_S2_PS3_PS6_PS1_.num_named_barrier, 0
	.set _ZN9rocsparseL35csr2bsr_block_dim_equals_one_kernelILj256EfiiEEvT2_S1_S1_S1_21rocsparse_index_base_PKT0_PKT1_PKS1_S2_PS3_PS6_PS1_.private_seg_size, 0
	.set _ZN9rocsparseL35csr2bsr_block_dim_equals_one_kernelILj256EfiiEEvT2_S1_S1_S1_21rocsparse_index_base_PKT0_PKT1_PKS1_S2_PS3_PS6_PS1_.uses_vcc, 1
	.set _ZN9rocsparseL35csr2bsr_block_dim_equals_one_kernelILj256EfiiEEvT2_S1_S1_S1_21rocsparse_index_base_PKT0_PKT1_PKS1_S2_PS3_PS6_PS1_.uses_flat_scratch, 0
	.set _ZN9rocsparseL35csr2bsr_block_dim_equals_one_kernelILj256EfiiEEvT2_S1_S1_S1_21rocsparse_index_base_PKT0_PKT1_PKS1_S2_PS3_PS6_PS1_.has_dyn_sized_stack, 0
	.set _ZN9rocsparseL35csr2bsr_block_dim_equals_one_kernelILj256EfiiEEvT2_S1_S1_S1_21rocsparse_index_base_PKT0_PKT1_PKS1_S2_PS3_PS6_PS1_.has_recursion, 0
	.set _ZN9rocsparseL35csr2bsr_block_dim_equals_one_kernelILj256EfiiEEvT2_S1_S1_S1_21rocsparse_index_base_PKT0_PKT1_PKS1_S2_PS3_PS6_PS1_.has_indirect_call, 0
	.section	.AMDGPU.csdata,"",@progbits
; Kernel info:
; codeLenInByte = 284
; TotalNumSgprs: 17
; NumVgprs: 3
; ScratchSize: 0
; MemoryBound: 0
; FloatMode: 240
; IeeeMode: 1
; LDSByteSize: 0 bytes/workgroup (compile time only)
; SGPRBlocks: 0
; VGPRBlocks: 0
; NumSGPRsForWavesPerEU: 17
; NumVGPRsForWavesPerEU: 3
; NamedBarCnt: 0
; Occupancy: 16
; WaveLimiterHint : 0
; COMPUTE_PGM_RSRC2:SCRATCH_EN: 0
; COMPUTE_PGM_RSRC2:USER_SGPR: 2
; COMPUTE_PGM_RSRC2:TRAP_HANDLER: 0
; COMPUTE_PGM_RSRC2:TGID_X_EN: 1
; COMPUTE_PGM_RSRC2:TGID_Y_EN: 0
; COMPUTE_PGM_RSRC2:TGID_Z_EN: 0
; COMPUTE_PGM_RSRC2:TIDIG_COMP_CNT: 0
	.section	.text._ZN9rocsparseL42csr2bsr_wavefront_per_row_multipass_kernelILj256ELj16ELj4EfiiEEv20rocsparse_direction_T4_S2_S2_S2_S2_21rocsparse_index_base_PKT2_PKT3_PKS2_S3_PS4_PS7_PS2_,"axG",@progbits,_ZN9rocsparseL42csr2bsr_wavefront_per_row_multipass_kernelILj256ELj16ELj4EfiiEEv20rocsparse_direction_T4_S2_S2_S2_S2_21rocsparse_index_base_PKT2_PKT3_PKS2_S3_PS4_PS7_PS2_,comdat
	.globl	_ZN9rocsparseL42csr2bsr_wavefront_per_row_multipass_kernelILj256ELj16ELj4EfiiEEv20rocsparse_direction_T4_S2_S2_S2_S2_21rocsparse_index_base_PKT2_PKT3_PKS2_S3_PS4_PS7_PS2_ ; -- Begin function _ZN9rocsparseL42csr2bsr_wavefront_per_row_multipass_kernelILj256ELj16ELj4EfiiEEv20rocsparse_direction_T4_S2_S2_S2_S2_21rocsparse_index_base_PKT2_PKT3_PKS2_S3_PS4_PS7_PS2_
	.p2align	8
	.type	_ZN9rocsparseL42csr2bsr_wavefront_per_row_multipass_kernelILj256ELj16ELj4EfiiEEv20rocsparse_direction_T4_S2_S2_S2_S2_21rocsparse_index_base_PKT2_PKT3_PKS2_S3_PS4_PS7_PS2_,@function
_ZN9rocsparseL42csr2bsr_wavefront_per_row_multipass_kernelILj256ELj16ELj4EfiiEEv20rocsparse_direction_T4_S2_S2_S2_S2_21rocsparse_index_base_PKT2_PKT3_PKS2_S3_PS4_PS7_PS2_: ; @_ZN9rocsparseL42csr2bsr_wavefront_per_row_multipass_kernelILj256ELj16ELj4EfiiEEv20rocsparse_direction_T4_S2_S2_S2_S2_21rocsparse_index_base_PKT2_PKT3_PKS2_S3_PS4_PS7_PS2_
; %bb.0:
	s_clause 0x1
	s_load_b128 s[4:7], s[0:1], 0xc
	s_load_b64 s[12:13], s[0:1], 0x0
	s_bfe_u32 s2, ttmp6, 0x4000c
	s_and_b32 s3, ttmp6, 15
	s_add_co_i32 s2, s2, 1
	s_getreg_b32 s8, hwreg(HW_REG_IB_STS2, 6, 4)
	s_mul_i32 s2, ttmp9, s2
	v_dual_lshrrev_b32 v10, 4, v0 :: v_dual_mov_b32 v2, 0
	s_add_co_i32 s3, s3, s2
	s_cmp_eq_u32 s8, 0
	v_bfe_u32 v3, v0, 2, 2
	s_cselect_b32 s2, ttmp9, s3
	s_load_b64 s[8:9], s[0:1], 0x28
	v_lshl_or_b32 v1, s2, 4, v10
	v_mov_b32_e32 v18, 0
	s_wait_kmcnt 0x0
	s_delay_alu instid0(VALU_DEP_2) | instskip(SKIP_1) | instid1(VALU_DEP_2)
	v_mad_u32 v4, v1, s6, v3
	v_cmp_gt_i32_e32 vcc_lo, s6, v3
	v_cmp_gt_i32_e64 s2, s13, v4
	s_and_b32 s2, vcc_lo, s2
	s_delay_alu instid0(SALU_CYCLE_1)
	s_and_saveexec_b32 s3, s2
	s_cbranch_execz .LBB37_2
; %bb.1:
	global_load_b32 v5, v4, s[8:9] scale_offset
	s_wait_loadcnt 0x0
	v_subrev_nc_u32_e32 v18, s7, v5
.LBB37_2:
	s_or_b32 exec_lo, exec_lo, s3
	v_mov_b32_e32 v11, 0
	s_and_saveexec_b32 s3, s2
	s_cbranch_execz .LBB37_4
; %bb.3:
	global_load_b32 v4, v4, s[8:9] offset:4 scale_offset
	s_wait_loadcnt 0x0
	v_subrev_nc_u32_e32 v11, s7, v4
.LBB37_4:
	s_or_b32 exec_lo, exec_lo, s3
	s_load_b32 s16, s[0:1], 0x38
	s_mov_b32 s3, exec_lo
	v_cmpx_gt_i32_e64 s4, v1
	s_cbranch_execz .LBB37_6
; %bb.5:
	s_load_b64 s[8:9], s[0:1], 0x48
	s_wait_kmcnt 0x0
	global_load_b32 v1, v1, s[8:9] scale_offset
	s_wait_loadcnt 0x0
	v_subrev_nc_u32_e32 v2, s16, v1
.LBB37_6:
	s_or_b32 exec_lo, exec_lo, s3
	s_cmp_lt_i32 s5, 1
	s_cbranch_scc1 .LBB37_24
; %bb.7:
	s_load_b64 s[18:19], s[0:1], 0x40
	v_dual_lshlrev_b32 v4, 4, v3 :: v_dual_bitop2_b32 v12, 3, v0 bitop3:0x40
	v_and_b32_e32 v1, 0xf0, v0
	v_mbcnt_lo_u32_b32 v19, -1, 0
	s_clause 0x2
	s_load_b64 s[2:3], s[0:1], 0x50
	s_load_b64 s[8:9], s[0:1], 0x30
	;; [unrolled: 1-line block ×3, first 2 shown]
	v_mul_lo_u32 v0, s6, v12
	v_lshlrev_b32_e32 v6, 2, v12
	v_lshl_or_b32 v13, v1, 2, v4
	v_dual_mov_b32 v1, 0 :: v_dual_bitop2_b32 v4, 2, v19 bitop3:0x14
	v_xor_b32_e32 v7, 1, v19
	s_wait_xcnt 0x0
	v_cmp_gt_u32_e64 s0, s6, v12
	s_mov_b32 s13, 0
	v_cmp_gt_i32_e64 s1, 32, v4
	v_dual_mov_b32 v22, 1 :: v_dual_bitop2_b32 v14, v13, v6 bitop3:0x54
	s_delay_alu instid0(VALU_DEP_2)
	v_dual_cndmask_b32 v8, v19, v4, s1 :: v_dual_bitop2_b32 v21, 8, v19 bitop3:0x14
	s_and_b32 s1, vcc_lo, s0
	s_wait_kmcnt 0x0
	v_lshl_add_u64 v[4:5], v[0:1], 2, s[18:19]
	v_lshlrev_b32_e32 v0, 2, v3
	s_cmp_lg_u32 s12, 0
	v_lshlrev_b32_e32 v15, 2, v8
	s_cselect_b32 s4, -1, 0
	s_abs_i32 s17, s6
	v_add_nc_u64_e32 v[4:5], v[4:5], v[0:1]
	v_mul_lo_u32 v0, s6, v3
	s_cvt_f32_u32 s0, s17
	v_cmp_gt_i32_e32 vcc_lo, 32, v7
	v_lshlrev_b32_e32 v3, 2, v19
	s_mov_b32 s12, s6
	v_rcp_iflag_f32_e32 v20, s0
	s_mul_u64 s[14:15], s[12:13], s[12:13]
	v_cndmask_b32_e32 v7, v19, v7, vcc_lo
	v_cmp_gt_i32_e32 vcc_lo, 32, v21
	s_sub_co_i32 s12, 0, s17
	v_lshl_add_u64 v[8:9], v[0:1], 2, s[18:19]
	s_delay_alu instid0(TRANS32_DEP_1) | instskip(SKIP_4) | instid1(VALU_DEP_2)
	v_readfirstlane_b32 s0, v20
	v_dual_cndmask_b32 v20, v19, v21, vcc_lo :: v_dual_bitop2_b32 v0, 4, v19 bitop3:0x14
	v_dual_mov_b32 v7, v1 :: v_dual_lshlrev_b32 v16, 2, v7
	s_mul_f32 s0, s0, 0x4f7ffffe
	s_ashr_i32 s18, s6, 31
	v_cmp_gt_i32_e32 vcc_lo, 32, v0
	v_or_b32_e32 v17, 12, v3
	s_cvt_u32_f32 s0, s0
	v_add_nc_u64_e32 v[6:7], v[8:9], v[6:7]
	v_dual_cndmask_b32 v0, v19, v0, vcc_lo :: v_dual_bitop2_b32 v21, 60, v3 bitop3:0x54
	s_delay_alu instid0(SALU_CYCLE_1) | instskip(SKIP_2) | instid1(VALU_DEP_2)
	s_mul_i32 s12, s12, s0
	v_dual_lshlrev_b32 v19, 2, v20 :: v_dual_mov_b32 v3, 0
	s_mul_hi_u32 s12, s0, s12
	v_lshlrev_b32_e32 v20, 2, v0
	s_add_co_i32 s12, s0, s12
	s_mov_b32 s19, s13
	s_branch .LBB37_10
.LBB37_8:                               ;   in Loop: Header=BB37_10 Depth=1
	s_wait_xcnt 0x0
	s_or_b32 exec_lo, exec_lo, s20
	s_wait_dscnt 0x0
	v_mov_b32_e32 v0, 1
.LBB37_9:                               ;   in Loop: Header=BB37_10 Depth=1
	s_or_b32 exec_lo, exec_lo, s0
	ds_bpermute_b32 v3, v19, v23
	s_wait_storecnt_dscnt 0x0
	v_dual_add_nc_u32 v2, v0, v2 :: v_dual_min_i32 v3, v3, v23
	ds_bpermute_b32 v8, v20, v3
	s_wait_dscnt 0x0
	v_min_i32_e32 v3, v8, v3
	ds_bpermute_b32 v8, v15, v3
	s_wait_dscnt 0x0
	v_min_i32_e32 v3, v8, v3
	;; [unrolled: 3-line block ×3, first 2 shown]
	ds_bpermute_b32 v3, v21, v3
	s_wait_dscnt 0x0
	v_cmp_le_i32_e32 vcc_lo, s5, v3
	s_or_b32 s19, vcc_lo, s19
	s_delay_alu instid0(SALU_CYCLE_1)
	s_and_not1_b32 exec_lo, exec_lo, s19
	s_cbranch_execz .LBB37_24
.LBB37_10:                              ; =>This Loop Header: Depth=1
                                        ;     Child Loop BB37_13 Depth 2
	v_dual_mov_b32 v23, s5 :: v_dual_add_nc_u32 v8, v18, v12
	v_mov_b32_e32 v9, v11
	s_mov_b32 s20, exec_lo
	ds_store_b8 v10, v1 offset:1024
	ds_store_b32 v14, v1
	s_wait_dscnt 0x0
	v_cmpx_lt_i32_e64 v8, v11
	s_cbranch_execz .LBB37_18
; %bb.11:                               ;   in Loop: Header=BB37_10 Depth=1
	v_mul_lo_u32 v18, v3, s6
	v_dual_mov_b32 v23, s5 :: v_dual_mov_b32 v9, v11
	s_mov_b32 s21, 0
	s_branch .LBB37_13
.LBB37_12:                              ;   in Loop: Header=BB37_13 Depth=2
	s_wait_xcnt 0x0
	s_or_b32 exec_lo, exec_lo, s0
	v_add_nc_u32_e32 v8, 4, v8
	s_xor_b32 s22, vcc_lo, -1
	s_delay_alu instid0(VALU_DEP_1) | instskip(SKIP_1) | instid1(SALU_CYCLE_1)
	v_cmp_ge_i32_e64 s0, v8, v11
	s_or_b32 s0, s22, s0
	s_and_b32 s0, exec_lo, s0
	s_delay_alu instid0(SALU_CYCLE_1) | instskip(NEXT) | instid1(SALU_CYCLE_1)
	s_or_b32 s21, s0, s21
	s_and_not1_b32 exec_lo, exec_lo, s21
	s_cbranch_execz .LBB37_17
.LBB37_13:                              ;   Parent Loop BB37_10 Depth=1
                                        ; =>  This Inner Loop Header: Depth=2
	global_load_b32 v0, v8, s[8:9] scale_offset
	s_wait_loadcnt 0x0
	v_subrev_nc_u32_e32 v24, s7, v0
	s_delay_alu instid0(VALU_DEP_1) | instskip(NEXT) | instid1(VALU_DEP_1)
	v_sub_nc_u32_e32 v0, 0, v24
	v_max_i32_e32 v0, v24, v0
	s_delay_alu instid0(VALU_DEP_1) | instskip(NEXT) | instid1(VALU_DEP_1)
	v_mul_u64_e32 v[26:27], s[12:13], v[0:1]
	v_mul_lo_u32 v25, v27, s17
	s_delay_alu instid0(VALU_DEP_1) | instskip(NEXT) | instid1(VALU_DEP_1)
	v_dual_sub_nc_u32 v0, v0, v25 :: v_dual_add_nc_u32 v25, 1, v27
	v_cmp_le_u32_e32 vcc_lo, s17, v0
	s_delay_alu instid0(VALU_DEP_2) | instskip(SKIP_1) | instid1(VALU_DEP_1)
	v_dual_cndmask_b32 v25, v27, v25, vcc_lo :: v_dual_ashrrev_i32 v27, 31, v24
	v_subrev_nc_u32_e32 v26, s17, v0
	v_dual_cndmask_b32 v0, v0, v26, vcc_lo :: v_dual_add_nc_u32 v26, 1, v25
	s_delay_alu instid0(VALU_DEP_1) | instskip(NEXT) | instid1(VALU_DEP_2)
	v_cmp_le_u32_e32 vcc_lo, s17, v0
	v_dual_cndmask_b32 v0, v25, v26, vcc_lo :: v_dual_bitop2_b32 v27, s18, v27 bitop3:0x14
	s_delay_alu instid0(VALU_DEP_1) | instskip(NEXT) | instid1(VALU_DEP_1)
	v_xor_b32_e32 v0, v0, v27
	v_dual_mov_b32 v0, v9 :: v_dual_sub_nc_u32 v25, v0, v27
	s_delay_alu instid0(VALU_DEP_1) | instskip(SKIP_3) | instid1(SALU_CYCLE_1)
	v_cmp_ne_u32_e64 s0, v25, v3
	v_cmp_eq_u32_e32 vcc_lo, v25, v3
	s_wait_xcnt 0x0
	s_and_saveexec_b32 s22, s0
	s_xor_b32 s0, exec_lo, s22
; %bb.14:                               ;   in Loop: Header=BB37_13 Depth=2
	v_min_i32_e32 v23, v25, v23
                                        ; implicit-def: $vgpr24
                                        ; implicit-def: $vgpr0
; %bb.15:                               ;   in Loop: Header=BB37_13 Depth=2
	s_or_saveexec_b32 s0, s0
	v_mov_b32_e32 v9, v8
	s_xor_b32 exec_lo, exec_lo, s0
	s_cbranch_execz .LBB37_12
; %bb.16:                               ;   in Loop: Header=BB37_13 Depth=2
	v_ashrrev_i32_e32 v9, 31, v8
	s_delay_alu instid0(VALU_DEP_1)
	v_lshl_add_u64 v[26:27], v[8:9], 2, s[10:11]
	v_sub_nc_u32_e32 v9, v24, v18
	global_load_b32 v25, v[26:27], off
	v_lshl_add_u32 v24, v9, 2, v13
	v_mov_b32_e32 v9, v0
	ds_store_b8 v10, v22 offset:1024
	s_wait_loadcnt 0x0
	ds_store_b32 v24, v25
	s_branch .LBB37_12
.LBB37_17:                              ;   in Loop: Header=BB37_10 Depth=1
	s_or_b32 exec_lo, exec_lo, s21
.LBB37_18:                              ;   in Loop: Header=BB37_10 Depth=1
	s_delay_alu instid0(SALU_CYCLE_1)
	s_or_b32 exec_lo, exec_lo, s20
	ds_bpermute_b32 v0, v15, v9
	s_wait_dscnt 0x0
	v_min_i32_e32 v0, v0, v9
	ds_load_u8 v9, v10 offset:1024
	ds_bpermute_b32 v8, v16, v0
	s_wait_dscnt 0x0
	v_min_i32_e32 v0, v8, v0
	ds_bpermute_b32 v18, v17, v0
	v_and_b32_e32 v0, 1, v9
	s_delay_alu instid0(VALU_DEP_1)
	v_cmp_eq_u32_e32 vcc_lo, 1, v0
	v_mov_b32_e32 v0, 0
	s_and_saveexec_b32 s0, vcc_lo
	s_cbranch_execz .LBB37_9
; %bb.19:                               ;   in Loop: Header=BB37_10 Depth=1
	v_add_nc_u32_e32 v0, s16, v3
	global_store_b32 v2, v0, s[2:3] scale_offset
	s_wait_xcnt 0x0
	s_and_saveexec_b32 s20, s1
	s_cbranch_execz .LBB37_8
; %bb.20:                               ;   in Loop: Header=BB37_10 Depth=1
	v_ashrrev_i32_e32 v3, 31, v2
	ds_load_b32 v0, v14
	s_and_b32 vcc_lo, exec_lo, s4
	v_mul_u64_e32 v[8:9], s[14:15], v[2:3]
	s_cbranch_vccz .LBB37_22
; %bb.21:                               ;   in Loop: Header=BB37_10 Depth=1
	s_delay_alu instid0(VALU_DEP_1)
	v_lshl_add_u64 v[24:25], v[8:9], 2, v[4:5]
	s_wait_dscnt 0x0
	global_store_b32 v[24:25], v0, off
	s_cbranch_execnz .LBB37_8
	s_branch .LBB37_23
.LBB37_22:                              ;   in Loop: Header=BB37_10 Depth=1
.LBB37_23:                              ;   in Loop: Header=BB37_10 Depth=1
	s_delay_alu instid0(VALU_DEP_1)
	v_lshl_add_u64 v[8:9], v[8:9], 2, v[6:7]
	s_wait_dscnt 0x0
	global_store_b32 v[8:9], v0, off
	s_branch .LBB37_8
.LBB37_24:
	s_endpgm
	.section	.rodata,"a",@progbits
	.p2align	6, 0x0
	.amdhsa_kernel _ZN9rocsparseL42csr2bsr_wavefront_per_row_multipass_kernelILj256ELj16ELj4EfiiEEv20rocsparse_direction_T4_S2_S2_S2_S2_21rocsparse_index_base_PKT2_PKT3_PKS2_S3_PS4_PS7_PS2_
		.amdhsa_group_segment_fixed_size 1040
		.amdhsa_private_segment_fixed_size 0
		.amdhsa_kernarg_size 88
		.amdhsa_user_sgpr_count 2
		.amdhsa_user_sgpr_dispatch_ptr 0
		.amdhsa_user_sgpr_queue_ptr 0
		.amdhsa_user_sgpr_kernarg_segment_ptr 1
		.amdhsa_user_sgpr_dispatch_id 0
		.amdhsa_user_sgpr_kernarg_preload_length 0
		.amdhsa_user_sgpr_kernarg_preload_offset 0
		.amdhsa_user_sgpr_private_segment_size 0
		.amdhsa_wavefront_size32 1
		.amdhsa_uses_dynamic_stack 0
		.amdhsa_enable_private_segment 0
		.amdhsa_system_sgpr_workgroup_id_x 1
		.amdhsa_system_sgpr_workgroup_id_y 0
		.amdhsa_system_sgpr_workgroup_id_z 0
		.amdhsa_system_sgpr_workgroup_info 0
		.amdhsa_system_vgpr_workitem_id 0
		.amdhsa_next_free_vgpr 28
		.amdhsa_next_free_sgpr 23
		.amdhsa_named_barrier_count 0
		.amdhsa_reserve_vcc 1
		.amdhsa_float_round_mode_32 0
		.amdhsa_float_round_mode_16_64 0
		.amdhsa_float_denorm_mode_32 3
		.amdhsa_float_denorm_mode_16_64 3
		.amdhsa_fp16_overflow 0
		.amdhsa_memory_ordered 1
		.amdhsa_forward_progress 1
		.amdhsa_inst_pref_size 11
		.amdhsa_round_robin_scheduling 0
		.amdhsa_exception_fp_ieee_invalid_op 0
		.amdhsa_exception_fp_denorm_src 0
		.amdhsa_exception_fp_ieee_div_zero 0
		.amdhsa_exception_fp_ieee_overflow 0
		.amdhsa_exception_fp_ieee_underflow 0
		.amdhsa_exception_fp_ieee_inexact 0
		.amdhsa_exception_int_div_zero 0
	.end_amdhsa_kernel
	.section	.text._ZN9rocsparseL42csr2bsr_wavefront_per_row_multipass_kernelILj256ELj16ELj4EfiiEEv20rocsparse_direction_T4_S2_S2_S2_S2_21rocsparse_index_base_PKT2_PKT3_PKS2_S3_PS4_PS7_PS2_,"axG",@progbits,_ZN9rocsparseL42csr2bsr_wavefront_per_row_multipass_kernelILj256ELj16ELj4EfiiEEv20rocsparse_direction_T4_S2_S2_S2_S2_21rocsparse_index_base_PKT2_PKT3_PKS2_S3_PS4_PS7_PS2_,comdat
.Lfunc_end37:
	.size	_ZN9rocsparseL42csr2bsr_wavefront_per_row_multipass_kernelILj256ELj16ELj4EfiiEEv20rocsparse_direction_T4_S2_S2_S2_S2_21rocsparse_index_base_PKT2_PKT3_PKS2_S3_PS4_PS7_PS2_, .Lfunc_end37-_ZN9rocsparseL42csr2bsr_wavefront_per_row_multipass_kernelILj256ELj16ELj4EfiiEEv20rocsparse_direction_T4_S2_S2_S2_S2_21rocsparse_index_base_PKT2_PKT3_PKS2_S3_PS4_PS7_PS2_
                                        ; -- End function
	.set _ZN9rocsparseL42csr2bsr_wavefront_per_row_multipass_kernelILj256ELj16ELj4EfiiEEv20rocsparse_direction_T4_S2_S2_S2_S2_21rocsparse_index_base_PKT2_PKT3_PKS2_S3_PS4_PS7_PS2_.num_vgpr, 28
	.set _ZN9rocsparseL42csr2bsr_wavefront_per_row_multipass_kernelILj256ELj16ELj4EfiiEEv20rocsparse_direction_T4_S2_S2_S2_S2_21rocsparse_index_base_PKT2_PKT3_PKS2_S3_PS4_PS7_PS2_.num_agpr, 0
	.set _ZN9rocsparseL42csr2bsr_wavefront_per_row_multipass_kernelILj256ELj16ELj4EfiiEEv20rocsparse_direction_T4_S2_S2_S2_S2_21rocsparse_index_base_PKT2_PKT3_PKS2_S3_PS4_PS7_PS2_.numbered_sgpr, 23
	.set _ZN9rocsparseL42csr2bsr_wavefront_per_row_multipass_kernelILj256ELj16ELj4EfiiEEv20rocsparse_direction_T4_S2_S2_S2_S2_21rocsparse_index_base_PKT2_PKT3_PKS2_S3_PS4_PS7_PS2_.num_named_barrier, 0
	.set _ZN9rocsparseL42csr2bsr_wavefront_per_row_multipass_kernelILj256ELj16ELj4EfiiEEv20rocsparse_direction_T4_S2_S2_S2_S2_21rocsparse_index_base_PKT2_PKT3_PKS2_S3_PS4_PS7_PS2_.private_seg_size, 0
	.set _ZN9rocsparseL42csr2bsr_wavefront_per_row_multipass_kernelILj256ELj16ELj4EfiiEEv20rocsparse_direction_T4_S2_S2_S2_S2_21rocsparse_index_base_PKT2_PKT3_PKS2_S3_PS4_PS7_PS2_.uses_vcc, 1
	.set _ZN9rocsparseL42csr2bsr_wavefront_per_row_multipass_kernelILj256ELj16ELj4EfiiEEv20rocsparse_direction_T4_S2_S2_S2_S2_21rocsparse_index_base_PKT2_PKT3_PKS2_S3_PS4_PS7_PS2_.uses_flat_scratch, 0
	.set _ZN9rocsparseL42csr2bsr_wavefront_per_row_multipass_kernelILj256ELj16ELj4EfiiEEv20rocsparse_direction_T4_S2_S2_S2_S2_21rocsparse_index_base_PKT2_PKT3_PKS2_S3_PS4_PS7_PS2_.has_dyn_sized_stack, 0
	.set _ZN9rocsparseL42csr2bsr_wavefront_per_row_multipass_kernelILj256ELj16ELj4EfiiEEv20rocsparse_direction_T4_S2_S2_S2_S2_21rocsparse_index_base_PKT2_PKT3_PKS2_S3_PS4_PS7_PS2_.has_recursion, 0
	.set _ZN9rocsparseL42csr2bsr_wavefront_per_row_multipass_kernelILj256ELj16ELj4EfiiEEv20rocsparse_direction_T4_S2_S2_S2_S2_21rocsparse_index_base_PKT2_PKT3_PKS2_S3_PS4_PS7_PS2_.has_indirect_call, 0
	.section	.AMDGPU.csdata,"",@progbits
; Kernel info:
; codeLenInByte = 1332
; TotalNumSgprs: 25
; NumVgprs: 28
; ScratchSize: 0
; MemoryBound: 0
; FloatMode: 240
; IeeeMode: 1
; LDSByteSize: 1040 bytes/workgroup (compile time only)
; SGPRBlocks: 0
; VGPRBlocks: 1
; NumSGPRsForWavesPerEU: 25
; NumVGPRsForWavesPerEU: 28
; NamedBarCnt: 0
; Occupancy: 16
; WaveLimiterHint : 0
; COMPUTE_PGM_RSRC2:SCRATCH_EN: 0
; COMPUTE_PGM_RSRC2:USER_SGPR: 2
; COMPUTE_PGM_RSRC2:TRAP_HANDLER: 0
; COMPUTE_PGM_RSRC2:TGID_X_EN: 1
; COMPUTE_PGM_RSRC2:TGID_Y_EN: 0
; COMPUTE_PGM_RSRC2:TGID_Z_EN: 0
; COMPUTE_PGM_RSRC2:TIDIG_COMP_CNT: 0
	.section	.text._ZN9rocsparseL42csr2bsr_wavefront_per_row_multipass_kernelILj256ELj64ELj8EfiiEEv20rocsparse_direction_T4_S2_S2_S2_S2_21rocsparse_index_base_PKT2_PKT3_PKS2_S3_PS4_PS7_PS2_,"axG",@progbits,_ZN9rocsparseL42csr2bsr_wavefront_per_row_multipass_kernelILj256ELj64ELj8EfiiEEv20rocsparse_direction_T4_S2_S2_S2_S2_21rocsparse_index_base_PKT2_PKT3_PKS2_S3_PS4_PS7_PS2_,comdat
	.globl	_ZN9rocsparseL42csr2bsr_wavefront_per_row_multipass_kernelILj256ELj64ELj8EfiiEEv20rocsparse_direction_T4_S2_S2_S2_S2_21rocsparse_index_base_PKT2_PKT3_PKS2_S3_PS4_PS7_PS2_ ; -- Begin function _ZN9rocsparseL42csr2bsr_wavefront_per_row_multipass_kernelILj256ELj64ELj8EfiiEEv20rocsparse_direction_T4_S2_S2_S2_S2_21rocsparse_index_base_PKT2_PKT3_PKS2_S3_PS4_PS7_PS2_
	.p2align	8
	.type	_ZN9rocsparseL42csr2bsr_wavefront_per_row_multipass_kernelILj256ELj64ELj8EfiiEEv20rocsparse_direction_T4_S2_S2_S2_S2_21rocsparse_index_base_PKT2_PKT3_PKS2_S3_PS4_PS7_PS2_,@function
_ZN9rocsparseL42csr2bsr_wavefront_per_row_multipass_kernelILj256ELj64ELj8EfiiEEv20rocsparse_direction_T4_S2_S2_S2_S2_21rocsparse_index_base_PKT2_PKT3_PKS2_S3_PS4_PS7_PS2_: ; @_ZN9rocsparseL42csr2bsr_wavefront_per_row_multipass_kernelILj256ELj64ELj8EfiiEEv20rocsparse_direction_T4_S2_S2_S2_S2_21rocsparse_index_base_PKT2_PKT3_PKS2_S3_PS4_PS7_PS2_
; %bb.0:
	s_clause 0x1
	s_load_b128 s[4:7], s[0:1], 0xc
	s_load_b64 s[12:13], s[0:1], 0x0
	s_bfe_u32 s2, ttmp6, 0x4000c
	s_and_b32 s3, ttmp6, 15
	s_add_co_i32 s2, s2, 1
	s_getreg_b32 s8, hwreg(HW_REG_IB_STS2, 6, 4)
	s_mul_i32 s2, ttmp9, s2
	v_dual_lshrrev_b32 v10, 6, v0 :: v_dual_mov_b32 v2, 0
	s_add_co_i32 s3, s3, s2
	s_cmp_eq_u32 s8, 0
	v_bfe_u32 v3, v0, 3, 3
	s_cselect_b32 s2, ttmp9, s3
	s_load_b64 s[8:9], s[0:1], 0x28
	v_lshl_or_b32 v1, s2, 2, v10
	v_mov_b32_e32 v19, 0
	s_wait_kmcnt 0x0
	s_delay_alu instid0(VALU_DEP_2) | instskip(SKIP_1) | instid1(VALU_DEP_2)
	v_mad_u32 v4, v1, s6, v3
	v_cmp_gt_i32_e32 vcc_lo, s6, v3
	v_cmp_gt_i32_e64 s2, s13, v4
	s_and_b32 s2, vcc_lo, s2
	s_delay_alu instid0(SALU_CYCLE_1)
	s_and_saveexec_b32 s3, s2
	s_cbranch_execz .LBB38_2
; %bb.1:
	global_load_b32 v5, v4, s[8:9] scale_offset
	s_wait_loadcnt 0x0
	v_subrev_nc_u32_e32 v19, s7, v5
.LBB38_2:
	s_or_b32 exec_lo, exec_lo, s3
	v_mov_b32_e32 v11, 0
	s_and_saveexec_b32 s3, s2
	s_cbranch_execz .LBB38_4
; %bb.3:
	global_load_b32 v4, v4, s[8:9] offset:4 scale_offset
	s_wait_loadcnt 0x0
	v_subrev_nc_u32_e32 v11, s7, v4
.LBB38_4:
	s_or_b32 exec_lo, exec_lo, s3
	s_load_b32 s16, s[0:1], 0x38
	s_mov_b32 s3, exec_lo
	v_cmpx_gt_i32_e64 s4, v1
	s_cbranch_execz .LBB38_6
; %bb.5:
	s_load_b64 s[8:9], s[0:1], 0x48
	s_wait_kmcnt 0x0
	global_load_b32 v1, v1, s[8:9] scale_offset
	s_wait_loadcnt 0x0
	v_subrev_nc_u32_e32 v2, s16, v1
.LBB38_6:
	s_or_b32 exec_lo, exec_lo, s3
	s_cmp_lt_i32 s5, 1
	s_cbranch_scc1 .LBB38_24
; %bb.7:
	s_load_b64 s[14:15], s[0:1], 0x40
	v_dual_lshlrev_b32 v5, 5, v3 :: v_dual_bitop2_b32 v12, 7, v0 bitop3:0x40
	v_and_b32_e32 v4, 0xc0, v0
	v_mbcnt_lo_u32_b32 v20, -1, 0
	v_mov_b32_e32 v1, 0
	s_delay_alu instid0(VALU_DEP_4)
	v_mul_lo_u32 v0, s6, v12
	s_clause 0x2
	s_load_b64 s[2:3], s[0:1], 0x50
	s_load_b64 s[8:9], s[0:1], 0x30
	;; [unrolled: 1-line block ×3, first 2 shown]
	v_lshl_or_b32 v13, v4, 2, v5
	v_xor_b32_e32 v4, 4, v20
	v_lshlrev_b32_e32 v6, 2, v12
	s_wait_xcnt 0x0
	v_cmp_gt_u32_e64 s0, s6, v12
	s_mov_b32 s13, 0
	v_lshl_or_b32 v18, v20, 2, 28
	v_cmp_gt_i32_e64 s1, 32, v4
	v_bfrev_b32_e32 v23, 0.5
	s_mov_b32 s19, s13
	v_dual_mov_b32 v24, 1 :: v_dual_cndmask_b32 v9, v20, v4, s1
	s_wait_kmcnt 0x0
	v_lshl_add_u64 v[4:5], v[0:1], 2, s[14:15]
	v_dual_lshlrev_b32 v0, 2, v3 :: v_dual_bitop2_b32 v14, v13, v6 bitop3:0x54
	s_delay_alu instid0(VALU_DEP_3) | instskip(NEXT) | instid1(VALU_DEP_2)
	v_dual_lshlrev_b32 v15, 2, v9 :: v_dual_bitop2_b32 v7, 2, v20 bitop3:0x14
	v_add_nc_u64_e32 v[4:5], v[4:5], v[0:1]
	v_mul_lo_u32 v0, s6, v3
	s_delay_alu instid0(VALU_DEP_3) | instskip(NEXT) | instid1(VALU_DEP_1)
	v_cmp_gt_i32_e64 s1, 32, v7
	v_dual_cndmask_b32 v7, v20, v7, s1 :: v_dual_bitop2_b32 v8, 1, v20 bitop3:0x14
	s_delay_alu instid0(VALU_DEP_1) | instskip(NEXT) | instid1(VALU_DEP_1)
	v_cmp_gt_i32_e64 s1, 32, v8
	v_dual_lshlrev_b32 v16, 2, v7 :: v_dual_cndmask_b32 v3, v20, v8, s1
	s_and_b32 s1, vcc_lo, s0
	s_cmp_lg_u32 s12, 0
	v_lshl_add_u64 v[8:9], v[0:1], 2, s[14:15]
	s_delay_alu instid0(VALU_DEP_2)
	v_dual_mov_b32 v7, v1 :: v_dual_lshlrev_b32 v17, 2, v3
	s_cselect_b32 s4, -1, 0
	s_abs_i32 s17, s6
	s_mov_b32 s12, s6
	s_cvt_f32_u32 s0, s17
	v_add_nc_u64_e32 v[6:7], v[8:9], v[6:7]
	v_xor_b32_e32 v9, 8, v20
	v_or_b32_e32 v3, 32, v20
	v_rcp_iflag_f32_e32 v0, s0
	s_mul_u64 s[14:15], s[12:13], s[12:13]
	s_sub_co_i32 s12, 0, s17
	s_ashr_i32 s18, s6, 31
	v_cmp_gt_i32_e32 vcc_lo, 32, v3
	v_xor_b32_e32 v8, 16, v20
	s_delay_alu instid0(TRANS32_DEP_1) | instskip(SKIP_1) | instid1(VALU_DEP_3)
	v_readfirstlane_b32 s0, v0
	v_cndmask_b32_e32 v0, v20, v3, vcc_lo
	v_cmp_gt_i32_e32 vcc_lo, 32, v8
	s_mul_f32 s0, s0, 0x4f7ffffe
	v_cndmask_b32_e32 v3, v20, v8, vcc_lo
	s_delay_alu instid0(SALU_CYCLE_2) | instskip(NEXT) | instid1(VALU_DEP_1)
	s_cvt_u32_f32 s0, s0
	v_lshlrev_b32_e32 v21, 2, v3
	v_cmp_gt_i32_e32 vcc_lo, 32, v9
	s_delay_alu instid0(SALU_CYCLE_1) | instskip(SKIP_4) | instid1(VALU_DEP_1)
	s_mul_i32 s12, s12, s0
	v_mov_b32_e32 v3, 0
	s_mul_hi_u32 s12, s0, s12
	v_dual_cndmask_b32 v8, v20, v9, vcc_lo :: v_dual_lshlrev_b32 v20, 2, v0
	s_add_co_i32 s12, s0, s12
	v_lshlrev_b32_e32 v22, 2, v8
	s_branch .LBB38_10
.LBB38_8:                               ;   in Loop: Header=BB38_10 Depth=1
	s_wait_xcnt 0x0
	s_or_b32 exec_lo, exec_lo, s20
	s_wait_dscnt 0x0
	v_mov_b32_e32 v0, 1
.LBB38_9:                               ;   in Loop: Header=BB38_10 Depth=1
	s_or_b32 exec_lo, exec_lo, s0
	ds_bpermute_b32 v3, v20, v25
	s_wait_storecnt_dscnt 0x0
	v_dual_add_nc_u32 v2, v0, v2 :: v_dual_min_i32 v3, v3, v25
	ds_bpermute_b32 v8, v21, v3
	s_wait_dscnt 0x0
	v_min_i32_e32 v3, v8, v3
	ds_bpermute_b32 v8, v22, v3
	s_wait_dscnt 0x0
	v_min_i32_e32 v3, v8, v3
	;; [unrolled: 3-line block ×5, first 2 shown]
	ds_bpermute_b32 v3, v23, v3
	s_wait_dscnt 0x0
	v_cmp_le_i32_e32 vcc_lo, s5, v3
	s_or_b32 s19, vcc_lo, s19
	s_delay_alu instid0(SALU_CYCLE_1)
	s_and_not1_b32 exec_lo, exec_lo, s19
	s_cbranch_execz .LBB38_24
.LBB38_10:                              ; =>This Loop Header: Depth=1
                                        ;     Child Loop BB38_13 Depth 2
	v_dual_mov_b32 v25, s5 :: v_dual_add_nc_u32 v8, v19, v12
	v_mov_b32_e32 v9, v11
	s_mov_b32 s20, exec_lo
	ds_store_b8 v10, v1 offset:1024
	ds_store_b32 v14, v1
	s_wait_dscnt 0x0
	v_cmpx_lt_i32_e64 v8, v11
	s_cbranch_execz .LBB38_18
; %bb.11:                               ;   in Loop: Header=BB38_10 Depth=1
	v_mul_lo_u32 v19, v3, s6
	v_dual_mov_b32 v25, s5 :: v_dual_mov_b32 v9, v11
	s_mov_b32 s21, 0
	s_branch .LBB38_13
.LBB38_12:                              ;   in Loop: Header=BB38_13 Depth=2
	s_wait_xcnt 0x0
	s_or_b32 exec_lo, exec_lo, s0
	v_add_nc_u32_e32 v8, 8, v8
	s_xor_b32 s22, vcc_lo, -1
	s_delay_alu instid0(VALU_DEP_1) | instskip(SKIP_1) | instid1(SALU_CYCLE_1)
	v_cmp_ge_i32_e64 s0, v8, v11
	s_or_b32 s0, s22, s0
	s_and_b32 s0, exec_lo, s0
	s_delay_alu instid0(SALU_CYCLE_1) | instskip(NEXT) | instid1(SALU_CYCLE_1)
	s_or_b32 s21, s0, s21
	s_and_not1_b32 exec_lo, exec_lo, s21
	s_cbranch_execz .LBB38_17
.LBB38_13:                              ;   Parent Loop BB38_10 Depth=1
                                        ; =>  This Inner Loop Header: Depth=2
	global_load_b32 v0, v8, s[8:9] scale_offset
	s_wait_loadcnt 0x0
	v_subrev_nc_u32_e32 v26, s7, v0
	s_delay_alu instid0(VALU_DEP_1) | instskip(NEXT) | instid1(VALU_DEP_1)
	v_sub_nc_u32_e32 v0, 0, v26
	v_max_i32_e32 v0, v26, v0
	s_delay_alu instid0(VALU_DEP_1) | instskip(NEXT) | instid1(VALU_DEP_1)
	v_mul_u64_e32 v[28:29], s[12:13], v[0:1]
	v_mul_lo_u32 v27, v29, s17
	s_delay_alu instid0(VALU_DEP_1) | instskip(NEXT) | instid1(VALU_DEP_1)
	v_dual_sub_nc_u32 v0, v0, v27 :: v_dual_add_nc_u32 v27, 1, v29
	v_cmp_le_u32_e32 vcc_lo, s17, v0
	s_delay_alu instid0(VALU_DEP_2) | instskip(SKIP_1) | instid1(VALU_DEP_1)
	v_dual_cndmask_b32 v27, v29, v27, vcc_lo :: v_dual_ashrrev_i32 v29, 31, v26
	v_subrev_nc_u32_e32 v28, s17, v0
	v_dual_cndmask_b32 v0, v0, v28, vcc_lo :: v_dual_add_nc_u32 v28, 1, v27
	s_delay_alu instid0(VALU_DEP_1) | instskip(NEXT) | instid1(VALU_DEP_2)
	v_cmp_le_u32_e32 vcc_lo, s17, v0
	v_dual_cndmask_b32 v0, v27, v28, vcc_lo :: v_dual_bitop2_b32 v29, s18, v29 bitop3:0x14
	s_delay_alu instid0(VALU_DEP_1) | instskip(NEXT) | instid1(VALU_DEP_1)
	v_xor_b32_e32 v0, v0, v29
	v_dual_mov_b32 v0, v9 :: v_dual_sub_nc_u32 v27, v0, v29
	s_delay_alu instid0(VALU_DEP_1) | instskip(SKIP_3) | instid1(SALU_CYCLE_1)
	v_cmp_ne_u32_e64 s0, v27, v3
	v_cmp_eq_u32_e32 vcc_lo, v27, v3
	s_wait_xcnt 0x0
	s_and_saveexec_b32 s22, s0
	s_xor_b32 s0, exec_lo, s22
; %bb.14:                               ;   in Loop: Header=BB38_13 Depth=2
	v_min_i32_e32 v25, v27, v25
                                        ; implicit-def: $vgpr26
                                        ; implicit-def: $vgpr0
; %bb.15:                               ;   in Loop: Header=BB38_13 Depth=2
	s_or_saveexec_b32 s0, s0
	v_mov_b32_e32 v9, v8
	s_xor_b32 exec_lo, exec_lo, s0
	s_cbranch_execz .LBB38_12
; %bb.16:                               ;   in Loop: Header=BB38_13 Depth=2
	v_ashrrev_i32_e32 v9, 31, v8
	s_delay_alu instid0(VALU_DEP_1)
	v_lshl_add_u64 v[28:29], v[8:9], 2, s[10:11]
	v_sub_nc_u32_e32 v9, v26, v19
	global_load_b32 v27, v[28:29], off
	v_lshl_add_u32 v26, v9, 2, v13
	v_mov_b32_e32 v9, v0
	ds_store_b8 v10, v24 offset:1024
	s_wait_loadcnt 0x0
	ds_store_b32 v26, v27
	s_branch .LBB38_12
.LBB38_17:                              ;   in Loop: Header=BB38_10 Depth=1
	s_or_b32 exec_lo, exec_lo, s21
.LBB38_18:                              ;   in Loop: Header=BB38_10 Depth=1
	s_delay_alu instid0(SALU_CYCLE_1)
	s_or_b32 exec_lo, exec_lo, s20
	ds_bpermute_b32 v0, v15, v9
	s_wait_dscnt 0x0
	v_min_i32_e32 v0, v0, v9
	ds_load_u8 v9, v10 offset:1024
	ds_bpermute_b32 v8, v16, v0
	s_wait_dscnt 0x0
	v_min_i32_e32 v0, v8, v0
	ds_bpermute_b32 v8, v17, v0
	s_wait_dscnt 0x0
	v_min_i32_e32 v0, v8, v0
	ds_bpermute_b32 v19, v18, v0
	v_and_b32_e32 v0, 1, v9
	s_delay_alu instid0(VALU_DEP_1)
	v_cmp_eq_u32_e32 vcc_lo, 1, v0
	v_mov_b32_e32 v0, 0
	s_and_saveexec_b32 s0, vcc_lo
	s_cbranch_execz .LBB38_9
; %bb.19:                               ;   in Loop: Header=BB38_10 Depth=1
	v_add_nc_u32_e32 v0, s16, v3
	global_store_b32 v2, v0, s[2:3] scale_offset
	s_wait_xcnt 0x0
	s_and_saveexec_b32 s20, s1
	s_cbranch_execz .LBB38_8
; %bb.20:                               ;   in Loop: Header=BB38_10 Depth=1
	v_ashrrev_i32_e32 v3, 31, v2
	ds_load_b32 v0, v14
	s_and_b32 vcc_lo, exec_lo, s4
	v_mul_u64_e32 v[8:9], s[14:15], v[2:3]
	s_cbranch_vccz .LBB38_22
; %bb.21:                               ;   in Loop: Header=BB38_10 Depth=1
	s_delay_alu instid0(VALU_DEP_1)
	v_lshl_add_u64 v[26:27], v[8:9], 2, v[4:5]
	s_wait_dscnt 0x0
	global_store_b32 v[26:27], v0, off
	s_cbranch_execnz .LBB38_8
	s_branch .LBB38_23
.LBB38_22:                              ;   in Loop: Header=BB38_10 Depth=1
.LBB38_23:                              ;   in Loop: Header=BB38_10 Depth=1
	s_delay_alu instid0(VALU_DEP_1)
	v_lshl_add_u64 v[8:9], v[8:9], 2, v[6:7]
	s_wait_dscnt 0x0
	global_store_b32 v[8:9], v0, off
	s_branch .LBB38_8
.LBB38_24:
	s_endpgm
	.section	.rodata,"a",@progbits
	.p2align	6, 0x0
	.amdhsa_kernel _ZN9rocsparseL42csr2bsr_wavefront_per_row_multipass_kernelILj256ELj64ELj8EfiiEEv20rocsparse_direction_T4_S2_S2_S2_S2_21rocsparse_index_base_PKT2_PKT3_PKS2_S3_PS4_PS7_PS2_
		.amdhsa_group_segment_fixed_size 1028
		.amdhsa_private_segment_fixed_size 0
		.amdhsa_kernarg_size 88
		.amdhsa_user_sgpr_count 2
		.amdhsa_user_sgpr_dispatch_ptr 0
		.amdhsa_user_sgpr_queue_ptr 0
		.amdhsa_user_sgpr_kernarg_segment_ptr 1
		.amdhsa_user_sgpr_dispatch_id 0
		.amdhsa_user_sgpr_kernarg_preload_length 0
		.amdhsa_user_sgpr_kernarg_preload_offset 0
		.amdhsa_user_sgpr_private_segment_size 0
		.amdhsa_wavefront_size32 1
		.amdhsa_uses_dynamic_stack 0
		.amdhsa_enable_private_segment 0
		.amdhsa_system_sgpr_workgroup_id_x 1
		.amdhsa_system_sgpr_workgroup_id_y 0
		.amdhsa_system_sgpr_workgroup_id_z 0
		.amdhsa_system_sgpr_workgroup_info 0
		.amdhsa_system_vgpr_workitem_id 0
		.amdhsa_next_free_vgpr 30
		.amdhsa_next_free_sgpr 23
		.amdhsa_named_barrier_count 0
		.amdhsa_reserve_vcc 1
		.amdhsa_float_round_mode_32 0
		.amdhsa_float_round_mode_16_64 0
		.amdhsa_float_denorm_mode_32 3
		.amdhsa_float_denorm_mode_16_64 3
		.amdhsa_fp16_overflow 0
		.amdhsa_memory_ordered 1
		.amdhsa_forward_progress 1
		.amdhsa_inst_pref_size 12
		.amdhsa_round_robin_scheduling 0
		.amdhsa_exception_fp_ieee_invalid_op 0
		.amdhsa_exception_fp_denorm_src 0
		.amdhsa_exception_fp_ieee_div_zero 0
		.amdhsa_exception_fp_ieee_overflow 0
		.amdhsa_exception_fp_ieee_underflow 0
		.amdhsa_exception_fp_ieee_inexact 0
		.amdhsa_exception_int_div_zero 0
	.end_amdhsa_kernel
	.section	.text._ZN9rocsparseL42csr2bsr_wavefront_per_row_multipass_kernelILj256ELj64ELj8EfiiEEv20rocsparse_direction_T4_S2_S2_S2_S2_21rocsparse_index_base_PKT2_PKT3_PKS2_S3_PS4_PS7_PS2_,"axG",@progbits,_ZN9rocsparseL42csr2bsr_wavefront_per_row_multipass_kernelILj256ELj64ELj8EfiiEEv20rocsparse_direction_T4_S2_S2_S2_S2_21rocsparse_index_base_PKT2_PKT3_PKS2_S3_PS4_PS7_PS2_,comdat
.Lfunc_end38:
	.size	_ZN9rocsparseL42csr2bsr_wavefront_per_row_multipass_kernelILj256ELj64ELj8EfiiEEv20rocsparse_direction_T4_S2_S2_S2_S2_21rocsparse_index_base_PKT2_PKT3_PKS2_S3_PS4_PS7_PS2_, .Lfunc_end38-_ZN9rocsparseL42csr2bsr_wavefront_per_row_multipass_kernelILj256ELj64ELj8EfiiEEv20rocsparse_direction_T4_S2_S2_S2_S2_21rocsparse_index_base_PKT2_PKT3_PKS2_S3_PS4_PS7_PS2_
                                        ; -- End function
	.set _ZN9rocsparseL42csr2bsr_wavefront_per_row_multipass_kernelILj256ELj64ELj8EfiiEEv20rocsparse_direction_T4_S2_S2_S2_S2_21rocsparse_index_base_PKT2_PKT3_PKS2_S3_PS4_PS7_PS2_.num_vgpr, 30
	.set _ZN9rocsparseL42csr2bsr_wavefront_per_row_multipass_kernelILj256ELj64ELj8EfiiEEv20rocsparse_direction_T4_S2_S2_S2_S2_21rocsparse_index_base_PKT2_PKT3_PKS2_S3_PS4_PS7_PS2_.num_agpr, 0
	.set _ZN9rocsparseL42csr2bsr_wavefront_per_row_multipass_kernelILj256ELj64ELj8EfiiEEv20rocsparse_direction_T4_S2_S2_S2_S2_21rocsparse_index_base_PKT2_PKT3_PKS2_S3_PS4_PS7_PS2_.numbered_sgpr, 23
	.set _ZN9rocsparseL42csr2bsr_wavefront_per_row_multipass_kernelILj256ELj64ELj8EfiiEEv20rocsparse_direction_T4_S2_S2_S2_S2_21rocsparse_index_base_PKT2_PKT3_PKS2_S3_PS4_PS7_PS2_.num_named_barrier, 0
	.set _ZN9rocsparseL42csr2bsr_wavefront_per_row_multipass_kernelILj256ELj64ELj8EfiiEEv20rocsparse_direction_T4_S2_S2_S2_S2_21rocsparse_index_base_PKT2_PKT3_PKS2_S3_PS4_PS7_PS2_.private_seg_size, 0
	.set _ZN9rocsparseL42csr2bsr_wavefront_per_row_multipass_kernelILj256ELj64ELj8EfiiEEv20rocsparse_direction_T4_S2_S2_S2_S2_21rocsparse_index_base_PKT2_PKT3_PKS2_S3_PS4_PS7_PS2_.uses_vcc, 1
	.set _ZN9rocsparseL42csr2bsr_wavefront_per_row_multipass_kernelILj256ELj64ELj8EfiiEEv20rocsparse_direction_T4_S2_S2_S2_S2_21rocsparse_index_base_PKT2_PKT3_PKS2_S3_PS4_PS7_PS2_.uses_flat_scratch, 0
	.set _ZN9rocsparseL42csr2bsr_wavefront_per_row_multipass_kernelILj256ELj64ELj8EfiiEEv20rocsparse_direction_T4_S2_S2_S2_S2_21rocsparse_index_base_PKT2_PKT3_PKS2_S3_PS4_PS7_PS2_.has_dyn_sized_stack, 0
	.set _ZN9rocsparseL42csr2bsr_wavefront_per_row_multipass_kernelILj256ELj64ELj8EfiiEEv20rocsparse_direction_T4_S2_S2_S2_S2_21rocsparse_index_base_PKT2_PKT3_PKS2_S3_PS4_PS7_PS2_.has_recursion, 0
	.set _ZN9rocsparseL42csr2bsr_wavefront_per_row_multipass_kernelILj256ELj64ELj8EfiiEEv20rocsparse_direction_T4_S2_S2_S2_S2_21rocsparse_index_base_PKT2_PKT3_PKS2_S3_PS4_PS7_PS2_.has_indirect_call, 0
	.section	.AMDGPU.csdata,"",@progbits
; Kernel info:
; codeLenInByte = 1444
; TotalNumSgprs: 25
; NumVgprs: 30
; ScratchSize: 0
; MemoryBound: 0
; FloatMode: 240
; IeeeMode: 1
; LDSByteSize: 1028 bytes/workgroup (compile time only)
; SGPRBlocks: 0
; VGPRBlocks: 1
; NumSGPRsForWavesPerEU: 25
; NumVGPRsForWavesPerEU: 30
; NamedBarCnt: 0
; Occupancy: 16
; WaveLimiterHint : 0
; COMPUTE_PGM_RSRC2:SCRATCH_EN: 0
; COMPUTE_PGM_RSRC2:USER_SGPR: 2
; COMPUTE_PGM_RSRC2:TRAP_HANDLER: 0
; COMPUTE_PGM_RSRC2:TGID_X_EN: 1
; COMPUTE_PGM_RSRC2:TGID_Y_EN: 0
; COMPUTE_PGM_RSRC2:TGID_Z_EN: 0
; COMPUTE_PGM_RSRC2:TIDIG_COMP_CNT: 0
	.section	.text._ZN9rocsparseL42csr2bsr_wavefront_per_row_multipass_kernelILj256ELj32ELj8EfiiEEv20rocsparse_direction_T4_S2_S2_S2_S2_21rocsparse_index_base_PKT2_PKT3_PKS2_S3_PS4_PS7_PS2_,"axG",@progbits,_ZN9rocsparseL42csr2bsr_wavefront_per_row_multipass_kernelILj256ELj32ELj8EfiiEEv20rocsparse_direction_T4_S2_S2_S2_S2_21rocsparse_index_base_PKT2_PKT3_PKS2_S3_PS4_PS7_PS2_,comdat
	.globl	_ZN9rocsparseL42csr2bsr_wavefront_per_row_multipass_kernelILj256ELj32ELj8EfiiEEv20rocsparse_direction_T4_S2_S2_S2_S2_21rocsparse_index_base_PKT2_PKT3_PKS2_S3_PS4_PS7_PS2_ ; -- Begin function _ZN9rocsparseL42csr2bsr_wavefront_per_row_multipass_kernelILj256ELj32ELj8EfiiEEv20rocsparse_direction_T4_S2_S2_S2_S2_21rocsparse_index_base_PKT2_PKT3_PKS2_S3_PS4_PS7_PS2_
	.p2align	8
	.type	_ZN9rocsparseL42csr2bsr_wavefront_per_row_multipass_kernelILj256ELj32ELj8EfiiEEv20rocsparse_direction_T4_S2_S2_S2_S2_21rocsparse_index_base_PKT2_PKT3_PKS2_S3_PS4_PS7_PS2_,@function
_ZN9rocsparseL42csr2bsr_wavefront_per_row_multipass_kernelILj256ELj32ELj8EfiiEEv20rocsparse_direction_T4_S2_S2_S2_S2_21rocsparse_index_base_PKT2_PKT3_PKS2_S3_PS4_PS7_PS2_: ; @_ZN9rocsparseL42csr2bsr_wavefront_per_row_multipass_kernelILj256ELj32ELj8EfiiEEv20rocsparse_direction_T4_S2_S2_S2_S2_21rocsparse_index_base_PKT2_PKT3_PKS2_S3_PS4_PS7_PS2_
; %bb.0:
	s_clause 0x1
	s_load_b128 s[4:7], s[0:1], 0xc
	s_load_b64 s[12:13], s[0:1], 0x0
	s_bfe_u32 s2, ttmp6, 0x4000c
	s_and_b32 s3, ttmp6, 15
	s_add_co_i32 s2, s2, 1
	s_getreg_b32 s8, hwreg(HW_REG_IB_STS2, 6, 4)
	s_mul_i32 s2, ttmp9, s2
	v_dual_mov_b32 v2, 0 :: v_dual_lshrrev_b32 v1, 5, v0
	s_add_co_i32 s3, s3, s2
	s_cmp_eq_u32 s8, 0
	v_bfe_u32 v3, v0, 2, 3
	s_cselect_b32 s2, ttmp9, s3
	s_load_b64 s[8:9], s[0:1], 0x28
	v_lshl_or_b32 v4, s2, 3, v1
	v_mov_b32_e32 v27, 0
	s_wait_kmcnt 0x0
	s_delay_alu instid0(VALU_DEP_2) | instskip(SKIP_1) | instid1(VALU_DEP_2)
	v_mad_u32 v5, v4, s6, v3
	v_cmp_gt_i32_e32 vcc_lo, s6, v3
	v_cmp_gt_i32_e64 s2, s13, v5
	s_and_b32 s2, vcc_lo, s2
	s_delay_alu instid0(SALU_CYCLE_1)
	s_and_saveexec_b32 s3, s2
	s_cbranch_execz .LBB39_2
; %bb.1:
	global_load_b32 v6, v5, s[8:9] scale_offset
	s_wait_loadcnt 0x0
	v_subrev_nc_u32_e32 v27, s7, v6
.LBB39_2:
	s_or_b32 exec_lo, exec_lo, s3
	v_mov_b32_e32 v18, 0
	s_and_saveexec_b32 s3, s2
	s_cbranch_execz .LBB39_4
; %bb.3:
	global_load_b32 v5, v5, s[8:9] offset:4 scale_offset
	s_wait_loadcnt 0x0
	v_subrev_nc_u32_e32 v18, s7, v5
.LBB39_4:
	s_or_b32 exec_lo, exec_lo, s3
	s_load_b32 s16, s[0:1], 0x38
	s_mov_b32 s3, exec_lo
	v_cmpx_gt_i32_e64 s4, v4
	s_cbranch_execz .LBB39_6
; %bb.5:
	s_load_b64 s[8:9], s[0:1], 0x48
	s_wait_kmcnt 0x0
	global_load_b32 v2, v4, s[8:9] scale_offset
	s_wait_loadcnt 0x0
	v_subrev_nc_u32_e32 v2, s16, v2
.LBB39_6:
	s_or_b32 exec_lo, exec_lo, s3
	s_cmp_lt_i32 s5, 1
	s_cbranch_scc1 .LBB39_29
; %bb.7:
	s_clause 0x3
	s_load_b64 s[18:19], s[0:1], 0x40
	s_load_b64 s[2:3], s[0:1], 0x50
	;; [unrolled: 1-line block ×4, first 2 shown]
	v_mbcnt_lo_u32_b32 v10, -1, 0
	v_dual_lshlrev_b32 v6, 5, v3 :: v_dual_bitop2_b32 v0, 3, v0 bitop3:0x40
	v_dual_mov_b32 v5, 0 :: v_dual_lshlrev_b32 v4, 2, v3
	s_delay_alu instid0(VALU_DEP_3) | instskip(SKIP_1) | instid1(VALU_DEP_3)
	v_xor_b32_e32 v8, 2, v10
	s_cmp_lg_u32 s12, 0
	v_lshl_or_b32 v19, v1, 8, v6
	s_cselect_b32 s4, -1, 0
	s_abs_i32 s17, s6
	s_wait_xcnt 0x0
	v_cmp_gt_i32_e64 s0, 32, v8
	v_xor_b32_e32 v9, 1, v10
	s_cvt_f32_u32 s1, s17
	s_mov_b32 s13, 0
	s_mov_b32 s12, s6
	v_lshl_or_b32 v20, v10, 2, 12
	s_wait_kmcnt 0x0
	v_add_nc_u64_e32 v[6:7], s[18:19], v[4:5]
	v_mul_lo_u32 v4, s6, v3
	v_cndmask_b32_e64 v3, v10, v8, s0
	v_cmp_gt_i32_e64 s0, 32, v9
	s_mul_u64 s[14:15], s[12:13], s[12:13]
	v_xor_b32_e32 v11, 16, v10
	v_lshl_or_b32 v21, v0, 2, v19
	v_dual_lshlrev_b32 v22, 2, v3 :: v_dual_cndmask_b32 v8, v10, v9, s0
	v_xor_b32_e32 v12, 8, v10
	s_delay_alu instid0(VALU_DEP_4) | instskip(SKIP_1) | instid1(VALU_DEP_4)
	v_cmp_gt_i32_e64 s0, 32, v11
	v_dual_mov_b32 v13, v5 :: v_dual_bitop2_b32 v3, 4, v10 bitop3:0x14
	v_dual_mov_b32 v29, 1 :: v_dual_lshlrev_b32 v23, 2, v8
	v_lshl_add_u64 v[8:9], v[4:5], 2, s[18:19]
	s_delay_alu instid0(VALU_DEP_4)
	v_cndmask_b32_e64 v4, v10, v11, s0
	v_cmp_gt_i32_e64 s0, 32, v12
	v_rcp_iflag_f32_e32 v11, s1
	s_sub_co_i32 s19, 0, s17
	v_mov_b32_e32 v31, 0
	s_mov_b32 s20, s13
	v_cndmask_b32_e64 v12, v10, v12, s0
	v_cmp_gt_i32_e64 s0, 32, v3
	v_mov_b32_e32 v28, 0x7c
	v_readfirstlane_b32 s1, v11
	s_delay_alu instid0(VALU_DEP_3)
	v_dual_mov_b32 v11, v5 :: v_dual_cndmask_b32 v3, v10, v3, s0
	v_mul_lo_u32 v10, v0, s6
	s_mul_f32 s12, s1, 0x4f7ffffe
	v_lshlrev_b32_e32 v24, 2, v4
	v_cmp_gt_u32_e64 s0, s6, v0
	v_dual_lshlrev_b32 v26, 2, v3 :: v_dual_bitop2_b32 v3, 4, v0 bitop3:0x54
	s_cvt_u32_f32 s12, s12
	v_lshlrev_b32_e32 v25, 2, v12
	s_and_b32 s18, s0, vcc_lo
	s_delay_alu instid0(VALU_DEP_2)
	v_cmp_gt_u32_e64 s1, s6, v3
	s_mul_i32 s19, s19, s12
	v_lshl_add_u32 v12, s6, 2, v10
	s_mul_hi_u32 s0, s12, s19
	s_ashr_i32 s19, s6, 31
	s_and_b32 s1, vcc_lo, s1
	s_add_co_i32 s12, s12, s0
	s_branch .LBB39_10
.LBB39_8:                               ;   in Loop: Header=BB39_10 Depth=1
	s_wait_xcnt 0x0
	s_or_b32 exec_lo, exec_lo, s21
	s_wait_dscnt 0x0
	v_mov_b32_e32 v3, 1
.LBB39_9:                               ;   in Loop: Header=BB39_10 Depth=1
	s_or_b32 exec_lo, exec_lo, s0
	ds_bpermute_b32 v4, v24, v30
	s_wait_storecnt_dscnt 0x0
	v_add_nc_u32_e32 v2, v3, v2
	v_min_i32_e32 v4, v4, v30
	ds_bpermute_b32 v14, v25, v4
	s_wait_dscnt 0x0
	v_min_i32_e32 v4, v14, v4
	ds_bpermute_b32 v14, v26, v4
	s_wait_dscnt 0x0
	;; [unrolled: 3-line block ×5, first 2 shown]
	v_cmp_le_i32_e32 vcc_lo, s5, v31
	s_or_b32 s20, vcc_lo, s20
	s_delay_alu instid0(SALU_CYCLE_1)
	s_and_not1_b32 exec_lo, exec_lo, s20
	s_cbranch_execz .LBB39_29
.LBB39_10:                              ; =>This Loop Header: Depth=1
                                        ;     Child Loop BB39_13 Depth 2
	v_dual_add_nc_u32 v14, v27, v0 :: v_dual_mov_b32 v30, s5
	v_mov_b32_e32 v15, v18
	s_mov_b32 s21, exec_lo
	ds_store_b8 v1, v5 offset:2048
	ds_store_2addr_b32 v21, v5, v5 offset1:4
	s_wait_dscnt 0x0
	v_cmpx_lt_i32_e64 v14, v18
	s_cbranch_execz .LBB39_18
; %bb.11:                               ;   in Loop: Header=BB39_10 Depth=1
	v_mul_lo_u32 v3, v31, s6
	v_dual_mov_b32 v30, s5 :: v_dual_mov_b32 v15, v18
	s_mov_b32 s22, 0
	s_branch .LBB39_13
.LBB39_12:                              ;   in Loop: Header=BB39_13 Depth=2
	s_wait_xcnt 0x0
	s_or_b32 exec_lo, exec_lo, s0
	v_add_nc_u32_e32 v14, 4, v14
	s_xor_b32 s23, vcc_lo, -1
	s_delay_alu instid0(VALU_DEP_1) | instskip(SKIP_1) | instid1(SALU_CYCLE_1)
	v_cmp_ge_i32_e64 s0, v14, v18
	s_or_b32 s0, s23, s0
	s_and_b32 s0, exec_lo, s0
	s_delay_alu instid0(SALU_CYCLE_1) | instskip(NEXT) | instid1(SALU_CYCLE_1)
	s_or_b32 s22, s0, s22
	s_and_not1_b32 exec_lo, exec_lo, s22
	s_cbranch_execz .LBB39_17
.LBB39_13:                              ;   Parent Loop BB39_10 Depth=1
                                        ; =>  This Inner Loop Header: Depth=2
	global_load_b32 v4, v14, s[8:9] scale_offset
	s_wait_loadcnt 0x0
	v_subrev_nc_u32_e32 v16, s7, v4
	s_delay_alu instid0(VALU_DEP_1) | instskip(NEXT) | instid1(VALU_DEP_1)
	v_sub_nc_u32_e32 v4, 0, v16
	v_max_i32_e32 v4, v16, v4
	s_delay_alu instid0(VALU_DEP_1) | instskip(SKIP_1) | instid1(VALU_DEP_2)
	v_mul_u64_e32 v[32:33], s[12:13], v[4:5]
	v_ashrrev_i32_e32 v32, 31, v16
	v_mul_lo_u32 v17, v33, s17
	s_delay_alu instid0(VALU_DEP_1) | instskip(SKIP_1) | instid1(VALU_DEP_2)
	v_sub_nc_u32_e32 v4, v4, v17
	v_add_nc_u32_e32 v17, 1, v33
	v_subrev_nc_u32_e32 v27, s17, v4
	v_cmp_le_u32_e32 vcc_lo, s17, v4
	s_delay_alu instid0(VALU_DEP_2) | instskip(NEXT) | instid1(VALU_DEP_1)
	v_dual_cndmask_b32 v17, v33, v17 :: v_dual_cndmask_b32 v4, v4, v27
	v_add_nc_u32_e32 v27, 1, v17
	s_delay_alu instid0(VALU_DEP_2) | instskip(NEXT) | instid1(VALU_DEP_2)
	v_cmp_le_u32_e32 vcc_lo, s17, v4
	v_dual_cndmask_b32 v4, v17, v27, vcc_lo :: v_dual_bitop2_b32 v32, s19, v32 bitop3:0x14
	s_delay_alu instid0(VALU_DEP_1) | instskip(NEXT) | instid1(VALU_DEP_1)
	v_xor_b32_e32 v4, v4, v32
	v_dual_mov_b32 v4, v15 :: v_dual_sub_nc_u32 v17, v4, v32
	s_delay_alu instid0(VALU_DEP_1) | instskip(SKIP_3) | instid1(SALU_CYCLE_1)
	v_cmp_ne_u32_e64 s0, v17, v31
	v_cmp_eq_u32_e32 vcc_lo, v17, v31
	s_wait_xcnt 0x0
	s_and_saveexec_b32 s23, s0
	s_xor_b32 s0, exec_lo, s23
; %bb.14:                               ;   in Loop: Header=BB39_13 Depth=2
	v_min_i32_e32 v30, v17, v30
                                        ; implicit-def: $vgpr16
                                        ; implicit-def: $vgpr4
; %bb.15:                               ;   in Loop: Header=BB39_13 Depth=2
	s_or_saveexec_b32 s0, s0
	v_mov_b32_e32 v15, v14
	s_xor_b32 exec_lo, exec_lo, s0
	s_cbranch_execz .LBB39_12
; %bb.16:                               ;   in Loop: Header=BB39_13 Depth=2
	v_ashrrev_i32_e32 v15, 31, v14
	s_delay_alu instid0(VALU_DEP_1)
	v_lshl_add_u64 v[32:33], v[14:15], 2, s[10:11]
	v_sub_nc_u32_e32 v15, v16, v3
	global_load_b32 v17, v[32:33], off
	v_lshl_add_u32 v16, v15, 2, v19
	v_mov_b32_e32 v15, v4
	ds_store_b8 v1, v29 offset:2048
	s_wait_loadcnt 0x0
	ds_store_b32 v16, v17
	s_branch .LBB39_12
.LBB39_17:                              ;   in Loop: Header=BB39_10 Depth=1
	s_or_b32 exec_lo, exec_lo, s22
.LBB39_18:                              ;   in Loop: Header=BB39_10 Depth=1
	s_delay_alu instid0(SALU_CYCLE_1)
	s_or_b32 exec_lo, exec_lo, s21
	ds_bpermute_b32 v3, v22, v15
	s_wait_dscnt 0x0
	ds_load_u8 v14, v1 offset:2048
	v_min_i32_e32 v3, v3, v15
	ds_bpermute_b32 v4, v23, v3
	s_wait_dscnt 0x0
	v_min_i32_e32 v3, v4, v3
	ds_bpermute_b32 v27, v20, v3
	v_and_b32_e32 v3, 1, v14
	s_delay_alu instid0(VALU_DEP_1)
	v_cmp_eq_u32_e32 vcc_lo, 1, v3
	v_mov_b32_e32 v3, 0
	s_and_saveexec_b32 s0, vcc_lo
	s_cbranch_execz .LBB39_9
; %bb.19:                               ;   in Loop: Header=BB39_10 Depth=1
	v_ashrrev_i32_e32 v3, 31, v2
	s_delay_alu instid0(VALU_DEP_1) | instskip(SKIP_3) | instid1(VALU_DEP_1)
	v_mul_u64_e32 v[14:15], s[14:15], v[2:3]
	v_add_nc_u32_e32 v3, s16, v31
	global_store_b32 v2, v3, s[2:3] scale_offset
	v_lshlrev_b64_e32 v[14:15], 2, v[14:15]
	v_add_nc_u64_e32 v[16:17], v[6:7], v[14:15]
	v_add_nc_u64_e32 v[14:15], v[8:9], v[14:15]
	s_wait_xcnt 0x0
	s_and_saveexec_b32 s21, s18
	s_cbranch_execz .LBB39_23
; %bb.20:                               ;   in Loop: Header=BB39_10 Depth=1
	ds_load_b32 v3, v21
	s_and_b32 vcc_lo, exec_lo, s4
	s_cbranch_vccz .LBB39_26
; %bb.21:                               ;   in Loop: Header=BB39_10 Depth=1
	v_lshl_add_u64 v[32:33], v[10:11], 2, v[16:17]
	s_wait_dscnt 0x0
	global_store_b32 v[32:33], v3, off
	s_cbranch_execnz .LBB39_23
.LBB39_22:                              ;   in Loop: Header=BB39_10 Depth=1
	v_lshlrev_b32_e32 v4, 2, v0
	s_wait_xcnt 0x0
	s_delay_alu instid0(VALU_DEP_1)
	v_add_nc_u64_e32 v[32:33], v[14:15], v[4:5]
	s_wait_dscnt 0x0
	global_store_b32 v[32:33], v3, off
.LBB39_23:                              ;   in Loop: Header=BB39_10 Depth=1
	s_wait_xcnt 0x0
	s_or_b32 exec_lo, exec_lo, s21
	s_and_saveexec_b32 s21, s1
	s_cbranch_execz .LBB39_8
; %bb.24:                               ;   in Loop: Header=BB39_10 Depth=1
	s_and_not1_b32 vcc_lo, exec_lo, s4
	s_cbranch_vccnz .LBB39_27
; %bb.25:                               ;   in Loop: Header=BB39_10 Depth=1
	s_wait_dscnt 0x0
	ds_load_b32 v3, v21 offset:16
	v_lshl_add_u64 v[16:17], v[12:13], 2, v[16:17]
	s_wait_dscnt 0x0
	global_store_b32 v[16:17], v3, off
	s_cbranch_execnz .LBB39_8
	s_branch .LBB39_28
.LBB39_26:                              ;   in Loop: Header=BB39_10 Depth=1
	s_branch .LBB39_22
.LBB39_27:                              ;   in Loop: Header=BB39_10 Depth=1
.LBB39_28:                              ;   in Loop: Header=BB39_10 Depth=1
	s_wait_dscnt 0x0
	s_wait_xcnt 0x0
	ds_load_b32 v3, v21 offset:16
	v_lshlrev_b32_e32 v4, 2, v0
	s_delay_alu instid0(VALU_DEP_1)
	v_add_nc_u64_e32 v[14:15], v[14:15], v[4:5]
	s_wait_dscnt 0x0
	global_store_b32 v[14:15], v3, off offset:16
	s_branch .LBB39_8
.LBB39_29:
	s_endpgm
	.section	.rodata,"a",@progbits
	.p2align	6, 0x0
	.amdhsa_kernel _ZN9rocsparseL42csr2bsr_wavefront_per_row_multipass_kernelILj256ELj32ELj8EfiiEEv20rocsparse_direction_T4_S2_S2_S2_S2_21rocsparse_index_base_PKT2_PKT3_PKS2_S3_PS4_PS7_PS2_
		.amdhsa_group_segment_fixed_size 2056
		.amdhsa_private_segment_fixed_size 0
		.amdhsa_kernarg_size 88
		.amdhsa_user_sgpr_count 2
		.amdhsa_user_sgpr_dispatch_ptr 0
		.amdhsa_user_sgpr_queue_ptr 0
		.amdhsa_user_sgpr_kernarg_segment_ptr 1
		.amdhsa_user_sgpr_dispatch_id 0
		.amdhsa_user_sgpr_kernarg_preload_length 0
		.amdhsa_user_sgpr_kernarg_preload_offset 0
		.amdhsa_user_sgpr_private_segment_size 0
		.amdhsa_wavefront_size32 1
		.amdhsa_uses_dynamic_stack 0
		.amdhsa_enable_private_segment 0
		.amdhsa_system_sgpr_workgroup_id_x 1
		.amdhsa_system_sgpr_workgroup_id_y 0
		.amdhsa_system_sgpr_workgroup_id_z 0
		.amdhsa_system_sgpr_workgroup_info 0
		.amdhsa_system_vgpr_workitem_id 0
		.amdhsa_next_free_vgpr 34
		.amdhsa_next_free_sgpr 24
		.amdhsa_named_barrier_count 0
		.amdhsa_reserve_vcc 1
		.amdhsa_float_round_mode_32 0
		.amdhsa_float_round_mode_16_64 0
		.amdhsa_float_denorm_mode_32 3
		.amdhsa_float_denorm_mode_16_64 3
		.amdhsa_fp16_overflow 0
		.amdhsa_memory_ordered 1
		.amdhsa_forward_progress 1
		.amdhsa_inst_pref_size 12
		.amdhsa_round_robin_scheduling 0
		.amdhsa_exception_fp_ieee_invalid_op 0
		.amdhsa_exception_fp_denorm_src 0
		.amdhsa_exception_fp_ieee_div_zero 0
		.amdhsa_exception_fp_ieee_overflow 0
		.amdhsa_exception_fp_ieee_underflow 0
		.amdhsa_exception_fp_ieee_inexact 0
		.amdhsa_exception_int_div_zero 0
	.end_amdhsa_kernel
	.section	.text._ZN9rocsparseL42csr2bsr_wavefront_per_row_multipass_kernelILj256ELj32ELj8EfiiEEv20rocsparse_direction_T4_S2_S2_S2_S2_21rocsparse_index_base_PKT2_PKT3_PKS2_S3_PS4_PS7_PS2_,"axG",@progbits,_ZN9rocsparseL42csr2bsr_wavefront_per_row_multipass_kernelILj256ELj32ELj8EfiiEEv20rocsparse_direction_T4_S2_S2_S2_S2_21rocsparse_index_base_PKT2_PKT3_PKS2_S3_PS4_PS7_PS2_,comdat
.Lfunc_end39:
	.size	_ZN9rocsparseL42csr2bsr_wavefront_per_row_multipass_kernelILj256ELj32ELj8EfiiEEv20rocsparse_direction_T4_S2_S2_S2_S2_21rocsparse_index_base_PKT2_PKT3_PKS2_S3_PS4_PS7_PS2_, .Lfunc_end39-_ZN9rocsparseL42csr2bsr_wavefront_per_row_multipass_kernelILj256ELj32ELj8EfiiEEv20rocsparse_direction_T4_S2_S2_S2_S2_21rocsparse_index_base_PKT2_PKT3_PKS2_S3_PS4_PS7_PS2_
                                        ; -- End function
	.set _ZN9rocsparseL42csr2bsr_wavefront_per_row_multipass_kernelILj256ELj32ELj8EfiiEEv20rocsparse_direction_T4_S2_S2_S2_S2_21rocsparse_index_base_PKT2_PKT3_PKS2_S3_PS4_PS7_PS2_.num_vgpr, 34
	.set _ZN9rocsparseL42csr2bsr_wavefront_per_row_multipass_kernelILj256ELj32ELj8EfiiEEv20rocsparse_direction_T4_S2_S2_S2_S2_21rocsparse_index_base_PKT2_PKT3_PKS2_S3_PS4_PS7_PS2_.num_agpr, 0
	.set _ZN9rocsparseL42csr2bsr_wavefront_per_row_multipass_kernelILj256ELj32ELj8EfiiEEv20rocsparse_direction_T4_S2_S2_S2_S2_21rocsparse_index_base_PKT2_PKT3_PKS2_S3_PS4_PS7_PS2_.numbered_sgpr, 24
	.set _ZN9rocsparseL42csr2bsr_wavefront_per_row_multipass_kernelILj256ELj32ELj8EfiiEEv20rocsparse_direction_T4_S2_S2_S2_S2_21rocsparse_index_base_PKT2_PKT3_PKS2_S3_PS4_PS7_PS2_.num_named_barrier, 0
	.set _ZN9rocsparseL42csr2bsr_wavefront_per_row_multipass_kernelILj256ELj32ELj8EfiiEEv20rocsparse_direction_T4_S2_S2_S2_S2_21rocsparse_index_base_PKT2_PKT3_PKS2_S3_PS4_PS7_PS2_.private_seg_size, 0
	.set _ZN9rocsparseL42csr2bsr_wavefront_per_row_multipass_kernelILj256ELj32ELj8EfiiEEv20rocsparse_direction_T4_S2_S2_S2_S2_21rocsparse_index_base_PKT2_PKT3_PKS2_S3_PS4_PS7_PS2_.uses_vcc, 1
	.set _ZN9rocsparseL42csr2bsr_wavefront_per_row_multipass_kernelILj256ELj32ELj8EfiiEEv20rocsparse_direction_T4_S2_S2_S2_S2_21rocsparse_index_base_PKT2_PKT3_PKS2_S3_PS4_PS7_PS2_.uses_flat_scratch, 0
	.set _ZN9rocsparseL42csr2bsr_wavefront_per_row_multipass_kernelILj256ELj32ELj8EfiiEEv20rocsparse_direction_T4_S2_S2_S2_S2_21rocsparse_index_base_PKT2_PKT3_PKS2_S3_PS4_PS7_PS2_.has_dyn_sized_stack, 0
	.set _ZN9rocsparseL42csr2bsr_wavefront_per_row_multipass_kernelILj256ELj32ELj8EfiiEEv20rocsparse_direction_T4_S2_S2_S2_S2_21rocsparse_index_base_PKT2_PKT3_PKS2_S3_PS4_PS7_PS2_.has_recursion, 0
	.set _ZN9rocsparseL42csr2bsr_wavefront_per_row_multipass_kernelILj256ELj32ELj8EfiiEEv20rocsparse_direction_T4_S2_S2_S2_S2_21rocsparse_index_base_PKT2_PKT3_PKS2_S3_PS4_PS7_PS2_.has_indirect_call, 0
	.section	.AMDGPU.csdata,"",@progbits
; Kernel info:
; codeLenInByte = 1516
; TotalNumSgprs: 26
; NumVgprs: 34
; ScratchSize: 0
; MemoryBound: 0
; FloatMode: 240
; IeeeMode: 1
; LDSByteSize: 2056 bytes/workgroup (compile time only)
; SGPRBlocks: 0
; VGPRBlocks: 2
; NumSGPRsForWavesPerEU: 26
; NumVGPRsForWavesPerEU: 34
; NamedBarCnt: 0
; Occupancy: 16
; WaveLimiterHint : 0
; COMPUTE_PGM_RSRC2:SCRATCH_EN: 0
; COMPUTE_PGM_RSRC2:USER_SGPR: 2
; COMPUTE_PGM_RSRC2:TRAP_HANDLER: 0
; COMPUTE_PGM_RSRC2:TGID_X_EN: 1
; COMPUTE_PGM_RSRC2:TGID_Y_EN: 0
; COMPUTE_PGM_RSRC2:TGID_Z_EN: 0
; COMPUTE_PGM_RSRC2:TIDIG_COMP_CNT: 0
	.section	.text._ZN9rocsparseL42csr2bsr_wavefront_per_row_multipass_kernelILj256ELj64ELj16EfiiEEv20rocsparse_direction_T4_S2_S2_S2_S2_21rocsparse_index_base_PKT2_PKT3_PKS2_S3_PS4_PS7_PS2_,"axG",@progbits,_ZN9rocsparseL42csr2bsr_wavefront_per_row_multipass_kernelILj256ELj64ELj16EfiiEEv20rocsparse_direction_T4_S2_S2_S2_S2_21rocsparse_index_base_PKT2_PKT3_PKS2_S3_PS4_PS7_PS2_,comdat
	.globl	_ZN9rocsparseL42csr2bsr_wavefront_per_row_multipass_kernelILj256ELj64ELj16EfiiEEv20rocsparse_direction_T4_S2_S2_S2_S2_21rocsparse_index_base_PKT2_PKT3_PKS2_S3_PS4_PS7_PS2_ ; -- Begin function _ZN9rocsparseL42csr2bsr_wavefront_per_row_multipass_kernelILj256ELj64ELj16EfiiEEv20rocsparse_direction_T4_S2_S2_S2_S2_21rocsparse_index_base_PKT2_PKT3_PKS2_S3_PS4_PS7_PS2_
	.p2align	8
	.type	_ZN9rocsparseL42csr2bsr_wavefront_per_row_multipass_kernelILj256ELj64ELj16EfiiEEv20rocsparse_direction_T4_S2_S2_S2_S2_21rocsparse_index_base_PKT2_PKT3_PKS2_S3_PS4_PS7_PS2_,@function
_ZN9rocsparseL42csr2bsr_wavefront_per_row_multipass_kernelILj256ELj64ELj16EfiiEEv20rocsparse_direction_T4_S2_S2_S2_S2_21rocsparse_index_base_PKT2_PKT3_PKS2_S3_PS4_PS7_PS2_: ; @_ZN9rocsparseL42csr2bsr_wavefront_per_row_multipass_kernelILj256ELj64ELj16EfiiEEv20rocsparse_direction_T4_S2_S2_S2_S2_21rocsparse_index_base_PKT2_PKT3_PKS2_S3_PS4_PS7_PS2_
; %bb.0:
	s_clause 0x1
	s_load_b128 s[4:7], s[0:1], 0xc
	s_load_b64 s[14:15], s[0:1], 0x0
	s_bfe_u32 s2, ttmp6, 0x4000c
	s_and_b32 s3, ttmp6, 15
	s_add_co_i32 s2, s2, 1
	s_getreg_b32 s8, hwreg(HW_REG_IB_STS2, 6, 4)
	s_mul_i32 s2, ttmp9, s2
	v_dual_mov_b32 v2, 0 :: v_dual_lshrrev_b32 v1, 6, v0
	s_add_co_i32 s3, s3, s2
	s_cmp_eq_u32 s8, 0
	v_bfe_u32 v3, v0, 2, 4
	s_cselect_b32 s2, ttmp9, s3
	s_load_b64 s[8:9], s[0:1], 0x28
	v_lshl_or_b32 v4, s2, 2, v1
	v_mov_b32_e32 v32, 0
	s_wait_kmcnt 0x0
	s_delay_alu instid0(VALU_DEP_2) | instskip(SKIP_1) | instid1(VALU_DEP_2)
	v_mad_u32 v5, v4, s6, v3
	v_cmp_gt_i32_e32 vcc_lo, s6, v3
	v_cmp_gt_i32_e64 s2, s15, v5
	s_and_b32 s2, vcc_lo, s2
	s_delay_alu instid0(SALU_CYCLE_1)
	s_and_saveexec_b32 s3, s2
	s_cbranch_execz .LBB40_2
; %bb.1:
	global_load_b32 v6, v5, s[8:9] scale_offset
	s_wait_loadcnt 0x0
	v_subrev_nc_u32_e32 v32, s7, v6
.LBB40_2:
	s_or_b32 exec_lo, exec_lo, s3
	v_mov_b32_e32 v22, 0
	s_and_saveexec_b32 s3, s2
	s_cbranch_execz .LBB40_4
; %bb.3:
	global_load_b32 v5, v5, s[8:9] offset:4 scale_offset
	s_wait_loadcnt 0x0
	v_subrev_nc_u32_e32 v22, s7, v5
.LBB40_4:
	s_or_b32 exec_lo, exec_lo, s3
	s_load_b32 s18, s[0:1], 0x38
	s_mov_b32 s3, exec_lo
	v_cmpx_gt_i32_e64 s4, v4
	s_cbranch_execz .LBB40_6
; %bb.5:
	s_load_b64 s[8:9], s[0:1], 0x48
	s_wait_kmcnt 0x0
	global_load_b32 v2, v4, s[8:9] scale_offset
	s_wait_loadcnt 0x0
	v_subrev_nc_u32_e32 v2, s18, v2
.LBB40_6:
	s_or_b32 exec_lo, exec_lo, s3
	s_cmp_lt_i32 s5, 1
	s_cbranch_scc1 .LBB40_39
; %bb.7:
	s_clause 0x3
	s_load_b64 s[2:3], s[0:1], 0x40
	s_load_b64 s[8:9], s[0:1], 0x50
	;; [unrolled: 1-line block ×4, first 2 shown]
	v_mbcnt_lo_u32_b32 v10, -1, 0
	v_dual_lshlrev_b32 v6, 6, v3 :: v_dual_bitop2_b32 v0, 3, v0 bitop3:0x40
	v_dual_mov_b32 v5, 0 :: v_dual_lshlrev_b32 v4, 2, v3
	s_delay_alu instid0(VALU_DEP_3) | instskip(SKIP_1) | instid1(VALU_DEP_4)
	v_xor_b32_e32 v9, 1, v10
	v_xor_b32_e32 v8, 2, v10
	v_lshl_or_b32 v23, v1, 10, v6
	s_cmp_lg_u32 s14, 0
	v_lshl_or_b32 v24, v10, 2, 12
	s_cselect_b32 s4, -1, 0
	s_wait_xcnt 0x0
	v_cmp_gt_i32_e64 s0, 32, v8
	s_abs_i32 s19, s6
	s_mov_b32 s15, 0
	s_cvt_f32_u32 s1, s19
	s_mov_b32 s14, s6
	s_wait_kmcnt 0x0
	v_add_nc_u64_e32 v[6:7], s[2:3], v[4:5]
	v_mul_lo_u32 v4, s6, v3
	v_dual_cndmask_b32 v8, v10, v8, s0 :: v_dual_bitop2_b32 v3, 32, v10 bitop3:0x54
	v_cmp_gt_i32_e64 s0, 32, v9
	s_mul_u64 s[16:17], s[14:15], s[14:15]
	s_lshl_b32 s14, s6, 2
	v_lshlrev_b32_e32 v26, 2, v8
	v_dual_mov_b32 v17, v5 :: v_dual_bitop2_b32 v16, 12, v0 bitop3:0x54
	v_dual_cndmask_b32 v9, v10, v9, s0 :: v_dual_bitop2_b32 v11, 16, v10 bitop3:0x14
	v_cmp_gt_i32_e64 s0, 32, v3
	v_xor_b32_e32 v12, 8, v10
	v_lshl_or_b32 v25, v0, 2, v23
	s_delay_alu instid0(VALU_DEP_4)
	v_lshlrev_b32_e32 v27, 2, v9
	v_lshl_add_u64 v[8:9], v[4:5], 2, s[2:3]
	v_cndmask_b32_e64 v3, v10, v3, s0
	v_cmp_gt_i32_e64 s0, 32, v11
	v_dual_mov_b32 v13, v5 :: v_dual_bitop2_b32 v4, 4, v10 bitop3:0x14
	v_cmp_gt_u32_e64 s3, s6, v16
	s_delay_alu instid0(VALU_DEP_4) | instskip(NEXT) | instid1(VALU_DEP_4)
	v_lshlrev_b32_e32 v28, 2, v3
	v_cndmask_b32_e64 v11, v10, v11, s0
	v_cmp_gt_i32_e64 s0, 32, v12
	v_or_b32_e32 v3, 4, v0
	v_bfrev_b32_e32 v33, 0.5
	s_and_b32 s3, vcc_lo, s3
	v_dual_lshlrev_b32 v29, 2, v11 :: v_dual_cndmask_b32 v12, v10, v12, s0
	v_cmp_gt_i32_e64 s0, 32, v4
	v_dual_mov_b32 v15, v5 :: v_dual_mov_b32 v11, v5
	s_mov_b32 s22, s15
	v_lshlrev_b32_e32 v30, 2, v12
	v_cndmask_b32_e64 v4, v10, v4, s0
	v_mul_lo_u32 v10, v0, s6
	v_cmp_gt_u32_e64 s0, s6, v0
	v_dual_mov_b32 v34, 1 :: v_dual_mov_b32 v36, 0
	s_delay_alu instid0(VALU_DEP_4) | instskip(SKIP_3) | instid1(TRANS32_DEP_1)
	v_lshlrev_b32_e32 v31, 2, v4
	v_rcp_iflag_f32_e32 v4, s1
	v_cmp_gt_u32_e64 s1, s6, v3
	v_dual_add_nc_u32 v12, s14, v10 :: v_dual_bitop2_b32 v3, 8, v0 bitop3:0x54
	v_readfirstlane_b32 s20, v4
	s_delay_alu instid0(VALU_DEP_2)
	v_cmp_gt_u32_e64 s2, s6, v3
	s_and_b32 s1, vcc_lo, s1
	v_add_nc_u32_e32 v14, s14, v12
	s_mul_f32 s21, s20, 0x4f7ffffe
	s_and_b32 s20, s0, vcc_lo
	s_and_b32 s2, vcc_lo, s2
	s_delay_alu instid0(SALU_CYCLE_1) | instskip(SKIP_4) | instid1(SALU_CYCLE_1)
	s_cvt_u32_f32 s0, s21
	v_add_nc_u32_e32 v16, s14, v14
	s_sub_co_i32 s14, 0, s19
	s_ashr_i32 s21, s6, 31
	s_mul_i32 s14, s14, s0
	s_mul_hi_u32 s14, s0, s14
	s_delay_alu instid0(SALU_CYCLE_1)
	s_add_co_i32 s14, s0, s14
	s_branch .LBB40_10
.LBB40_8:                               ;   in Loop: Header=BB40_10 Depth=1
	s_wait_xcnt 0x0
	s_or_b32 exec_lo, exec_lo, s23
	s_wait_dscnt 0x0
	v_mov_b32_e32 v3, 1
.LBB40_9:                               ;   in Loop: Header=BB40_10 Depth=1
	s_or_b32 exec_lo, exec_lo, s0
	ds_bpermute_b32 v4, v28, v35
	s_wait_storecnt_dscnt 0x0
	v_dual_add_nc_u32 v2, v3, v2 :: v_dual_min_i32 v4, v4, v35
	ds_bpermute_b32 v18, v29, v4
	s_wait_dscnt 0x0
	v_min_i32_e32 v4, v18, v4
	ds_bpermute_b32 v18, v30, v4
	s_wait_dscnt 0x0
	v_min_i32_e32 v4, v18, v4
	;; [unrolled: 3-line block ×5, first 2 shown]
	ds_bpermute_b32 v36, v33, v4
	s_wait_dscnt 0x0
	v_cmp_le_i32_e32 vcc_lo, s5, v36
	s_or_b32 s22, vcc_lo, s22
	s_delay_alu instid0(SALU_CYCLE_1)
	s_and_not1_b32 exec_lo, exec_lo, s22
	s_cbranch_execz .LBB40_39
.LBB40_10:                              ; =>This Loop Header: Depth=1
                                        ;     Child Loop BB40_13 Depth 2
	v_dual_mov_b32 v35, s5 :: v_dual_add_nc_u32 v18, v32, v0
	v_mov_b32_e32 v19, v22
	s_mov_b32 s23, exec_lo
	ds_store_b8 v1, v5 offset:4096
	ds_store_2addr_b32 v25, v5, v5 offset1:4
	ds_store_2addr_b32 v25, v5, v5 offset0:8 offset1:12
	s_wait_dscnt 0x0
	v_cmpx_lt_i32_e64 v18, v22
	s_cbranch_execz .LBB40_18
; %bb.11:                               ;   in Loop: Header=BB40_10 Depth=1
	v_mul_lo_u32 v3, v36, s6
	v_dual_mov_b32 v35, s5 :: v_dual_mov_b32 v19, v22
	s_mov_b32 s24, 0
	s_branch .LBB40_13
.LBB40_12:                              ;   in Loop: Header=BB40_13 Depth=2
	s_wait_xcnt 0x0
	s_or_b32 exec_lo, exec_lo, s0
	v_add_nc_u32_e32 v18, 4, v18
	s_xor_b32 s25, vcc_lo, -1
	s_delay_alu instid0(VALU_DEP_1) | instskip(SKIP_1) | instid1(SALU_CYCLE_1)
	v_cmp_ge_i32_e64 s0, v18, v22
	s_or_b32 s0, s25, s0
	s_and_b32 s0, exec_lo, s0
	s_delay_alu instid0(SALU_CYCLE_1) | instskip(NEXT) | instid1(SALU_CYCLE_1)
	s_or_b32 s24, s0, s24
	s_and_not1_b32 exec_lo, exec_lo, s24
	s_cbranch_execz .LBB40_17
.LBB40_13:                              ;   Parent Loop BB40_10 Depth=1
                                        ; =>  This Inner Loop Header: Depth=2
	global_load_b32 v4, v18, s[10:11] scale_offset
	s_wait_loadcnt 0x0
	v_subrev_nc_u32_e32 v20, s7, v4
	s_delay_alu instid0(VALU_DEP_1) | instskip(NEXT) | instid1(VALU_DEP_1)
	v_dual_sub_nc_u32 v4, 0, v20 :: v_dual_ashrrev_i32 v37, 31, v20
	v_max_i32_e32 v4, v20, v4
	s_delay_alu instid0(VALU_DEP_1) | instskip(NEXT) | instid1(VALU_DEP_1)
	v_mul_u64_e32 v[38:39], s[14:15], v[4:5]
	v_mul_lo_u32 v21, v39, s19
	s_delay_alu instid0(VALU_DEP_1) | instskip(NEXT) | instid1(VALU_DEP_1)
	v_dual_sub_nc_u32 v4, v4, v21 :: v_dual_add_nc_u32 v21, 1, v39
	v_subrev_nc_u32_e32 v32, s19, v4
	v_cmp_le_u32_e32 vcc_lo, s19, v4
	s_delay_alu instid0(VALU_DEP_2) | instskip(NEXT) | instid1(VALU_DEP_1)
	v_dual_cndmask_b32 v21, v39, v21 :: v_dual_cndmask_b32 v4, v4, v32
	v_add_nc_u32_e32 v32, 1, v21
	s_delay_alu instid0(VALU_DEP_2) | instskip(NEXT) | instid1(VALU_DEP_2)
	v_cmp_le_u32_e32 vcc_lo, s19, v4
	v_dual_cndmask_b32 v4, v21, v32, vcc_lo :: v_dual_bitop2_b32 v37, s21, v37 bitop3:0x14
	s_delay_alu instid0(VALU_DEP_1) | instskip(NEXT) | instid1(VALU_DEP_1)
	v_xor_b32_e32 v4, v4, v37
	v_dual_mov_b32 v4, v19 :: v_dual_sub_nc_u32 v21, v4, v37
	s_delay_alu instid0(VALU_DEP_1) | instskip(SKIP_3) | instid1(SALU_CYCLE_1)
	v_cmp_ne_u32_e64 s0, v21, v36
	v_cmp_eq_u32_e32 vcc_lo, v21, v36
	s_wait_xcnt 0x0
	s_and_saveexec_b32 s25, s0
	s_xor_b32 s0, exec_lo, s25
; %bb.14:                               ;   in Loop: Header=BB40_13 Depth=2
	v_min_i32_e32 v35, v21, v35
                                        ; implicit-def: $vgpr20
                                        ; implicit-def: $vgpr4
; %bb.15:                               ;   in Loop: Header=BB40_13 Depth=2
	s_or_saveexec_b32 s0, s0
	v_mov_b32_e32 v19, v18
	s_xor_b32 exec_lo, exec_lo, s0
	s_cbranch_execz .LBB40_12
; %bb.16:                               ;   in Loop: Header=BB40_13 Depth=2
	v_ashrrev_i32_e32 v19, 31, v18
	s_delay_alu instid0(VALU_DEP_1)
	v_lshl_add_u64 v[38:39], v[18:19], 2, s[12:13]
	v_sub_nc_u32_e32 v19, v20, v3
	global_load_b32 v21, v[38:39], off
	v_lshl_add_u32 v20, v19, 2, v23
	v_mov_b32_e32 v19, v4
	ds_store_b8 v1, v34 offset:4096
	s_wait_loadcnt 0x0
	ds_store_b32 v20, v21
	s_branch .LBB40_12
.LBB40_17:                              ;   in Loop: Header=BB40_10 Depth=1
	s_or_b32 exec_lo, exec_lo, s24
.LBB40_18:                              ;   in Loop: Header=BB40_10 Depth=1
	s_delay_alu instid0(SALU_CYCLE_1)
	s_or_b32 exec_lo, exec_lo, s23
	ds_bpermute_b32 v3, v26, v19
	s_wait_dscnt 0x0
	ds_load_u8 v18, v1 offset:4096
	v_min_i32_e32 v3, v3, v19
	ds_bpermute_b32 v4, v27, v3
	s_wait_dscnt 0x0
	v_min_i32_e32 v3, v4, v3
	ds_bpermute_b32 v32, v24, v3
	v_and_b32_e32 v3, 1, v18
	s_delay_alu instid0(VALU_DEP_1)
	v_cmp_eq_u32_e32 vcc_lo, 1, v3
	v_mov_b32_e32 v3, 0
	s_and_saveexec_b32 s0, vcc_lo
	s_cbranch_execz .LBB40_9
; %bb.19:                               ;   in Loop: Header=BB40_10 Depth=1
	v_ashrrev_i32_e32 v3, 31, v2
	s_delay_alu instid0(VALU_DEP_1) | instskip(SKIP_3) | instid1(VALU_DEP_1)
	v_mul_u64_e32 v[18:19], s[16:17], v[2:3]
	v_add_nc_u32_e32 v3, s18, v36
	global_store_b32 v2, v3, s[8:9] scale_offset
	v_lshlrev_b64_e32 v[18:19], 2, v[18:19]
	v_add_nc_u64_e32 v[20:21], v[6:7], v[18:19]
	v_add_nc_u64_e32 v[18:19], v[8:9], v[18:19]
	s_wait_xcnt 0x0
	s_and_saveexec_b32 s23, s20
	s_cbranch_execz .LBB40_23
; %bb.20:                               ;   in Loop: Header=BB40_10 Depth=1
	ds_load_b32 v3, v25
	s_and_b32 vcc_lo, exec_lo, s4
	s_cbranch_vccz .LBB40_34
; %bb.21:                               ;   in Loop: Header=BB40_10 Depth=1
	v_lshl_add_u64 v[36:37], v[10:11], 2, v[20:21]
	s_wait_dscnt 0x0
	global_store_b32 v[36:37], v3, off
	s_cbranch_execnz .LBB40_23
.LBB40_22:                              ;   in Loop: Header=BB40_10 Depth=1
	v_lshlrev_b32_e32 v4, 2, v0
	s_wait_xcnt 0x0
	s_delay_alu instid0(VALU_DEP_1)
	v_add_nc_u64_e32 v[36:37], v[18:19], v[4:5]
	s_wait_dscnt 0x0
	global_store_b32 v[36:37], v3, off
.LBB40_23:                              ;   in Loop: Header=BB40_10 Depth=1
	s_wait_xcnt 0x0
	s_or_b32 exec_lo, exec_lo, s23
	s_and_saveexec_b32 s23, s1
	s_cbranch_execz .LBB40_27
; %bb.24:                               ;   in Loop: Header=BB40_10 Depth=1
	s_and_not1_b32 vcc_lo, exec_lo, s4
	s_cbranch_vccnz .LBB40_35
; %bb.25:                               ;   in Loop: Header=BB40_10 Depth=1
	s_wait_dscnt 0x0
	ds_load_b32 v3, v25 offset:16
	v_lshl_add_u64 v[36:37], v[12:13], 2, v[20:21]
	s_wait_dscnt 0x0
	global_store_b32 v[36:37], v3, off
	s_cbranch_execnz .LBB40_27
.LBB40_26:                              ;   in Loop: Header=BB40_10 Depth=1
	s_wait_dscnt 0x0
	s_wait_xcnt 0x0
	ds_load_b32 v3, v25 offset:16
	v_lshlrev_b32_e32 v4, 2, v0
	s_delay_alu instid0(VALU_DEP_1)
	v_add_nc_u64_e32 v[36:37], v[18:19], v[4:5]
	s_wait_dscnt 0x0
	global_store_b32 v[36:37], v3, off offset:16
.LBB40_27:                              ;   in Loop: Header=BB40_10 Depth=1
	s_wait_xcnt 0x0
	s_or_b32 exec_lo, exec_lo, s23
	s_and_saveexec_b32 s23, s2
	s_cbranch_execz .LBB40_31
; %bb.28:                               ;   in Loop: Header=BB40_10 Depth=1
	s_and_not1_b32 vcc_lo, exec_lo, s4
	s_cbranch_vccnz .LBB40_36
; %bb.29:                               ;   in Loop: Header=BB40_10 Depth=1
	s_wait_dscnt 0x0
	ds_load_b32 v3, v25 offset:32
	v_lshl_add_u64 v[36:37], v[14:15], 2, v[20:21]
	s_wait_dscnt 0x0
	global_store_b32 v[36:37], v3, off
	s_cbranch_execnz .LBB40_31
.LBB40_30:                              ;   in Loop: Header=BB40_10 Depth=1
	s_wait_dscnt 0x0
	s_wait_xcnt 0x0
	ds_load_b32 v3, v25 offset:32
	v_lshlrev_b32_e32 v4, 2, v0
	s_delay_alu instid0(VALU_DEP_1)
	v_add_nc_u64_e32 v[36:37], v[18:19], v[4:5]
	s_wait_dscnt 0x0
	global_store_b32 v[36:37], v3, off offset:32
.LBB40_31:                              ;   in Loop: Header=BB40_10 Depth=1
	s_wait_xcnt 0x0
	s_or_b32 exec_lo, exec_lo, s23
	s_and_saveexec_b32 s23, s3
	s_cbranch_execz .LBB40_8
; %bb.32:                               ;   in Loop: Header=BB40_10 Depth=1
	s_and_not1_b32 vcc_lo, exec_lo, s4
	s_cbranch_vccnz .LBB40_37
; %bb.33:                               ;   in Loop: Header=BB40_10 Depth=1
	s_wait_dscnt 0x0
	ds_load_b32 v3, v25 offset:48
	v_lshl_add_u64 v[20:21], v[16:17], 2, v[20:21]
	s_wait_dscnt 0x0
	global_store_b32 v[20:21], v3, off
	s_cbranch_execnz .LBB40_8
	s_branch .LBB40_38
.LBB40_34:                              ;   in Loop: Header=BB40_10 Depth=1
	s_branch .LBB40_22
.LBB40_35:                              ;   in Loop: Header=BB40_10 Depth=1
	s_branch .LBB40_26
.LBB40_36:                              ;   in Loop: Header=BB40_10 Depth=1
	s_branch .LBB40_30
.LBB40_37:                              ;   in Loop: Header=BB40_10 Depth=1
.LBB40_38:                              ;   in Loop: Header=BB40_10 Depth=1
	s_wait_dscnt 0x0
	s_wait_xcnt 0x0
	ds_load_b32 v3, v25 offset:48
	v_lshlrev_b32_e32 v4, 2, v0
	s_delay_alu instid0(VALU_DEP_1)
	v_add_nc_u64_e32 v[18:19], v[18:19], v[4:5]
	s_wait_dscnt 0x0
	global_store_b32 v[18:19], v3, off offset:48
	s_branch .LBB40_8
.LBB40_39:
	s_endpgm
	.section	.rodata,"a",@progbits
	.p2align	6, 0x0
	.amdhsa_kernel _ZN9rocsparseL42csr2bsr_wavefront_per_row_multipass_kernelILj256ELj64ELj16EfiiEEv20rocsparse_direction_T4_S2_S2_S2_S2_21rocsparse_index_base_PKT2_PKT3_PKS2_S3_PS4_PS7_PS2_
		.amdhsa_group_segment_fixed_size 4100
		.amdhsa_private_segment_fixed_size 0
		.amdhsa_kernarg_size 88
		.amdhsa_user_sgpr_count 2
		.amdhsa_user_sgpr_dispatch_ptr 0
		.amdhsa_user_sgpr_queue_ptr 0
		.amdhsa_user_sgpr_kernarg_segment_ptr 1
		.amdhsa_user_sgpr_dispatch_id 0
		.amdhsa_user_sgpr_kernarg_preload_length 0
		.amdhsa_user_sgpr_kernarg_preload_offset 0
		.amdhsa_user_sgpr_private_segment_size 0
		.amdhsa_wavefront_size32 1
		.amdhsa_uses_dynamic_stack 0
		.amdhsa_enable_private_segment 0
		.amdhsa_system_sgpr_workgroup_id_x 1
		.amdhsa_system_sgpr_workgroup_id_y 0
		.amdhsa_system_sgpr_workgroup_id_z 0
		.amdhsa_system_sgpr_workgroup_info 0
		.amdhsa_system_vgpr_workitem_id 0
		.amdhsa_next_free_vgpr 40
		.amdhsa_next_free_sgpr 26
		.amdhsa_named_barrier_count 0
		.amdhsa_reserve_vcc 1
		.amdhsa_float_round_mode_32 0
		.amdhsa_float_round_mode_16_64 0
		.amdhsa_float_denorm_mode_32 3
		.amdhsa_float_denorm_mode_16_64 3
		.amdhsa_fp16_overflow 0
		.amdhsa_memory_ordered 1
		.amdhsa_forward_progress 1
		.amdhsa_inst_pref_size 15
		.amdhsa_round_robin_scheduling 0
		.amdhsa_exception_fp_ieee_invalid_op 0
		.amdhsa_exception_fp_denorm_src 0
		.amdhsa_exception_fp_ieee_div_zero 0
		.amdhsa_exception_fp_ieee_overflow 0
		.amdhsa_exception_fp_ieee_underflow 0
		.amdhsa_exception_fp_ieee_inexact 0
		.amdhsa_exception_int_div_zero 0
	.end_amdhsa_kernel
	.section	.text._ZN9rocsparseL42csr2bsr_wavefront_per_row_multipass_kernelILj256ELj64ELj16EfiiEEv20rocsparse_direction_T4_S2_S2_S2_S2_21rocsparse_index_base_PKT2_PKT3_PKS2_S3_PS4_PS7_PS2_,"axG",@progbits,_ZN9rocsparseL42csr2bsr_wavefront_per_row_multipass_kernelILj256ELj64ELj16EfiiEEv20rocsparse_direction_T4_S2_S2_S2_S2_21rocsparse_index_base_PKT2_PKT3_PKS2_S3_PS4_PS7_PS2_,comdat
.Lfunc_end40:
	.size	_ZN9rocsparseL42csr2bsr_wavefront_per_row_multipass_kernelILj256ELj64ELj16EfiiEEv20rocsparse_direction_T4_S2_S2_S2_S2_21rocsparse_index_base_PKT2_PKT3_PKS2_S3_PS4_PS7_PS2_, .Lfunc_end40-_ZN9rocsparseL42csr2bsr_wavefront_per_row_multipass_kernelILj256ELj64ELj16EfiiEEv20rocsparse_direction_T4_S2_S2_S2_S2_21rocsparse_index_base_PKT2_PKT3_PKS2_S3_PS4_PS7_PS2_
                                        ; -- End function
	.set _ZN9rocsparseL42csr2bsr_wavefront_per_row_multipass_kernelILj256ELj64ELj16EfiiEEv20rocsparse_direction_T4_S2_S2_S2_S2_21rocsparse_index_base_PKT2_PKT3_PKS2_S3_PS4_PS7_PS2_.num_vgpr, 40
	.set _ZN9rocsparseL42csr2bsr_wavefront_per_row_multipass_kernelILj256ELj64ELj16EfiiEEv20rocsparse_direction_T4_S2_S2_S2_S2_21rocsparse_index_base_PKT2_PKT3_PKS2_S3_PS4_PS7_PS2_.num_agpr, 0
	.set _ZN9rocsparseL42csr2bsr_wavefront_per_row_multipass_kernelILj256ELj64ELj16EfiiEEv20rocsparse_direction_T4_S2_S2_S2_S2_21rocsparse_index_base_PKT2_PKT3_PKS2_S3_PS4_PS7_PS2_.numbered_sgpr, 26
	.set _ZN9rocsparseL42csr2bsr_wavefront_per_row_multipass_kernelILj256ELj64ELj16EfiiEEv20rocsparse_direction_T4_S2_S2_S2_S2_21rocsparse_index_base_PKT2_PKT3_PKS2_S3_PS4_PS7_PS2_.num_named_barrier, 0
	.set _ZN9rocsparseL42csr2bsr_wavefront_per_row_multipass_kernelILj256ELj64ELj16EfiiEEv20rocsparse_direction_T4_S2_S2_S2_S2_21rocsparse_index_base_PKT2_PKT3_PKS2_S3_PS4_PS7_PS2_.private_seg_size, 0
	.set _ZN9rocsparseL42csr2bsr_wavefront_per_row_multipass_kernelILj256ELj64ELj16EfiiEEv20rocsparse_direction_T4_S2_S2_S2_S2_21rocsparse_index_base_PKT2_PKT3_PKS2_S3_PS4_PS7_PS2_.uses_vcc, 1
	.set _ZN9rocsparseL42csr2bsr_wavefront_per_row_multipass_kernelILj256ELj64ELj16EfiiEEv20rocsparse_direction_T4_S2_S2_S2_S2_21rocsparse_index_base_PKT2_PKT3_PKS2_S3_PS4_PS7_PS2_.uses_flat_scratch, 0
	.set _ZN9rocsparseL42csr2bsr_wavefront_per_row_multipass_kernelILj256ELj64ELj16EfiiEEv20rocsparse_direction_T4_S2_S2_S2_S2_21rocsparse_index_base_PKT2_PKT3_PKS2_S3_PS4_PS7_PS2_.has_dyn_sized_stack, 0
	.set _ZN9rocsparseL42csr2bsr_wavefront_per_row_multipass_kernelILj256ELj64ELj16EfiiEEv20rocsparse_direction_T4_S2_S2_S2_S2_21rocsparse_index_base_PKT2_PKT3_PKS2_S3_PS4_PS7_PS2_.has_recursion, 0
	.set _ZN9rocsparseL42csr2bsr_wavefront_per_row_multipass_kernelILj256ELj64ELj16EfiiEEv20rocsparse_direction_T4_S2_S2_S2_S2_21rocsparse_index_base_PKT2_PKT3_PKS2_S3_PS4_PS7_PS2_.has_indirect_call, 0
	.section	.AMDGPU.csdata,"",@progbits
; Kernel info:
; codeLenInByte = 1860
; TotalNumSgprs: 28
; NumVgprs: 40
; ScratchSize: 0
; MemoryBound: 0
; FloatMode: 240
; IeeeMode: 1
; LDSByteSize: 4100 bytes/workgroup (compile time only)
; SGPRBlocks: 0
; VGPRBlocks: 2
; NumSGPRsForWavesPerEU: 28
; NumVGPRsForWavesPerEU: 40
; NamedBarCnt: 0
; Occupancy: 16
; WaveLimiterHint : 0
; COMPUTE_PGM_RSRC2:SCRATCH_EN: 0
; COMPUTE_PGM_RSRC2:USER_SGPR: 2
; COMPUTE_PGM_RSRC2:TRAP_HANDLER: 0
; COMPUTE_PGM_RSRC2:TGID_X_EN: 1
; COMPUTE_PGM_RSRC2:TGID_Y_EN: 0
; COMPUTE_PGM_RSRC2:TGID_Z_EN: 0
; COMPUTE_PGM_RSRC2:TIDIG_COMP_CNT: 0
	.section	.text._ZN9rocsparseL42csr2bsr_wavefront_per_row_multipass_kernelILj256ELj32ELj16EfiiEEv20rocsparse_direction_T4_S2_S2_S2_S2_21rocsparse_index_base_PKT2_PKT3_PKS2_S3_PS4_PS7_PS2_,"axG",@progbits,_ZN9rocsparseL42csr2bsr_wavefront_per_row_multipass_kernelILj256ELj32ELj16EfiiEEv20rocsparse_direction_T4_S2_S2_S2_S2_21rocsparse_index_base_PKT2_PKT3_PKS2_S3_PS4_PS7_PS2_,comdat
	.globl	_ZN9rocsparseL42csr2bsr_wavefront_per_row_multipass_kernelILj256ELj32ELj16EfiiEEv20rocsparse_direction_T4_S2_S2_S2_S2_21rocsparse_index_base_PKT2_PKT3_PKS2_S3_PS4_PS7_PS2_ ; -- Begin function _ZN9rocsparseL42csr2bsr_wavefront_per_row_multipass_kernelILj256ELj32ELj16EfiiEEv20rocsparse_direction_T4_S2_S2_S2_S2_21rocsparse_index_base_PKT2_PKT3_PKS2_S3_PS4_PS7_PS2_
	.p2align	8
	.type	_ZN9rocsparseL42csr2bsr_wavefront_per_row_multipass_kernelILj256ELj32ELj16EfiiEEv20rocsparse_direction_T4_S2_S2_S2_S2_21rocsparse_index_base_PKT2_PKT3_PKS2_S3_PS4_PS7_PS2_,@function
_ZN9rocsparseL42csr2bsr_wavefront_per_row_multipass_kernelILj256ELj32ELj16EfiiEEv20rocsparse_direction_T4_S2_S2_S2_S2_21rocsparse_index_base_PKT2_PKT3_PKS2_S3_PS4_PS7_PS2_: ; @_ZN9rocsparseL42csr2bsr_wavefront_per_row_multipass_kernelILj256ELj32ELj16EfiiEEv20rocsparse_direction_T4_S2_S2_S2_S2_21rocsparse_index_base_PKT2_PKT3_PKS2_S3_PS4_PS7_PS2_
; %bb.0:
	s_clause 0x1
	s_load_b128 s[8:11], s[0:1], 0xc
	s_load_b64 s[4:5], s[0:1], 0x0
	s_bfe_u32 s2, ttmp6, 0x4000c
	s_and_b32 s3, ttmp6, 15
	s_add_co_i32 s2, s2, 1
	s_getreg_b32 s6, hwreg(HW_REG_IB_STS2, 6, 4)
	s_mul_i32 s2, ttmp9, s2
	v_dual_mov_b32 v2, 0 :: v_dual_lshrrev_b32 v1, 5, v0
	s_add_co_i32 s3, s3, s2
	s_cmp_eq_u32 s6, 0
	v_bfe_u32 v3, v0, 1, 4
	s_cselect_b32 s2, ttmp9, s3
	s_load_b64 s[6:7], s[0:1], 0x28
	v_lshl_or_b32 v4, s2, 3, v1
	v_mov_b32_e32 v42, 0
	s_wait_kmcnt 0x0
	s_delay_alu instid0(VALU_DEP_2) | instskip(SKIP_1) | instid1(VALU_DEP_2)
	v_mad_u32 v5, v4, s10, v3
	v_cmp_gt_i32_e32 vcc_lo, s10, v3
	v_cmp_gt_i32_e64 s2, s5, v5
	s_and_b32 s2, vcc_lo, s2
	s_delay_alu instid0(SALU_CYCLE_1)
	s_and_saveexec_b32 s3, s2
	s_cbranch_execz .LBB41_2
; %bb.1:
	global_load_b32 v6, v5, s[6:7] scale_offset
	s_wait_loadcnt 0x0
	v_subrev_nc_u32_e32 v42, s11, v6
.LBB41_2:
	s_or_b32 exec_lo, exec_lo, s3
	v_mov_b32_e32 v32, 0
	s_and_saveexec_b32 s3, s2
	s_cbranch_execz .LBB41_4
; %bb.3:
	global_load_b32 v5, v5, s[6:7] offset:4 scale_offset
	s_wait_loadcnt 0x0
	v_subrev_nc_u32_e32 v32, s11, v5
.LBB41_4:
	s_or_b32 exec_lo, exec_lo, s3
	s_load_b32 s22, s[0:1], 0x38
	s_mov_b32 s3, exec_lo
	v_cmpx_gt_i32_e64 s8, v4
	s_cbranch_execz .LBB41_6
; %bb.5:
	s_load_b64 s[6:7], s[0:1], 0x48
	s_wait_kmcnt 0x0
	global_load_b32 v2, v4, s[6:7] scale_offset
	s_wait_loadcnt 0x0
	v_subrev_nc_u32_e32 v2, s22, v2
.LBB41_6:
	s_or_b32 exec_lo, exec_lo, s3
	s_cmp_lt_i32 s9, 1
	s_cbranch_scc1 .LBB41_59
; %bb.7:
	v_mbcnt_lo_u32_b32 v9, -1, 0
	s_load_b64 s[2:3], s[0:1], 0x40
	v_lshlrev_b32_e32 v4, 6, v3
	s_clause 0x2
	s_load_b64 s[12:13], s[0:1], 0x50
	s_load_b64 s[14:15], s[0:1], 0x30
	;; [unrolled: 1-line block ×3, first 2 shown]
	s_mov_b32 s19, 0
	v_xor_b32_e32 v5, 1, v9
	s_cmp_lg_u32 s4, 0
	v_lshl_or_b32 v33, v1, 10, v4
	s_mov_b32 s18, s10
	s_cselect_b32 s8, -1, 0
	s_wait_xcnt 0x0
	v_cmp_gt_i32_e64 s0, 32, v5
	v_and_b32_e32 v0, 1, v0
	s_mul_u64 s[20:21], s[18:19], s[18:19]
	s_lshl_b32 s18, s10, 1
	v_lshl_or_b32 v34, v9, 2, 4
	v_dual_cndmask_b32 v4, v9, v5, s0 :: v_dual_mov_b32 v5, 0
	v_xor_b32_e32 v8, 16, v9
	s_abs_i32 s23, s10
	v_or_b32_e32 v24, 14, v0
	s_delay_alu instid0(VALU_DEP_3) | instskip(NEXT) | instid1(VALU_DEP_3)
	v_dual_lshlrev_b32 v36, 2, v4 :: v_dual_lshlrev_b32 v4, 2, v3
	v_cmp_gt_i32_e64 s0, 32, v8
	s_cvt_f32_u32 s6, s23
	v_mov_b32_e32 v25, v5
	v_cmp_gt_u32_e64 s7, s10, v24
	s_wait_kmcnt 0x0
	v_add_nc_u64_e32 v[6:7], s[2:3], v[4:5]
	v_mul_lo_u32 v4, s10, v3
	v_dual_cndmask_b32 v12, v9, v8, s0 :: v_dual_bitop2_b32 v3, 8, v9 bitop3:0x14
	v_mul_lo_u32 v8, v0, s10
	v_lshl_or_b32 v35, v0, 2, v33
	v_mov_b32_e32 v27, 0
	s_delay_alu instid0(VALU_DEP_4) | instskip(SKIP_4) | instid1(VALU_DEP_2)
	v_cmp_gt_i32_e64 s0, 32, v3
	v_xor_b32_e32 v10, 4, v9
	s_and_b32 s7, vcc_lo, s7
	s_mov_b32 s26, s19
	v_dual_lshlrev_b32 v37, 2, v12 :: v_dual_cndmask_b32 v3, v9, v3, s0
	v_cmp_gt_i32_e64 s0, 32, v10
	v_dual_add_nc_u32 v12, s18, v8 :: v_dual_bitop2_b32 v11, 2, v9 bitop3:0x14
	v_dual_mov_b32 v15, v5 :: v_dual_mov_b32 v17, v5
	s_delay_alu instid0(VALU_DEP_3) | instskip(NEXT) | instid1(VALU_DEP_3)
	v_cndmask_b32_e64 v13, v9, v10, s0
	v_cmp_gt_i32_e64 s0, 32, v11
	v_dual_lshlrev_b32 v38, 2, v3 :: v_dual_bitop2_b32 v3, 2, v0 bitop3:0x54
	s_delay_alu instid0(VALU_DEP_3) | instskip(NEXT) | instid1(VALU_DEP_3)
	v_dual_mov_b32 v19, v5 :: v_dual_lshlrev_b32 v39, 2, v13
	v_cndmask_b32_e64 v9, v9, v11, s0
	v_lshl_add_u64 v[10:11], v[4:5], 2, s[2:3]
	v_dual_mov_b32 v13, v5 :: v_dual_bitop2_b32 v4, 4, v0 bitop3:0x54
	s_delay_alu instid0(VALU_DEP_3) | instskip(SKIP_1) | instid1(VALU_DEP_3)
	v_dual_add_nc_u32 v14, s18, v12 :: v_dual_lshlrev_b32 v40, 2, v9
	v_mov_b32_e32 v41, 0x7c
	v_cmp_gt_u32_e64 s2, s10, v4
	v_dual_mov_b32 v9, v5 :: v_dual_bitop2_b32 v4, 8, v0 bitop3:0x54
	v_cmp_gt_u32_e64 s1, s10, v3
	v_dual_add_nc_u32 v16, s18, v14 :: v_dual_bitop2_b32 v3, 6, v0 bitop3:0x54
	s_delay_alu instid0(VALU_DEP_3) | instskip(SKIP_2) | instid1(VALU_DEP_3)
	v_cmp_gt_u32_e64 s4, s10, v4
	v_rcp_iflag_f32_e32 v4, s6
	v_cmp_gt_u32_e64 s0, s10, v0
	v_cmp_gt_u32_e64 s3, s10, v3
	v_dual_mov_b32 v21, v5 :: v_dual_add_nc_u32 v18, s18, v16
	v_or_b32_e32 v3, 10, v0
	s_and_b32 s24, s0, vcc_lo
	s_delay_alu instid0(TRANS32_DEP_1) | instskip(NEXT) | instid1(VALU_DEP_3)
	v_readfirstlane_b32 s25, v4
	v_dual_mov_b32 v43, 1 :: v_dual_add_nc_u32 v20, s18, v18
	s_delay_alu instid0(VALU_DEP_3) | instskip(SKIP_4) | instid1(VALU_DEP_3)
	v_cmp_gt_u32_e64 s5, s10, v3
	v_dual_mov_b32 v23, v5 :: v_dual_bitop2_b32 v3, 12, v0 bitop3:0x54
	s_mul_f32 s0, s25, 0x4f7ffffe
	v_add_nc_u32_e32 v22, s18, v20
	v_lshlrev_b32_e32 v26, 2, v0
	v_cmp_gt_u32_e64 s6, s10, v3
	s_cvt_u32_f32 s0, s0
	s_and_b32 s1, vcc_lo, s1
	v_add_nc_u32_e32 v24, s18, v22
	s_sub_co_i32 s18, 0, s23
	s_and_b32 s2, vcc_lo, s2
	s_mul_i32 s18, s18, s0
	s_and_b32 s3, vcc_lo, s3
	s_mul_hi_u32 s18, s0, s18
	s_and_b32 s4, vcc_lo, s4
	s_and_b32 s5, vcc_lo, s5
	;; [unrolled: 1-line block ×3, first 2 shown]
	s_ashr_i32 s25, s10, 31
	s_add_co_i32 s18, s0, s18
	s_branch .LBB41_10
.LBB41_8:                               ;   in Loop: Header=BB41_10 Depth=1
	s_wait_xcnt 0x0
	s_or_b32 exec_lo, exec_lo, s27
	s_wait_dscnt 0x0
	v_mov_b32_e32 v3, 1
.LBB41_9:                               ;   in Loop: Header=BB41_10 Depth=1
	s_or_b32 exec_lo, exec_lo, s0
	ds_bpermute_b32 v4, v37, v44
	s_wait_storecnt_dscnt 0x0
	v_dual_add_nc_u32 v2, v3, v2 :: v_dual_min_i32 v4, v4, v44
	ds_bpermute_b32 v27, v38, v4
	s_wait_dscnt 0x0
	v_min_i32_e32 v4, v27, v4
	ds_bpermute_b32 v27, v39, v4
	s_wait_dscnt 0x0
	v_min_i32_e32 v4, v27, v4
	;; [unrolled: 3-line block ×4, first 2 shown]
	ds_bpermute_b32 v27, v41, v4
	s_wait_dscnt 0x0
	v_cmp_le_i32_e32 vcc_lo, s9, v27
	s_or_b32 s26, vcc_lo, s26
	s_delay_alu instid0(SALU_CYCLE_1)
	s_and_not1_b32 exec_lo, exec_lo, s26
	s_cbranch_execz .LBB41_59
.LBB41_10:                              ; =>This Loop Header: Depth=1
                                        ;     Child Loop BB41_13 Depth 2
	v_dual_add_nc_u32 v28, v42, v0 :: v_dual_mov_b32 v44, s9
	v_mov_b32_e32 v29, v32
	s_mov_b32 s27, exec_lo
	ds_store_b8 v1, v5 offset:8192
	ds_store_2addr_b32 v35, v5, v5 offset1:2
	ds_store_2addr_b32 v35, v5, v5 offset0:4 offset1:6
	ds_store_2addr_b32 v35, v5, v5 offset0:8 offset1:10
	;; [unrolled: 1-line block ×3, first 2 shown]
	s_wait_dscnt 0x0
	v_cmpx_lt_i32_e64 v28, v32
	s_cbranch_execz .LBB41_18
; %bb.11:                               ;   in Loop: Header=BB41_10 Depth=1
	v_mul_lo_u32 v3, v27, s10
	v_dual_mov_b32 v44, s9 :: v_dual_mov_b32 v29, v32
	s_mov_b32 s28, 0
	s_branch .LBB41_13
.LBB41_12:                              ;   in Loop: Header=BB41_13 Depth=2
	s_wait_xcnt 0x0
	s_or_b32 exec_lo, exec_lo, s0
	v_add_nc_u32_e32 v28, 2, v28
	s_xor_b32 s29, vcc_lo, -1
	s_delay_alu instid0(VALU_DEP_1) | instskip(SKIP_1) | instid1(SALU_CYCLE_1)
	v_cmp_ge_i32_e64 s0, v28, v32
	s_or_b32 s0, s29, s0
	s_and_b32 s0, exec_lo, s0
	s_delay_alu instid0(SALU_CYCLE_1) | instskip(NEXT) | instid1(SALU_CYCLE_1)
	s_or_b32 s28, s0, s28
	s_and_not1_b32 exec_lo, exec_lo, s28
	s_cbranch_execz .LBB41_17
.LBB41_13:                              ;   Parent Loop BB41_10 Depth=1
                                        ; =>  This Inner Loop Header: Depth=2
	global_load_b32 v4, v28, s[14:15] scale_offset
	s_wait_loadcnt 0x0
	v_subrev_nc_u32_e32 v30, s11, v4
	s_delay_alu instid0(VALU_DEP_1) | instskip(NEXT) | instid1(VALU_DEP_1)
	v_dual_sub_nc_u32 v4, 0, v30 :: v_dual_ashrrev_i32 v45, 31, v30
	v_max_i32_e32 v4, v30, v4
	s_delay_alu instid0(VALU_DEP_1) | instskip(NEXT) | instid1(VALU_DEP_1)
	v_mul_u64_e32 v[46:47], s[18:19], v[4:5]
	v_mul_lo_u32 v31, v47, s23
	s_delay_alu instid0(VALU_DEP_1) | instskip(SKIP_1) | instid1(VALU_DEP_2)
	v_sub_nc_u32_e32 v4, v4, v31
	v_add_nc_u32_e32 v31, 1, v47
	v_subrev_nc_u32_e32 v42, s23, v4
	v_cmp_le_u32_e32 vcc_lo, s23, v4
	s_delay_alu instid0(VALU_DEP_2) | instskip(NEXT) | instid1(VALU_DEP_1)
	v_dual_cndmask_b32 v31, v47, v31 :: v_dual_cndmask_b32 v4, v4, v42
	v_add_nc_u32_e32 v42, 1, v31
	s_delay_alu instid0(VALU_DEP_2) | instskip(NEXT) | instid1(VALU_DEP_2)
	v_cmp_le_u32_e32 vcc_lo, s23, v4
	v_dual_cndmask_b32 v4, v31, v42, vcc_lo :: v_dual_bitop2_b32 v45, s25, v45 bitop3:0x14
	s_delay_alu instid0(VALU_DEP_1) | instskip(NEXT) | instid1(VALU_DEP_1)
	v_xor_b32_e32 v4, v4, v45
	v_dual_mov_b32 v4, v29 :: v_dual_sub_nc_u32 v31, v4, v45
	s_delay_alu instid0(VALU_DEP_1) | instskip(SKIP_3) | instid1(SALU_CYCLE_1)
	v_cmp_ne_u32_e64 s0, v31, v27
	v_cmp_eq_u32_e32 vcc_lo, v31, v27
	s_wait_xcnt 0x0
	s_and_saveexec_b32 s29, s0
	s_xor_b32 s0, exec_lo, s29
; %bb.14:                               ;   in Loop: Header=BB41_13 Depth=2
	v_min_i32_e32 v44, v31, v44
                                        ; implicit-def: $vgpr30
                                        ; implicit-def: $vgpr4
; %bb.15:                               ;   in Loop: Header=BB41_13 Depth=2
	s_or_saveexec_b32 s0, s0
	v_mov_b32_e32 v29, v28
	s_xor_b32 exec_lo, exec_lo, s0
	s_cbranch_execz .LBB41_12
; %bb.16:                               ;   in Loop: Header=BB41_13 Depth=2
	v_ashrrev_i32_e32 v29, 31, v28
	s_delay_alu instid0(VALU_DEP_1)
	v_lshl_add_u64 v[46:47], v[28:29], 2, s[16:17]
	v_sub_nc_u32_e32 v29, v30, v3
	global_load_b32 v31, v[46:47], off
	v_lshl_add_u32 v30, v29, 2, v33
	v_mov_b32_e32 v29, v4
	ds_store_b8 v1, v43 offset:8192
	s_wait_loadcnt 0x0
	ds_store_b32 v30, v31
	s_branch .LBB41_12
.LBB41_17:                              ;   in Loop: Header=BB41_10 Depth=1
	s_or_b32 exec_lo, exec_lo, s28
.LBB41_18:                              ;   in Loop: Header=BB41_10 Depth=1
	s_delay_alu instid0(SALU_CYCLE_1)
	s_or_b32 exec_lo, exec_lo, s27
	ds_bpermute_b32 v3, v36, v29
	s_wait_dscnt 0x0
	ds_load_u8 v4, v1 offset:8192
	v_min_i32_e32 v3, v3, v29
	ds_bpermute_b32 v42, v34, v3
	s_wait_dscnt 0x1
	v_and_b32_e32 v3, 1, v4
	s_delay_alu instid0(VALU_DEP_1)
	v_cmp_eq_u32_e32 vcc_lo, 1, v3
	v_mov_b32_e32 v3, 0
	s_and_saveexec_b32 s0, vcc_lo
	s_cbranch_execz .LBB41_9
; %bb.19:                               ;   in Loop: Header=BB41_10 Depth=1
	v_ashrrev_i32_e32 v3, 31, v2
	s_delay_alu instid0(VALU_DEP_1) | instskip(SKIP_3) | instid1(VALU_DEP_1)
	v_mul_u64_e32 v[28:29], s[20:21], v[2:3]
	v_add_nc_u32_e32 v3, s22, v27
	global_store_b32 v2, v3, s[12:13] scale_offset
	v_lshlrev_b64_e32 v[28:29], 2, v[28:29]
	v_add_nc_u64_e32 v[30:31], v[6:7], v[28:29]
	v_add_nc_u64_e32 v[28:29], v[10:11], v[28:29]
	s_wait_xcnt 0x0
	s_and_saveexec_b32 s27, s24
	s_cbranch_execz .LBB41_23
; %bb.20:                               ;   in Loop: Header=BB41_10 Depth=1
	ds_load_b32 v3, v35
	s_and_b32 vcc_lo, exec_lo, s8
	s_cbranch_vccz .LBB41_50
; %bb.21:                               ;   in Loop: Header=BB41_10 Depth=1
	v_lshl_add_u64 v[46:47], v[8:9], 2, v[30:31]
	s_wait_dscnt 0x0
	global_store_b32 v[46:47], v3, off
	s_cbranch_execnz .LBB41_23
.LBB41_22:                              ;   in Loop: Header=BB41_10 Depth=1
	v_mov_b32_e32 v27, v5
	s_wait_xcnt 0x0
	s_delay_alu instid0(VALU_DEP_1)
	v_add_nc_u64_e32 v[46:47], v[28:29], v[26:27]
	s_wait_dscnt 0x0
	global_store_b32 v[46:47], v3, off
.LBB41_23:                              ;   in Loop: Header=BB41_10 Depth=1
	s_wait_xcnt 0x0
	s_or_b32 exec_lo, exec_lo, s27
	s_and_saveexec_b32 s27, s1
	s_cbranch_execz .LBB41_27
; %bb.24:                               ;   in Loop: Header=BB41_10 Depth=1
	s_and_not1_b32 vcc_lo, exec_lo, s8
	s_cbranch_vccnz .LBB41_51
; %bb.25:                               ;   in Loop: Header=BB41_10 Depth=1
	s_wait_dscnt 0x0
	ds_load_b32 v3, v35 offset:8
	v_lshl_add_u64 v[46:47], v[12:13], 2, v[30:31]
	s_wait_dscnt 0x0
	global_store_b32 v[46:47], v3, off
	s_cbranch_execnz .LBB41_27
.LBB41_26:                              ;   in Loop: Header=BB41_10 Depth=1
	s_wait_dscnt 0x0
	s_wait_xcnt 0x0
	ds_load_b32 v3, v35 offset:8
	v_mov_b32_e32 v27, v5
	s_delay_alu instid0(VALU_DEP_1)
	v_add_nc_u64_e32 v[46:47], v[28:29], v[26:27]
	s_wait_dscnt 0x0
	global_store_b32 v[46:47], v3, off offset:8
.LBB41_27:                              ;   in Loop: Header=BB41_10 Depth=1
	s_wait_xcnt 0x0
	s_or_b32 exec_lo, exec_lo, s27
	s_and_saveexec_b32 s27, s2
	s_cbranch_execz .LBB41_31
; %bb.28:                               ;   in Loop: Header=BB41_10 Depth=1
	s_and_not1_b32 vcc_lo, exec_lo, s8
	s_cbranch_vccnz .LBB41_52
; %bb.29:                               ;   in Loop: Header=BB41_10 Depth=1
	s_wait_dscnt 0x0
	ds_load_b32 v3, v35 offset:16
	v_lshl_add_u64 v[46:47], v[14:15], 2, v[30:31]
	s_wait_dscnt 0x0
	global_store_b32 v[46:47], v3, off
	s_cbranch_execnz .LBB41_31
.LBB41_30:                              ;   in Loop: Header=BB41_10 Depth=1
	s_wait_dscnt 0x0
	s_wait_xcnt 0x0
	ds_load_b32 v3, v35 offset:16
	v_mov_b32_e32 v27, v5
	s_delay_alu instid0(VALU_DEP_1)
	v_add_nc_u64_e32 v[46:47], v[28:29], v[26:27]
	s_wait_dscnt 0x0
	global_store_b32 v[46:47], v3, off offset:16
.LBB41_31:                              ;   in Loop: Header=BB41_10 Depth=1
	s_wait_xcnt 0x0
	s_or_b32 exec_lo, exec_lo, s27
	s_and_saveexec_b32 s27, s3
	s_cbranch_execz .LBB41_35
; %bb.32:                               ;   in Loop: Header=BB41_10 Depth=1
	s_and_not1_b32 vcc_lo, exec_lo, s8
	s_cbranch_vccnz .LBB41_53
; %bb.33:                               ;   in Loop: Header=BB41_10 Depth=1
	s_wait_dscnt 0x0
	ds_load_b32 v3, v35 offset:24
	v_lshl_add_u64 v[46:47], v[16:17], 2, v[30:31]
	s_wait_dscnt 0x0
	global_store_b32 v[46:47], v3, off
	s_cbranch_execnz .LBB41_35
.LBB41_34:                              ;   in Loop: Header=BB41_10 Depth=1
	s_wait_dscnt 0x0
	s_wait_xcnt 0x0
	ds_load_b32 v3, v35 offset:24
	v_mov_b32_e32 v27, v5
	s_delay_alu instid0(VALU_DEP_1)
	v_add_nc_u64_e32 v[46:47], v[28:29], v[26:27]
	s_wait_dscnt 0x0
	global_store_b32 v[46:47], v3, off offset:24
.LBB41_35:                              ;   in Loop: Header=BB41_10 Depth=1
	s_wait_xcnt 0x0
	s_or_b32 exec_lo, exec_lo, s27
	s_and_saveexec_b32 s27, s4
	s_cbranch_execz .LBB41_39
; %bb.36:                               ;   in Loop: Header=BB41_10 Depth=1
	s_and_not1_b32 vcc_lo, exec_lo, s8
	s_cbranch_vccnz .LBB41_54
; %bb.37:                               ;   in Loop: Header=BB41_10 Depth=1
	s_wait_dscnt 0x0
	ds_load_b32 v3, v35 offset:32
	v_lshl_add_u64 v[46:47], v[18:19], 2, v[30:31]
	s_wait_dscnt 0x0
	global_store_b32 v[46:47], v3, off
	s_cbranch_execnz .LBB41_39
.LBB41_38:                              ;   in Loop: Header=BB41_10 Depth=1
	s_wait_dscnt 0x0
	s_wait_xcnt 0x0
	ds_load_b32 v3, v35 offset:32
	v_mov_b32_e32 v27, v5
	s_delay_alu instid0(VALU_DEP_1)
	v_add_nc_u64_e32 v[46:47], v[28:29], v[26:27]
	s_wait_dscnt 0x0
	global_store_b32 v[46:47], v3, off offset:32
.LBB41_39:                              ;   in Loop: Header=BB41_10 Depth=1
	s_wait_xcnt 0x0
	s_or_b32 exec_lo, exec_lo, s27
	s_and_saveexec_b32 s27, s5
	s_cbranch_execz .LBB41_43
; %bb.40:                               ;   in Loop: Header=BB41_10 Depth=1
	s_and_not1_b32 vcc_lo, exec_lo, s8
	s_cbranch_vccnz .LBB41_55
; %bb.41:                               ;   in Loop: Header=BB41_10 Depth=1
	s_wait_dscnt 0x0
	ds_load_b32 v3, v35 offset:40
	v_lshl_add_u64 v[46:47], v[20:21], 2, v[30:31]
	s_wait_dscnt 0x0
	global_store_b32 v[46:47], v3, off
	s_cbranch_execnz .LBB41_43
.LBB41_42:                              ;   in Loop: Header=BB41_10 Depth=1
	s_wait_dscnt 0x0
	s_wait_xcnt 0x0
	ds_load_b32 v3, v35 offset:40
	v_mov_b32_e32 v27, v5
	s_delay_alu instid0(VALU_DEP_1)
	v_add_nc_u64_e32 v[46:47], v[28:29], v[26:27]
	s_wait_dscnt 0x0
	global_store_b32 v[46:47], v3, off offset:40
.LBB41_43:                              ;   in Loop: Header=BB41_10 Depth=1
	s_wait_xcnt 0x0
	s_or_b32 exec_lo, exec_lo, s27
	s_and_saveexec_b32 s27, s6
	s_cbranch_execz .LBB41_47
; %bb.44:                               ;   in Loop: Header=BB41_10 Depth=1
	s_and_not1_b32 vcc_lo, exec_lo, s8
	s_cbranch_vccnz .LBB41_56
; %bb.45:                               ;   in Loop: Header=BB41_10 Depth=1
	s_wait_dscnt 0x0
	ds_load_b32 v3, v35 offset:48
	v_lshl_add_u64 v[46:47], v[22:23], 2, v[30:31]
	s_wait_dscnt 0x0
	global_store_b32 v[46:47], v3, off
	s_cbranch_execnz .LBB41_47
.LBB41_46:                              ;   in Loop: Header=BB41_10 Depth=1
	s_wait_dscnt 0x0
	s_wait_xcnt 0x0
	ds_load_b32 v3, v35 offset:48
	v_mov_b32_e32 v27, v5
	s_delay_alu instid0(VALU_DEP_1)
	v_add_nc_u64_e32 v[46:47], v[28:29], v[26:27]
	s_wait_dscnt 0x0
	global_store_b32 v[46:47], v3, off offset:48
.LBB41_47:                              ;   in Loop: Header=BB41_10 Depth=1
	s_wait_xcnt 0x0
	s_or_b32 exec_lo, exec_lo, s27
	s_and_saveexec_b32 s27, s7
	s_cbranch_execz .LBB41_8
; %bb.48:                               ;   in Loop: Header=BB41_10 Depth=1
	s_and_not1_b32 vcc_lo, exec_lo, s8
	s_cbranch_vccnz .LBB41_57
; %bb.49:                               ;   in Loop: Header=BB41_10 Depth=1
	s_wait_dscnt 0x0
	ds_load_b32 v3, v35 offset:56
	v_lshl_add_u64 v[30:31], v[24:25], 2, v[30:31]
	s_wait_dscnt 0x0
	global_store_b32 v[30:31], v3, off
	s_cbranch_execnz .LBB41_8
	s_branch .LBB41_58
.LBB41_50:                              ;   in Loop: Header=BB41_10 Depth=1
	s_branch .LBB41_22
.LBB41_51:                              ;   in Loop: Header=BB41_10 Depth=1
	s_branch .LBB41_26
.LBB41_52:                              ;   in Loop: Header=BB41_10 Depth=1
	s_branch .LBB41_30
.LBB41_53:                              ;   in Loop: Header=BB41_10 Depth=1
	s_branch .LBB41_34
.LBB41_54:                              ;   in Loop: Header=BB41_10 Depth=1
	s_branch .LBB41_38
.LBB41_55:                              ;   in Loop: Header=BB41_10 Depth=1
	s_branch .LBB41_42
.LBB41_56:                              ;   in Loop: Header=BB41_10 Depth=1
	s_branch .LBB41_46
.LBB41_57:                              ;   in Loop: Header=BB41_10 Depth=1
.LBB41_58:                              ;   in Loop: Header=BB41_10 Depth=1
	s_wait_dscnt 0x0
	s_wait_xcnt 0x0
	ds_load_b32 v3, v35 offset:56
	v_mov_b32_e32 v27, v5
	s_delay_alu instid0(VALU_DEP_1)
	v_add_nc_u64_e32 v[28:29], v[28:29], v[26:27]
	s_wait_dscnt 0x0
	global_store_b32 v[28:29], v3, off offset:56
	s_branch .LBB41_8
.LBB41_59:
	s_endpgm
	.section	.rodata,"a",@progbits
	.p2align	6, 0x0
	.amdhsa_kernel _ZN9rocsparseL42csr2bsr_wavefront_per_row_multipass_kernelILj256ELj32ELj16EfiiEEv20rocsparse_direction_T4_S2_S2_S2_S2_21rocsparse_index_base_PKT2_PKT3_PKS2_S3_PS4_PS7_PS2_
		.amdhsa_group_segment_fixed_size 8200
		.amdhsa_private_segment_fixed_size 0
		.amdhsa_kernarg_size 88
		.amdhsa_user_sgpr_count 2
		.amdhsa_user_sgpr_dispatch_ptr 0
		.amdhsa_user_sgpr_queue_ptr 0
		.amdhsa_user_sgpr_kernarg_segment_ptr 1
		.amdhsa_user_sgpr_dispatch_id 0
		.amdhsa_user_sgpr_kernarg_preload_length 0
		.amdhsa_user_sgpr_kernarg_preload_offset 0
		.amdhsa_user_sgpr_private_segment_size 0
		.amdhsa_wavefront_size32 1
		.amdhsa_uses_dynamic_stack 0
		.amdhsa_enable_private_segment 0
		.amdhsa_system_sgpr_workgroup_id_x 1
		.amdhsa_system_sgpr_workgroup_id_y 0
		.amdhsa_system_sgpr_workgroup_id_z 0
		.amdhsa_system_sgpr_workgroup_info 0
		.amdhsa_system_vgpr_workitem_id 0
		.amdhsa_next_free_vgpr 48
		.amdhsa_next_free_sgpr 30
		.amdhsa_named_barrier_count 0
		.amdhsa_reserve_vcc 1
		.amdhsa_float_round_mode_32 0
		.amdhsa_float_round_mode_16_64 0
		.amdhsa_float_denorm_mode_32 3
		.amdhsa_float_denorm_mode_16_64 3
		.amdhsa_fp16_overflow 0
		.amdhsa_memory_ordered 1
		.amdhsa_forward_progress 1
		.amdhsa_inst_pref_size 19
		.amdhsa_round_robin_scheduling 0
		.amdhsa_exception_fp_ieee_invalid_op 0
		.amdhsa_exception_fp_denorm_src 0
		.amdhsa_exception_fp_ieee_div_zero 0
		.amdhsa_exception_fp_ieee_overflow 0
		.amdhsa_exception_fp_ieee_underflow 0
		.amdhsa_exception_fp_ieee_inexact 0
		.amdhsa_exception_int_div_zero 0
	.end_amdhsa_kernel
	.section	.text._ZN9rocsparseL42csr2bsr_wavefront_per_row_multipass_kernelILj256ELj32ELj16EfiiEEv20rocsparse_direction_T4_S2_S2_S2_S2_21rocsparse_index_base_PKT2_PKT3_PKS2_S3_PS4_PS7_PS2_,"axG",@progbits,_ZN9rocsparseL42csr2bsr_wavefront_per_row_multipass_kernelILj256ELj32ELj16EfiiEEv20rocsparse_direction_T4_S2_S2_S2_S2_21rocsparse_index_base_PKT2_PKT3_PKS2_S3_PS4_PS7_PS2_,comdat
.Lfunc_end41:
	.size	_ZN9rocsparseL42csr2bsr_wavefront_per_row_multipass_kernelILj256ELj32ELj16EfiiEEv20rocsparse_direction_T4_S2_S2_S2_S2_21rocsparse_index_base_PKT2_PKT3_PKS2_S3_PS4_PS7_PS2_, .Lfunc_end41-_ZN9rocsparseL42csr2bsr_wavefront_per_row_multipass_kernelILj256ELj32ELj16EfiiEEv20rocsparse_direction_T4_S2_S2_S2_S2_21rocsparse_index_base_PKT2_PKT3_PKS2_S3_PS4_PS7_PS2_
                                        ; -- End function
	.set _ZN9rocsparseL42csr2bsr_wavefront_per_row_multipass_kernelILj256ELj32ELj16EfiiEEv20rocsparse_direction_T4_S2_S2_S2_S2_21rocsparse_index_base_PKT2_PKT3_PKS2_S3_PS4_PS7_PS2_.num_vgpr, 48
	.set _ZN9rocsparseL42csr2bsr_wavefront_per_row_multipass_kernelILj256ELj32ELj16EfiiEEv20rocsparse_direction_T4_S2_S2_S2_S2_21rocsparse_index_base_PKT2_PKT3_PKS2_S3_PS4_PS7_PS2_.num_agpr, 0
	.set _ZN9rocsparseL42csr2bsr_wavefront_per_row_multipass_kernelILj256ELj32ELj16EfiiEEv20rocsparse_direction_T4_S2_S2_S2_S2_21rocsparse_index_base_PKT2_PKT3_PKS2_S3_PS4_PS7_PS2_.numbered_sgpr, 30
	.set _ZN9rocsparseL42csr2bsr_wavefront_per_row_multipass_kernelILj256ELj32ELj16EfiiEEv20rocsparse_direction_T4_S2_S2_S2_S2_21rocsparse_index_base_PKT2_PKT3_PKS2_S3_PS4_PS7_PS2_.num_named_barrier, 0
	.set _ZN9rocsparseL42csr2bsr_wavefront_per_row_multipass_kernelILj256ELj32ELj16EfiiEEv20rocsparse_direction_T4_S2_S2_S2_S2_21rocsparse_index_base_PKT2_PKT3_PKS2_S3_PS4_PS7_PS2_.private_seg_size, 0
	.set _ZN9rocsparseL42csr2bsr_wavefront_per_row_multipass_kernelILj256ELj32ELj16EfiiEEv20rocsparse_direction_T4_S2_S2_S2_S2_21rocsparse_index_base_PKT2_PKT3_PKS2_S3_PS4_PS7_PS2_.uses_vcc, 1
	.set _ZN9rocsparseL42csr2bsr_wavefront_per_row_multipass_kernelILj256ELj32ELj16EfiiEEv20rocsparse_direction_T4_S2_S2_S2_S2_21rocsparse_index_base_PKT2_PKT3_PKS2_S3_PS4_PS7_PS2_.uses_flat_scratch, 0
	.set _ZN9rocsparseL42csr2bsr_wavefront_per_row_multipass_kernelILj256ELj32ELj16EfiiEEv20rocsparse_direction_T4_S2_S2_S2_S2_21rocsparse_index_base_PKT2_PKT3_PKS2_S3_PS4_PS7_PS2_.has_dyn_sized_stack, 0
	.set _ZN9rocsparseL42csr2bsr_wavefront_per_row_multipass_kernelILj256ELj32ELj16EfiiEEv20rocsparse_direction_T4_S2_S2_S2_S2_21rocsparse_index_base_PKT2_PKT3_PKS2_S3_PS4_PS7_PS2_.has_recursion, 0
	.set _ZN9rocsparseL42csr2bsr_wavefront_per_row_multipass_kernelILj256ELj32ELj16EfiiEEv20rocsparse_direction_T4_S2_S2_S2_S2_21rocsparse_index_base_PKT2_PKT3_PKS2_S3_PS4_PS7_PS2_.has_indirect_call, 0
	.section	.AMDGPU.csdata,"",@progbits
; Kernel info:
; codeLenInByte = 2392
; TotalNumSgprs: 32
; NumVgprs: 48
; ScratchSize: 0
; MemoryBound: 0
; FloatMode: 240
; IeeeMode: 1
; LDSByteSize: 8200 bytes/workgroup (compile time only)
; SGPRBlocks: 0
; VGPRBlocks: 2
; NumSGPRsForWavesPerEU: 32
; NumVGPRsForWavesPerEU: 48
; NamedBarCnt: 0
; Occupancy: 16
; WaveLimiterHint : 0
; COMPUTE_PGM_RSRC2:SCRATCH_EN: 0
; COMPUTE_PGM_RSRC2:USER_SGPR: 2
; COMPUTE_PGM_RSRC2:TRAP_HANDLER: 0
; COMPUTE_PGM_RSRC2:TGID_X_EN: 1
; COMPUTE_PGM_RSRC2:TGID_Y_EN: 0
; COMPUTE_PGM_RSRC2:TGID_Z_EN: 0
; COMPUTE_PGM_RSRC2:TIDIG_COMP_CNT: 0
	.section	.text._ZN9rocsparseL38csr2bsr_block_per_row_multipass_kernelILj256ELj32EfiiEEv20rocsparse_direction_T3_S2_S2_S2_S2_21rocsparse_index_base_PKT1_PKT2_PKS2_S3_PS4_PS7_PS2_,"axG",@progbits,_ZN9rocsparseL38csr2bsr_block_per_row_multipass_kernelILj256ELj32EfiiEEv20rocsparse_direction_T3_S2_S2_S2_S2_21rocsparse_index_base_PKT1_PKT2_PKS2_S3_PS4_PS7_PS2_,comdat
	.globl	_ZN9rocsparseL38csr2bsr_block_per_row_multipass_kernelILj256ELj32EfiiEEv20rocsparse_direction_T3_S2_S2_S2_S2_21rocsparse_index_base_PKT1_PKT2_PKS2_S3_PS4_PS7_PS2_ ; -- Begin function _ZN9rocsparseL38csr2bsr_block_per_row_multipass_kernelILj256ELj32EfiiEEv20rocsparse_direction_T3_S2_S2_S2_S2_21rocsparse_index_base_PKT1_PKT2_PKS2_S3_PS4_PS7_PS2_
	.p2align	8
	.type	_ZN9rocsparseL38csr2bsr_block_per_row_multipass_kernelILj256ELj32EfiiEEv20rocsparse_direction_T3_S2_S2_S2_S2_21rocsparse_index_base_PKT1_PKT2_PKS2_S3_PS4_PS7_PS2_,@function
_ZN9rocsparseL38csr2bsr_block_per_row_multipass_kernelILj256ELj32EfiiEEv20rocsparse_direction_T3_S2_S2_S2_S2_21rocsparse_index_base_PKT1_PKT2_PKS2_S3_PS4_PS7_PS2_: ; @_ZN9rocsparseL38csr2bsr_block_per_row_multipass_kernelILj256ELj32EfiiEEv20rocsparse_direction_T3_S2_S2_S2_S2_21rocsparse_index_base_PKT1_PKT2_PKS2_S3_PS4_PS7_PS2_
; %bb.0:
	s_clause 0x1
	s_load_b96 s[12:14], s[0:1], 0x10
	s_load_b64 s[28:29], s[0:1], 0x0
	s_bfe_u32 s2, ttmp6, 0x4000c
	s_and_b32 s3, ttmp6, 15
	s_add_co_i32 s2, s2, 1
	s_getreg_b32 s4, hwreg(HW_REG_IB_STS2, 6, 4)
	s_mul_i32 s2, ttmp9, s2
	v_dual_mov_b32 v18, 0 :: v_dual_lshrrev_b32 v1, 3, v0
	s_add_co_i32 s3, s3, s2
	s_cmp_eq_u32 s4, 0
	s_load_b64 s[4:5], s[0:1], 0x28
	s_cselect_b32 s6, ttmp9, s3
	v_mov_b32_e32 v26, 0
	s_wait_kmcnt 0x0
	v_mad_u32 v2, s13, s6, v1
	v_cmp_gt_i32_e32 vcc_lo, s13, v1
	s_delay_alu instid0(VALU_DEP_2) | instskip(SKIP_1) | instid1(SALU_CYCLE_1)
	v_cmp_gt_i32_e64 s2, s29, v2
	s_and_b32 s2, vcc_lo, s2
	s_and_saveexec_b32 s3, s2
	s_cbranch_execnz .LBB42_3
; %bb.1:
	s_or_b32 exec_lo, exec_lo, s3
	s_and_saveexec_b32 s3, s2
	s_cbranch_execnz .LBB42_4
.LBB42_2:
	s_or_b32 exec_lo, exec_lo, s3
	s_cmp_lt_i32 s12, 1
	s_cbranch_scc0 .LBB42_5
	s_branch .LBB42_53
.LBB42_3:
	global_load_b32 v3, v2, s[4:5] scale_offset
	s_wait_loadcnt 0x0
	v_subrev_nc_u32_e32 v26, s14, v3
	s_or_b32 exec_lo, exec_lo, s3
	s_and_saveexec_b32 s3, s2
	s_cbranch_execz .LBB42_2
.LBB42_4:
	global_load_b32 v2, v2, s[4:5] offset:4 scale_offset
	s_wait_loadcnt 0x0
	v_subrev_nc_u32_e32 v18, s14, v2
	s_or_b32 exec_lo, exec_lo, s3
	s_cmp_lt_i32 s12, 1
	s_cbranch_scc1 .LBB42_53
.LBB42_5:
	s_clause 0x3
	s_load_b128 s[8:11], s[0:1], 0x40
	s_load_b64 s[20:21], s[0:1], 0x50
	s_load_b96 s[16:18], s[0:1], 0x30
	s_load_b64 s[22:23], s[0:1], 0x20
	s_ashr_i32 s7, s6, 31
	v_mbcnt_lo_u32_b32 v6, -1, 0
	s_lshl_b64 s[6:7], s[6:7], 2
	v_dual_mov_b32 v3, 0 :: v_dual_lshlrev_b32 v2, 2, v1
	v_dual_lshlrev_b32 v20, 7, v1 :: v_dual_bitop2_b32 v19, 7, v0 bitop3:0x40
	s_delay_alu instid0(VALU_DEP_3)
	v_xor_b32_e32 v8, 2, v6
	v_xor_b32_e32 v7, 4, v6
	s_mov_b32 s25, 0
	s_mov_b32 s24, s13
	v_lshl_or_b32 v22, v6, 2, 28
	v_dual_lshlrev_b32 v21, 2, v0 :: v_dual_lshlrev_b32 v14, 2, v19
	s_wait_xcnt 0x0
	v_cmp_gt_u32_e64 s0, 0x80, v0
	v_cmp_gt_u32_e64 s1, 64, v0
	s_wait_kmcnt 0x0
	s_add_nc_u64 s[10:11], s[10:11], s[6:7]
	v_cmp_gt_i32_e64 s7, 32, v7
	s_load_b32 s15, s[10:11], 0x0
	v_add_nc_u64_e32 v[4:5], s[8:9], v[2:3]
	v_mul_lo_u32 v2, s13, v1
	v_dual_mov_b32 v15, v3 :: v_dual_bitop2_b32 v1, 1, v6 bitop3:0x14
	v_cndmask_b32_e64 v7, v6, v7, s7
	v_cmp_gt_i32_e64 s7, 32, v8
	s_wait_xcnt 0x0
	s_mul_u64 s[10:11], s[24:25], s[24:25]
	v_cmp_gt_u32_e64 s2, 32, v0
	v_cmp_gt_u32_e64 s3, 16, v0
	;; [unrolled: 1-line block ×3, first 2 shown]
	v_cndmask_b32_e64 v8, v6, v8, s7
	v_cmp_gt_i32_e64 s7, 32, v1
	v_lshlrev_b32_e32 v23, 2, v7
	v_cmp_gt_u32_e64 s5, 4, v0
	v_cmp_gt_u32_e64 s6, 2, v0
	s_delay_alu instid0(VALU_DEP_4)
	v_dual_cndmask_b32 v1, v6, v1, s7 :: v_dual_bitop2_b32 v10, 24, v19 bitop3:0x54
	v_lshlrev_b32_e32 v24, 2, v8
	v_mul_lo_u32 v8, v19, s13
	s_wait_kmcnt 0x0
	s_sub_co_i32 s26, s15, s18
	s_cmp_lg_u32 s28, 0
	v_lshlrev_b32_e32 v25, 2, v1
	s_cselect_b32 s15, -1, 0
	s_abs_i32 s19, s13
	v_dual_mov_b32 v9, v3 :: v_dual_bitop2_b32 v1, 8, v19 bitop3:0x54
	s_cvt_f32_u32 s24, s19
	v_lshl_add_u64 v[6:7], v[2:3], 2, s[8:9]
	v_cmp_gt_u32_e64 s8, s13, v19
	s_delay_alu instid0(VALU_DEP_3)
	v_cmp_gt_u32_e64 s9, s13, v1
	v_rcp_iflag_f32_e32 v1, s24
	s_lshl_b32 s24, s13, 3
	v_or_b32_e32 v2, 16, v19
	v_cmp_eq_u32_e64 s7, 0, v0
	v_add_nc_u32_e32 v0, s24, v8
	s_and_b32 s28, vcc_lo, s8
	s_and_b32 s29, vcc_lo, s9
	v_readfirstlane_b32 s27, v1
	v_cmp_gt_u32_e64 s8, s13, v2
	v_mov_b32_e32 v1, v3
	v_cmp_gt_u32_e64 s9, s13, v10
	v_dual_mov_b32 v11, v3 :: v_dual_add_nc_u32 v10, s24, v0
	s_mul_f32 s27, s27, 0x4f7ffffe
	s_and_b32 s30, vcc_lo, s8
	v_add_nc_u64_e32 v[6:7], v[6:7], v[14:15]
	s_delay_alu instid0(VALU_DEP_2) | instskip(SKIP_3) | instid1(SALU_CYCLE_1)
	v_dual_mov_b32 v13, v3 :: v_dual_add_nc_u32 v12, s24, v10
	s_cvt_u32_f32 s8, s27
	s_sub_co_i32 s24, 0, s19
	v_dual_mov_b32 v28, 1 :: v_dual_add_nc_u32 v27, v14, v20
	s_mul_i32 s24, s24, s8
	v_mov_b32_e32 v16, 0
	s_mul_hi_u32 s24, s8, s24
	s_and_b32 s9, vcc_lo, s9
	s_ashr_i32 s31, s13, 31
	s_add_co_i32 s24, s8, s24
	s_branch .LBB42_7
.LBB42_6:                               ;   in Loop: Header=BB42_7 Depth=1
	s_or_b32 exec_lo, exec_lo, s27
	s_wait_dscnt 0x0
	s_barrier_signal -1
	s_barrier_wait -1
	ds_load_b32 v16, v3
	s_add_co_i32 s26, s8, s26
	s_wait_dscnt 0x0
	s_barrier_signal -1
	s_barrier_wait -1
	v_cmp_gt_i32_e32 vcc_lo, s12, v16
	s_cbranch_vccz .LBB42_53
.LBB42_7:                               ; =>This Loop Header: Depth=1
                                        ;     Child Loop BB42_10 Depth 2
	v_dual_mov_b32 v29, s12 :: v_dual_add_nc_u32 v14, v26, v19
	v_mov_b32_e32 v15, v18
	s_mov_b32 s27, exec_lo
	ds_store_b8 v3, v3 offset:4096
	ds_store_2addr_b32 v27, v3, v3 offset1:8
	ds_store_2addr_b32 v27, v3, v3 offset0:16 offset1:24
	s_wait_dscnt 0x0
	s_barrier_signal -1
	s_barrier_wait -1
	v_cmpx_lt_i32_e64 v14, v18
	s_cbranch_execz .LBB42_15
; %bb.8:                                ;   in Loop: Header=BB42_7 Depth=1
	v_mul_lo_u32 v17, v16, s13
	v_dual_mov_b32 v29, s12 :: v_dual_mov_b32 v15, v18
	s_mov_b32 s33, 0
	s_branch .LBB42_10
.LBB42_9:                               ;   in Loop: Header=BB42_10 Depth=2
	s_wait_xcnt 0x0
	s_or_b32 exec_lo, exec_lo, s8
	v_add_nc_u32_e32 v14, 8, v14
	s_xor_b32 s34, vcc_lo, -1
	s_delay_alu instid0(VALU_DEP_1) | instskip(SKIP_1) | instid1(SALU_CYCLE_1)
	v_cmp_ge_i32_e64 s8, v14, v18
	s_or_b32 s8, s34, s8
	s_and_b32 s8, exec_lo, s8
	s_delay_alu instid0(SALU_CYCLE_1) | instskip(NEXT) | instid1(SALU_CYCLE_1)
	s_or_b32 s33, s8, s33
	s_and_not1_b32 exec_lo, exec_lo, s33
	s_cbranch_execz .LBB42_14
.LBB42_10:                              ;   Parent Loop BB42_7 Depth=1
                                        ; =>  This Inner Loop Header: Depth=2
	global_load_b32 v2, v14, s[16:17] scale_offset
	s_wait_loadcnt 0x0
	v_subrev_nc_u32_e32 v26, s14, v2
	s_delay_alu instid0(VALU_DEP_1) | instskip(NEXT) | instid1(VALU_DEP_1)
	v_sub_nc_u32_e32 v2, 0, v26
	v_max_i32_e32 v2, v26, v2
	s_delay_alu instid0(VALU_DEP_1) | instskip(NEXT) | instid1(VALU_DEP_1)
	v_mul_u64_e32 v[30:31], s[24:25], v[2:3]
	v_mul_lo_u32 v30, v31, s19
	s_delay_alu instid0(VALU_DEP_1) | instskip(NEXT) | instid1(VALU_DEP_1)
	v_dual_sub_nc_u32 v2, v2, v30 :: v_dual_add_nc_u32 v30, 1, v31
	v_cmp_le_u32_e32 vcc_lo, s19, v2
	s_delay_alu instid0(VALU_DEP_2) | instskip(SKIP_1) | instid1(VALU_DEP_1)
	v_cndmask_b32_e32 v30, v31, v30, vcc_lo
	v_subrev_nc_u32_e32 v32, s19, v2
	v_dual_cndmask_b32 v2, v2, v32 :: v_dual_ashrrev_i32 v31, 31, v26
	s_delay_alu instid0(VALU_DEP_1) | instskip(NEXT) | instid1(VALU_DEP_2)
	v_dual_add_nc_u32 v32, 1, v30 :: v_dual_bitop2_b32 v31, s31, v31 bitop3:0x14
	v_cmp_le_u32_e32 vcc_lo, s19, v2
	s_delay_alu instid0(VALU_DEP_2) | instskip(NEXT) | instid1(VALU_DEP_1)
	v_cndmask_b32_e32 v2, v30, v32, vcc_lo
	v_xor_b32_e32 v2, v2, v31
	s_delay_alu instid0(VALU_DEP_1) | instskip(NEXT) | instid1(VALU_DEP_1)
	v_dual_sub_nc_u32 v30, v2, v31 :: v_dual_mov_b32 v2, v15
	v_cmp_ne_u32_e64 s8, v30, v16
	v_cmp_eq_u32_e32 vcc_lo, v30, v16
	s_wait_xcnt 0x0
	s_and_saveexec_b32 s34, s8
	s_delay_alu instid0(SALU_CYCLE_1)
	s_xor_b32 s8, exec_lo, s34
; %bb.11:                               ;   in Loop: Header=BB42_10 Depth=2
	v_min_i32_e32 v29, v30, v29
                                        ; implicit-def: $vgpr26
                                        ; implicit-def: $vgpr2
; %bb.12:                               ;   in Loop: Header=BB42_10 Depth=2
	s_or_saveexec_b32 s8, s8
	v_mov_b32_e32 v15, v14
	s_xor_b32 exec_lo, exec_lo, s8
	s_cbranch_execz .LBB42_9
; %bb.13:                               ;   in Loop: Header=BB42_10 Depth=2
	v_ashrrev_i32_e32 v15, 31, v14
	s_delay_alu instid0(VALU_DEP_1)
	v_lshl_add_u64 v[30:31], v[14:15], 2, s[22:23]
	v_sub_nc_u32_e32 v15, v26, v17
	global_load_b32 v30, v[30:31], off
	v_lshl_add_u32 v26, v15, 2, v20
	v_mov_b32_e32 v15, v2
	ds_store_b8 v3, v28 offset:4096
	s_wait_loadcnt 0x0
	ds_store_b32 v26, v30
	s_branch .LBB42_9
.LBB42_14:                              ;   in Loop: Header=BB42_7 Depth=1
	s_or_b32 exec_lo, exec_lo, s33
.LBB42_15:                              ;   in Loop: Header=BB42_7 Depth=1
	s_delay_alu instid0(SALU_CYCLE_1)
	s_or_b32 exec_lo, exec_lo, s27
	ds_bpermute_b32 v2, v23, v15
	s_wait_dscnt 0x0
	s_barrier_signal -1
	s_barrier_wait -1
	s_mov_b32 s8, 0
	v_min_i32_e32 v2, v2, v15
	ds_load_u8 v15, v3 offset:4096
	ds_bpermute_b32 v14, v24, v2
	s_wait_dscnt 0x0
	v_min_i32_e32 v2, v14, v2
	ds_bpermute_b32 v14, v25, v2
	s_wait_dscnt 0x0
	v_min_i32_e32 v2, v14, v2
	ds_bpermute_b32 v26, v22, v2
	v_and_b32_e32 v2, 1, v15
	s_delay_alu instid0(VALU_DEP_1)
	v_cmp_eq_u32_e32 vcc_lo, 0, v2
	s_cbranch_vccnz .LBB42_33
; %bb.16:                               ;   in Loop: Header=BB42_7 Depth=1
	s_ashr_i32 s27, s26, 31
	v_dual_add_nc_u32 v2, s18, v16 :: v_dual_mov_b32 v30, s26
	s_mul_u64 s[34:35], s[10:11], s[26:27]
	s_delay_alu instid0(SALU_CYCLE_1) | instskip(NEXT) | instid1(SALU_CYCLE_1)
	s_lshl_b64 s[34:35], s[34:35], 2
	v_add_nc_u64_e32 v[16:17], s[34:35], v[4:5]
	v_add_nc_u64_e32 v[14:15], s[34:35], v[6:7]
	global_store_b32 v30, v2, s[20:21] scale_offset
	s_wait_xcnt 0x0
	s_and_saveexec_b32 s8, s28
	s_cbranch_execz .LBB42_20
; %bb.17:                               ;   in Loop: Header=BB42_7 Depth=1
	ds_load_b32 v2, v27
	s_and_b32 vcc_lo, exec_lo, s15
	s_cbranch_vccz .LBB42_49
; %bb.18:                               ;   in Loop: Header=BB42_7 Depth=1
	v_lshl_add_u64 v[30:31], v[8:9], 2, v[16:17]
	s_wait_dscnt 0x0
	global_store_b32 v[30:31], v2, off
	s_cbranch_execnz .LBB42_20
.LBB42_19:                              ;   in Loop: Header=BB42_7 Depth=1
	s_wait_dscnt 0x0
	global_store_b32 v[14:15], v2, off
.LBB42_20:                              ;   in Loop: Header=BB42_7 Depth=1
	s_wait_xcnt 0x0
	s_or_b32 exec_lo, exec_lo, s8
	s_and_saveexec_b32 s8, s29
	s_cbranch_execz .LBB42_24
; %bb.21:                               ;   in Loop: Header=BB42_7 Depth=1
	s_wait_dscnt 0x0
	ds_load_b32 v2, v27 offset:32
	s_and_not1_b32 vcc_lo, exec_lo, s15
	s_cbranch_vccnz .LBB42_50
; %bb.22:                               ;   in Loop: Header=BB42_7 Depth=1
	v_lshl_add_u64 v[30:31], v[0:1], 2, v[16:17]
	s_wait_dscnt 0x0
	global_store_b32 v[30:31], v2, off
	s_cbranch_execnz .LBB42_24
.LBB42_23:                              ;   in Loop: Header=BB42_7 Depth=1
	s_wait_dscnt 0x0
	global_store_b32 v[14:15], v2, off offset:32
.LBB42_24:                              ;   in Loop: Header=BB42_7 Depth=1
	s_wait_xcnt 0x0
	s_or_b32 exec_lo, exec_lo, s8
	s_and_saveexec_b32 s8, s30
	s_cbranch_execz .LBB42_28
; %bb.25:                               ;   in Loop: Header=BB42_7 Depth=1
	s_wait_dscnt 0x0
	ds_load_b32 v2, v27 offset:64
	s_and_not1_b32 vcc_lo, exec_lo, s15
	s_cbranch_vccnz .LBB42_51
; %bb.26:                               ;   in Loop: Header=BB42_7 Depth=1
	v_lshl_add_u64 v[30:31], v[10:11], 2, v[16:17]
	s_wait_dscnt 0x0
	global_store_b32 v[30:31], v2, off
	s_cbranch_execnz .LBB42_28
.LBB42_27:                              ;   in Loop: Header=BB42_7 Depth=1
	s_wait_dscnt 0x0
	global_store_b32 v[14:15], v2, off offset:64
.LBB42_28:                              ;   in Loop: Header=BB42_7 Depth=1
	s_wait_xcnt 0x0
	s_or_b32 exec_lo, exec_lo, s8
	s_and_saveexec_b32 s8, s9
	s_cbranch_execz .LBB42_32
; %bb.29:                               ;   in Loop: Header=BB42_7 Depth=1
	s_wait_dscnt 0x0
	ds_load_b32 v2, v27 offset:96
	s_and_not1_b32 vcc_lo, exec_lo, s15
	s_cbranch_vccnz .LBB42_52
; %bb.30:                               ;   in Loop: Header=BB42_7 Depth=1
	v_lshl_add_u64 v[16:17], v[12:13], 2, v[16:17]
	s_wait_dscnt 0x0
	global_store_b32 v[16:17], v2, off
	s_cbranch_execnz .LBB42_32
.LBB42_31:                              ;   in Loop: Header=BB42_7 Depth=1
	s_wait_dscnt 0x0
	global_store_b32 v[14:15], v2, off offset:96
.LBB42_32:                              ;   in Loop: Header=BB42_7 Depth=1
	s_wait_xcnt 0x0
	s_or_b32 exec_lo, exec_lo, s8
	s_mov_b32 s8, 1
.LBB42_33:                              ;   in Loop: Header=BB42_7 Depth=1
	s_wait_storecnt_dscnt 0x0
	s_barrier_signal -1
	s_barrier_wait -1
	ds_store_b32 v21, v29
	s_wait_dscnt 0x0
	s_barrier_signal -1
	s_barrier_wait -1
	s_and_saveexec_b32 s27, s0
	s_cbranch_execz .LBB42_35
; %bb.34:                               ;   in Loop: Header=BB42_7 Depth=1
	ds_load_2addr_stride64_b32 v[14:15], v21 offset1:2
	s_wait_dscnt 0x0
	v_min_i32_e32 v2, v15, v14
	ds_store_b32 v21, v2
.LBB42_35:                              ;   in Loop: Header=BB42_7 Depth=1
	s_or_b32 exec_lo, exec_lo, s27
	s_wait_dscnt 0x0
	s_barrier_signal -1
	s_barrier_wait -1
	s_and_saveexec_b32 s27, s1
	s_cbranch_execz .LBB42_37
; %bb.36:                               ;   in Loop: Header=BB42_7 Depth=1
	ds_load_2addr_stride64_b32 v[14:15], v21 offset1:1
	s_wait_dscnt 0x0
	v_min_i32_e32 v2, v15, v14
	ds_store_b32 v21, v2
.LBB42_37:                              ;   in Loop: Header=BB42_7 Depth=1
	s_or_b32 exec_lo, exec_lo, s27
	s_wait_dscnt 0x0
	s_barrier_signal -1
	s_barrier_wait -1
	s_and_saveexec_b32 s27, s2
	s_cbranch_execz .LBB42_39
; %bb.38:                               ;   in Loop: Header=BB42_7 Depth=1
	ds_load_2addr_b32 v[14:15], v21 offset1:32
	s_wait_dscnt 0x0
	v_min_i32_e32 v2, v15, v14
	ds_store_b32 v21, v2
.LBB42_39:                              ;   in Loop: Header=BB42_7 Depth=1
	s_or_b32 exec_lo, exec_lo, s27
	s_wait_dscnt 0x0
	s_barrier_signal -1
	s_barrier_wait -1
	s_and_saveexec_b32 s27, s3
	s_cbranch_execz .LBB42_41
; %bb.40:                               ;   in Loop: Header=BB42_7 Depth=1
	ds_load_2addr_b32 v[14:15], v21 offset1:16
	s_wait_dscnt 0x0
	v_min_i32_e32 v2, v15, v14
	ds_store_b32 v21, v2
.LBB42_41:                              ;   in Loop: Header=BB42_7 Depth=1
	;; [unrolled: 12-line block ×5, first 2 shown]
	s_or_b32 exec_lo, exec_lo, s27
	s_wait_dscnt 0x0
	s_barrier_signal -1
	s_barrier_wait -1
	s_and_saveexec_b32 s27, s7
	s_cbranch_execz .LBB42_6
; %bb.48:                               ;   in Loop: Header=BB42_7 Depth=1
	ds_load_b64 v[14:15], v3
	s_wait_dscnt 0x0
	v_min_i32_e32 v2, v15, v14
	ds_store_b32 v3, v2
	s_branch .LBB42_6
.LBB42_49:                              ;   in Loop: Header=BB42_7 Depth=1
	s_branch .LBB42_19
.LBB42_50:                              ;   in Loop: Header=BB42_7 Depth=1
	s_branch .LBB42_23
.LBB42_51:                              ;   in Loop: Header=BB42_7 Depth=1
	s_branch .LBB42_27
.LBB42_52:                              ;   in Loop: Header=BB42_7 Depth=1
	s_branch .LBB42_31
.LBB42_53:
	s_endpgm
	.section	.rodata,"a",@progbits
	.p2align	6, 0x0
	.amdhsa_kernel _ZN9rocsparseL38csr2bsr_block_per_row_multipass_kernelILj256ELj32EfiiEEv20rocsparse_direction_T3_S2_S2_S2_S2_21rocsparse_index_base_PKT1_PKT2_PKS2_S3_PS4_PS7_PS2_
		.amdhsa_group_segment_fixed_size 4100
		.amdhsa_private_segment_fixed_size 0
		.amdhsa_kernarg_size 88
		.amdhsa_user_sgpr_count 2
		.amdhsa_user_sgpr_dispatch_ptr 0
		.amdhsa_user_sgpr_queue_ptr 0
		.amdhsa_user_sgpr_kernarg_segment_ptr 1
		.amdhsa_user_sgpr_dispatch_id 0
		.amdhsa_user_sgpr_kernarg_preload_length 0
		.amdhsa_user_sgpr_kernarg_preload_offset 0
		.amdhsa_user_sgpr_private_segment_size 0
		.amdhsa_wavefront_size32 1
		.amdhsa_uses_dynamic_stack 0
		.amdhsa_enable_private_segment 0
		.amdhsa_system_sgpr_workgroup_id_x 1
		.amdhsa_system_sgpr_workgroup_id_y 0
		.amdhsa_system_sgpr_workgroup_id_z 0
		.amdhsa_system_sgpr_workgroup_info 0
		.amdhsa_system_vgpr_workitem_id 0
		.amdhsa_next_free_vgpr 33
		.amdhsa_next_free_sgpr 36
		.amdhsa_named_barrier_count 0
		.amdhsa_reserve_vcc 1
		.amdhsa_float_round_mode_32 0
		.amdhsa_float_round_mode_16_64 0
		.amdhsa_float_denorm_mode_32 3
		.amdhsa_float_denorm_mode_16_64 3
		.amdhsa_fp16_overflow 0
		.amdhsa_memory_ordered 1
		.amdhsa_forward_progress 1
		.amdhsa_inst_pref_size 17
		.amdhsa_round_robin_scheduling 0
		.amdhsa_exception_fp_ieee_invalid_op 0
		.amdhsa_exception_fp_denorm_src 0
		.amdhsa_exception_fp_ieee_div_zero 0
		.amdhsa_exception_fp_ieee_overflow 0
		.amdhsa_exception_fp_ieee_underflow 0
		.amdhsa_exception_fp_ieee_inexact 0
		.amdhsa_exception_int_div_zero 0
	.end_amdhsa_kernel
	.section	.text._ZN9rocsparseL38csr2bsr_block_per_row_multipass_kernelILj256ELj32EfiiEEv20rocsparse_direction_T3_S2_S2_S2_S2_21rocsparse_index_base_PKT1_PKT2_PKS2_S3_PS4_PS7_PS2_,"axG",@progbits,_ZN9rocsparseL38csr2bsr_block_per_row_multipass_kernelILj256ELj32EfiiEEv20rocsparse_direction_T3_S2_S2_S2_S2_21rocsparse_index_base_PKT1_PKT2_PKS2_S3_PS4_PS7_PS2_,comdat
.Lfunc_end42:
	.size	_ZN9rocsparseL38csr2bsr_block_per_row_multipass_kernelILj256ELj32EfiiEEv20rocsparse_direction_T3_S2_S2_S2_S2_21rocsparse_index_base_PKT1_PKT2_PKS2_S3_PS4_PS7_PS2_, .Lfunc_end42-_ZN9rocsparseL38csr2bsr_block_per_row_multipass_kernelILj256ELj32EfiiEEv20rocsparse_direction_T3_S2_S2_S2_S2_21rocsparse_index_base_PKT1_PKT2_PKS2_S3_PS4_PS7_PS2_
                                        ; -- End function
	.set _ZN9rocsparseL38csr2bsr_block_per_row_multipass_kernelILj256ELj32EfiiEEv20rocsparse_direction_T3_S2_S2_S2_S2_21rocsparse_index_base_PKT1_PKT2_PKS2_S3_PS4_PS7_PS2_.num_vgpr, 33
	.set _ZN9rocsparseL38csr2bsr_block_per_row_multipass_kernelILj256ELj32EfiiEEv20rocsparse_direction_T3_S2_S2_S2_S2_21rocsparse_index_base_PKT1_PKT2_PKS2_S3_PS4_PS7_PS2_.num_agpr, 0
	.set _ZN9rocsparseL38csr2bsr_block_per_row_multipass_kernelILj256ELj32EfiiEEv20rocsparse_direction_T3_S2_S2_S2_S2_21rocsparse_index_base_PKT1_PKT2_PKS2_S3_PS4_PS7_PS2_.numbered_sgpr, 36
	.set _ZN9rocsparseL38csr2bsr_block_per_row_multipass_kernelILj256ELj32EfiiEEv20rocsparse_direction_T3_S2_S2_S2_S2_21rocsparse_index_base_PKT1_PKT2_PKS2_S3_PS4_PS7_PS2_.num_named_barrier, 0
	.set _ZN9rocsparseL38csr2bsr_block_per_row_multipass_kernelILj256ELj32EfiiEEv20rocsparse_direction_T3_S2_S2_S2_S2_21rocsparse_index_base_PKT1_PKT2_PKS2_S3_PS4_PS7_PS2_.private_seg_size, 0
	.set _ZN9rocsparseL38csr2bsr_block_per_row_multipass_kernelILj256ELj32EfiiEEv20rocsparse_direction_T3_S2_S2_S2_S2_21rocsparse_index_base_PKT1_PKT2_PKS2_S3_PS4_PS7_PS2_.uses_vcc, 1
	.set _ZN9rocsparseL38csr2bsr_block_per_row_multipass_kernelILj256ELj32EfiiEEv20rocsparse_direction_T3_S2_S2_S2_S2_21rocsparse_index_base_PKT1_PKT2_PKS2_S3_PS4_PS7_PS2_.uses_flat_scratch, 0
	.set _ZN9rocsparseL38csr2bsr_block_per_row_multipass_kernelILj256ELj32EfiiEEv20rocsparse_direction_T3_S2_S2_S2_S2_21rocsparse_index_base_PKT1_PKT2_PKS2_S3_PS4_PS7_PS2_.has_dyn_sized_stack, 0
	.set _ZN9rocsparseL38csr2bsr_block_per_row_multipass_kernelILj256ELj32EfiiEEv20rocsparse_direction_T3_S2_S2_S2_S2_21rocsparse_index_base_PKT1_PKT2_PKS2_S3_PS4_PS7_PS2_.has_recursion, 0
	.set _ZN9rocsparseL38csr2bsr_block_per_row_multipass_kernelILj256ELj32EfiiEEv20rocsparse_direction_T3_S2_S2_S2_S2_21rocsparse_index_base_PKT1_PKT2_PKS2_S3_PS4_PS7_PS2_.has_indirect_call, 0
	.section	.AMDGPU.csdata,"",@progbits
; Kernel info:
; codeLenInByte = 2052
; TotalNumSgprs: 38
; NumVgprs: 33
; ScratchSize: 0
; MemoryBound: 0
; FloatMode: 240
; IeeeMode: 1
; LDSByteSize: 4100 bytes/workgroup (compile time only)
; SGPRBlocks: 0
; VGPRBlocks: 2
; NumSGPRsForWavesPerEU: 38
; NumVGPRsForWavesPerEU: 33
; NamedBarCnt: 0
; Occupancy: 16
; WaveLimiterHint : 0
; COMPUTE_PGM_RSRC2:SCRATCH_EN: 0
; COMPUTE_PGM_RSRC2:USER_SGPR: 2
; COMPUTE_PGM_RSRC2:TRAP_HANDLER: 0
; COMPUTE_PGM_RSRC2:TGID_X_EN: 1
; COMPUTE_PGM_RSRC2:TGID_Y_EN: 0
; COMPUTE_PGM_RSRC2:TGID_Z_EN: 0
; COMPUTE_PGM_RSRC2:TIDIG_COMP_CNT: 0
	.section	.text._ZN9rocsparseL38csr2bsr_block_per_row_multipass_kernelILj256ELj64EfiiEEv20rocsparse_direction_T3_S2_S2_S2_S2_21rocsparse_index_base_PKT1_PKT2_PKS2_S3_PS4_PS7_PS2_,"axG",@progbits,_ZN9rocsparseL38csr2bsr_block_per_row_multipass_kernelILj256ELj64EfiiEEv20rocsparse_direction_T3_S2_S2_S2_S2_21rocsparse_index_base_PKT1_PKT2_PKS2_S3_PS4_PS7_PS2_,comdat
	.globl	_ZN9rocsparseL38csr2bsr_block_per_row_multipass_kernelILj256ELj64EfiiEEv20rocsparse_direction_T3_S2_S2_S2_S2_21rocsparse_index_base_PKT1_PKT2_PKS2_S3_PS4_PS7_PS2_ ; -- Begin function _ZN9rocsparseL38csr2bsr_block_per_row_multipass_kernelILj256ELj64EfiiEEv20rocsparse_direction_T3_S2_S2_S2_S2_21rocsparse_index_base_PKT1_PKT2_PKS2_S3_PS4_PS7_PS2_
	.p2align	8
	.type	_ZN9rocsparseL38csr2bsr_block_per_row_multipass_kernelILj256ELj64EfiiEEv20rocsparse_direction_T3_S2_S2_S2_S2_21rocsparse_index_base_PKT1_PKT2_PKS2_S3_PS4_PS7_PS2_,@function
_ZN9rocsparseL38csr2bsr_block_per_row_multipass_kernelILj256ELj64EfiiEEv20rocsparse_direction_T3_S2_S2_S2_S2_21rocsparse_index_base_PKT1_PKT2_PKS2_S3_PS4_PS7_PS2_: ; @_ZN9rocsparseL38csr2bsr_block_per_row_multipass_kernelILj256ELj64EfiiEEv20rocsparse_direction_T3_S2_S2_S2_S2_21rocsparse_index_base_PKT1_PKT2_PKS2_S3_PS4_PS7_PS2_
; %bb.0:
	s_clause 0x1
	s_load_b96 s[16:18], s[0:1], 0x10
	s_load_b64 s[28:29], s[0:1], 0x0
	s_bfe_u32 s2, ttmp6, 0x4000c
	s_and_b32 s3, ttmp6, 15
	s_add_co_i32 s2, s2, 1
	s_getreg_b32 s4, hwreg(HW_REG_IB_STS2, 6, 4)
	s_mul_i32 s2, ttmp9, s2
	v_dual_lshrrev_b32 v4, 2, v0 :: v_dual_mov_b32 v42, 0
	s_add_co_i32 s3, s3, s2
	s_cmp_eq_u32 s4, 0
	s_load_b64 s[4:5], s[0:1], 0x28
	s_cselect_b32 s6, ttmp9, s3
	v_mov_b32_e32 v49, 0
	s_wait_kmcnt 0x0
	v_mad_u32 v1, s17, s6, v4
	v_cmp_gt_i32_e32 vcc_lo, s17, v4
	s_delay_alu instid0(VALU_DEP_2) | instskip(SKIP_1) | instid1(SALU_CYCLE_1)
	v_cmp_gt_i32_e64 s2, s29, v1
	s_and_b32 s2, vcc_lo, s2
	s_and_saveexec_b32 s3, s2
	s_cbranch_execnz .LBB43_3
; %bb.1:
	s_or_b32 exec_lo, exec_lo, s3
	s_and_saveexec_b32 s3, s2
	s_cbranch_execnz .LBB43_4
.LBB43_2:
	s_or_b32 exec_lo, exec_lo, s3
	s_cmp_lt_i32 s16, 1
	s_cbranch_scc0 .LBB43_5
	s_branch .LBB43_113
.LBB43_3:
	global_load_b32 v2, v1, s[4:5] scale_offset
	s_wait_loadcnt 0x0
	v_subrev_nc_u32_e32 v49, s18, v2
	s_or_b32 exec_lo, exec_lo, s3
	s_and_saveexec_b32 s3, s2
	s_cbranch_execz .LBB43_2
.LBB43_4:
	global_load_b32 v1, v1, s[4:5] offset:4 scale_offset
	s_wait_loadcnt 0x0
	v_subrev_nc_u32_e32 v42, s18, v1
	s_or_b32 exec_lo, exec_lo, s3
	s_cmp_lt_i32 s16, 1
	s_cbranch_scc1 .LBB43_113
.LBB43_5:
	s_clause 0x3
	s_load_b128 s[12:15], s[0:1], 0x40
	s_load_b64 s[10:11], s[0:1], 0x50
	s_load_b96 s[20:22], s[0:1], 0x30
	s_load_b64 s[24:25], s[0:1], 0x20
	s_ashr_i32 s7, s6, 31
	v_mbcnt_lo_u32_b32 v5, -1, 0
	s_lshl_b64 s[6:7], s[6:7], 2
	v_dual_mov_b32 v3, 0 :: v_dual_bitop2_b32 v43, 3, v0 bitop3:0x40
	v_dual_lshlrev_b32 v44, 8, v4 :: v_dual_lshlrev_b32 v2, 2, v4
	s_delay_alu instid0(VALU_DEP_3) | instskip(NEXT) | instid1(VALU_DEP_3)
	v_dual_lshlrev_b32 v45, 2, v0 :: v_dual_bitop2_b32 v6, 2, v5 bitop3:0x14
	v_lshlrev_b32_e32 v38, 2, v43
	s_wait_xcnt 0x0
	v_cmp_gt_u32_e64 s0, 0x80, v0
	v_cmp_gt_u32_e64 s1, 64, v0
	;; [unrolled: 1-line block ×6, first 2 shown]
	s_wait_kmcnt 0x0
	s_add_nc_u64 s[8:9], s[14:15], s[6:7]
	v_cmp_gt_u32_e64 s6, 2, v0
	s_load_b32 s19, s[8:9], 0x0
	v_cmp_eq_u32_e64 s7, 0, v0
	v_add_nc_u64_e32 v[0:1], s[12:13], v[2:3]
	v_mul_lo_u32 v2, s17, v4
	v_mov_b32_e32 v39, v3
	s_wait_xcnt 0x0
	v_cmp_gt_i32_e64 s9, 32, v6
	v_xor_b32_e32 v4, 1, v5
	v_lshl_or_b32 v46, v5, 2, 12
	v_cmp_gt_u32_e64 s8, s17, v43
	s_delay_alu instid0(VALU_DEP_4) | instskip(NEXT) | instid1(VALU_DEP_4)
	v_dual_mov_b32 v13, v3 :: v_dual_cndmask_b32 v8, v5, v6, s9
	v_cmp_gt_i32_e64 s9, 32, v4
	v_dual_mov_b32 v17, v3 :: v_dual_bitop2_b32 v9, 4, v43 bitop3:0x54
	v_or_b32_e32 v20, 32, v43
	v_lshl_add_u64 v[6:7], v[2:3], 2, s[12:13]
	s_delay_alu instid0(VALU_DEP_4)
	v_cndmask_b32_e64 v5, v5, v4, s9
	v_mul_lo_u32 v4, v43, s17
	v_dual_lshlrev_b32 v47, 2, v8 :: v_dual_bitop2_b32 v2, 8, v43 bitop3:0x54
	s_wait_kmcnt 0x0
	s_sub_co_i32 s12, s19, s22
	s_cmp_lg_u32 s28, 0
	v_lshlrev_b32_e32 v48, 2, v5
	s_cselect_b32 s19, -1, 0
	s_lshl_b32 s13, s17, 2
	v_mov_b32_e32 v5, v3
	v_cmp_gt_u32_e64 s9, s17, v2
	v_dual_add_nc_u32 v8, s13, v4 :: v_dual_bitop2_b32 v2, 12, v43 bitop3:0x54
	s_and_b32 s23, vcc_lo, s8
	v_cmp_gt_u32_e64 s8, s17, v9
	v_dual_mov_b32 v9, v3 :: v_dual_mov_b32 v11, v3
	s_delay_alu instid0(VALU_DEP_3) | instskip(SKIP_2) | instid1(VALU_DEP_2)
	v_dual_add_nc_u32 v10, s13, v8 :: v_dual_bitop2_b32 v14, 20, v43 bitop3:0x54
	s_and_b32 s28, vcc_lo, s8
	v_cmp_gt_u32_e64 s8, s17, v2
	v_dual_add_nc_u32 v12, s13, v10 :: v_dual_bitop2_b32 v2, 16, v43 bitop3:0x54
	s_and_b32 s29, vcc_lo, s9
	v_cmp_gt_u32_e64 s9, s17, v14
	s_and_b32 s30, vcc_lo, s8
	v_cmp_gt_u32_e64 s8, s17, v2
	v_dual_add_nc_u32 v14, s13, v12 :: v_dual_bitop2_b32 v2, 24, v43 bitop3:0x54
	v_mov_b32_e32 v15, v3
	s_and_b32 s33, vcc_lo, s9
	s_and_b32 s31, vcc_lo, s8
	s_delay_alu instid0(VALU_DEP_2)
	v_cmp_gt_u32_e64 s8, s17, v2
	v_dual_add_nc_u32 v16, s13, v14 :: v_dual_bitop2_b32 v2, 28, v43 bitop3:0x54
	v_mov_b32_e32 v19, v3
	v_cmp_gt_u32_e64 s9, s17, v20
	s_and_b32 s34, vcc_lo, s8
	v_cmp_gt_u32_e64 s8, s17, v2
	v_dual_add_nc_u32 v18, s13, v16 :: v_dual_bitop2_b32 v2, 36, v43 bitop3:0x54
	v_dual_mov_b32 v21, v3 :: v_dual_mov_b32 v25, v3
	s_and_b32 s35, vcc_lo, s8
	s_delay_alu instid0(VALU_DEP_2) | instskip(NEXT) | instid1(VALU_DEP_3)
	v_add_nc_u32_e32 v20, s13, v18
	v_cmp_gt_u32_e64 s8, s17, v2
	v_dual_mov_b32 v23, v3 :: v_dual_bitop2_b32 v2, 40, v43 bitop3:0x54
	s_and_b32 s36, vcc_lo, s9
	v_dual_add_nc_u32 v22, s13, v20 :: v_dual_bitop2_b32 v26, 44, v43 bitop3:0x54
	s_and_b32 s37, vcc_lo, s8
	s_delay_alu instid0(VALU_DEP_2) | instskip(NEXT) | instid1(VALU_DEP_2)
	v_cmp_gt_u32_e64 s8, s17, v2
	v_dual_add_nc_u32 v24, s13, v22 :: v_dual_bitop2_b32 v2, 48, v43 bitop3:0x54
	s_delay_alu instid0(VALU_DEP_3)
	v_cmp_gt_u32_e64 s9, s17, v26
	s_abs_i32 s40, s17
	s_and_b32 s38, vcc_lo, s8
	v_dual_mov_b32 v27, v3 :: v_dual_add_nc_u32 v26, s13, v24
	v_cmp_gt_u32_e64 s8, s17, v2
	v_or_b32_e32 v2, 52, v43
	s_and_b32 s39, vcc_lo, s9
	s_cvt_f32_u32 s9, s40
	v_add_nc_u32_e32 v28, s13, v26
	s_and_b32 s41, vcc_lo, s8
	v_cmp_gt_u32_e64 s8, s17, v2
	v_rcp_iflag_f32_e32 v2, s9
	s_delay_alu instid0(VALU_DEP_2) | instskip(SKIP_4) | instid1(TRANS32_DEP_1)
	v_dual_mov_b32 v29, v3 :: v_dual_add_nc_u32 v30, s13, v28
	s_mov_b32 s27, 0
	s_mov_b32 s26, s17
	v_dual_mov_b32 v31, v3 :: v_dual_bitop2_b32 v33, 56, v43 bitop3:0x54
	s_mul_u64 s[14:15], s[26:27], s[26:27]
	v_readfirstlane_b32 s26, v2
	v_dual_add_nc_u32 v32, s13, v30 :: v_dual_bitop2_b32 v34, 60, v43 bitop3:0x54
	s_and_b32 s42, vcc_lo, s8
	v_cmp_gt_u32_e64 s8, s17, v33
	s_mul_f32 s26, s26, 0x4f7ffffe
	v_mov_b32_e32 v33, v3
	v_cmp_gt_u32_e64 s9, s17, v34
	v_add_nc_u32_e32 v34, s13, v32
	s_and_b32 s43, vcc_lo, s8
	s_cvt_u32_f32 s8, s26
	v_mov_b32_e32 v35, v3
	v_add_nc_u64_e32 v[6:7], v[6:7], v[38:39]
	v_add_nc_u32_e32 v36, s13, v34
	s_sub_co_i32 s13, 0, s40
	v_dual_mov_b32 v37, v3 :: v_dual_add_nc_u32 v50, v38, v44
	s_mul_i32 s13, s13, s8
	v_dual_mov_b32 v51, 1 :: v_dual_mov_b32 v40, 0
	s_mul_hi_u32 s13, s8, s13
	s_and_b32 s9, vcc_lo, s9
	s_ashr_i32 s44, s17, 31
	s_add_co_i32 s26, s8, s13
	s_branch .LBB43_7
.LBB43_6:                               ;   in Loop: Header=BB43_7 Depth=1
	s_or_b32 exec_lo, exec_lo, s13
	s_wait_dscnt 0x0
	s_barrier_signal -1
	s_barrier_wait -1
	ds_load_b32 v40, v3
	s_add_co_i32 s12, s8, s12
	s_wait_dscnt 0x0
	s_barrier_signal -1
	s_barrier_wait -1
	v_cmp_gt_i32_e32 vcc_lo, s16, v40
	s_cbranch_vccz .LBB43_113
.LBB43_7:                               ; =>This Loop Header: Depth=1
                                        ;     Child Loop BB43_10 Depth 2
	v_dual_add_nc_u32 v38, v49, v43 :: v_dual_mov_b32 v52, s16
	v_mov_b32_e32 v39, v42
	s_mov_b32 s13, exec_lo
	ds_store_b8 v3, v3 offset:16384
	ds_store_2addr_b32 v50, v3, v3 offset1:4
	ds_store_2addr_b32 v50, v3, v3 offset0:8 offset1:12
	ds_store_2addr_b32 v50, v3, v3 offset0:16 offset1:20
	;; [unrolled: 1-line block ×7, first 2 shown]
	s_wait_dscnt 0x0
	s_barrier_signal -1
	s_barrier_wait -1
	v_cmpx_lt_i32_e64 v38, v42
	s_cbranch_execz .LBB43_15
; %bb.8:                                ;   in Loop: Header=BB43_7 Depth=1
	v_mul_lo_u32 v41, v40, s17
	v_dual_mov_b32 v52, s16 :: v_dual_mov_b32 v39, v42
	s_mov_b32 s45, 0
	s_branch .LBB43_10
.LBB43_9:                               ;   in Loop: Header=BB43_10 Depth=2
	s_wait_xcnt 0x0
	s_or_b32 exec_lo, exec_lo, s8
	v_add_nc_u32_e32 v38, 4, v38
	s_xor_b32 s46, vcc_lo, -1
	s_delay_alu instid0(VALU_DEP_1) | instskip(SKIP_1) | instid1(SALU_CYCLE_1)
	v_cmp_ge_i32_e64 s8, v38, v42
	s_or_b32 s8, s46, s8
	s_and_b32 s8, exec_lo, s8
	s_delay_alu instid0(SALU_CYCLE_1) | instskip(NEXT) | instid1(SALU_CYCLE_1)
	s_or_b32 s45, s8, s45
	s_and_not1_b32 exec_lo, exec_lo, s45
	s_cbranch_execz .LBB43_14
.LBB43_10:                              ;   Parent Loop BB43_7 Depth=1
                                        ; =>  This Inner Loop Header: Depth=2
	global_load_b32 v2, v38, s[20:21] scale_offset
	s_wait_loadcnt 0x0
	v_subrev_nc_u32_e32 v49, s18, v2
	s_delay_alu instid0(VALU_DEP_1) | instskip(NEXT) | instid1(VALU_DEP_1)
	v_sub_nc_u32_e32 v2, 0, v49
	v_max_i32_e32 v2, v49, v2
	s_delay_alu instid0(VALU_DEP_1) | instskip(NEXT) | instid1(VALU_DEP_1)
	v_mul_u64_e32 v[54:55], s[26:27], v[2:3]
	v_mul_lo_u32 v53, v55, s40
	s_delay_alu instid0(VALU_DEP_1) | instskip(NEXT) | instid1(VALU_DEP_1)
	v_dual_sub_nc_u32 v2, v2, v53 :: v_dual_add_nc_u32 v53, 1, v55
	v_subrev_nc_u32_e32 v54, s40, v2
	v_cmp_le_u32_e32 vcc_lo, s40, v2
	s_delay_alu instid0(VALU_DEP_3) | instskip(NEXT) | instid1(VALU_DEP_3)
	v_cndmask_b32_e32 v53, v55, v53, vcc_lo
	v_dual_cndmask_b32 v2, v2, v54 :: v_dual_ashrrev_i32 v55, 31, v49
	s_delay_alu instid0(VALU_DEP_2) | instskip(NEXT) | instid1(VALU_DEP_2)
	v_add_nc_u32_e32 v54, 1, v53
	v_cmp_le_u32_e32 vcc_lo, s40, v2
	s_delay_alu instid0(VALU_DEP_2) | instskip(NEXT) | instid1(VALU_DEP_1)
	v_dual_cndmask_b32 v2, v53, v54, vcc_lo :: v_dual_bitop2_b32 v55, s44, v55 bitop3:0x14
	v_xor_b32_e32 v2, v2, v55
	s_delay_alu instid0(VALU_DEP_1) | instskip(NEXT) | instid1(VALU_DEP_1)
	v_dual_mov_b32 v2, v39 :: v_dual_sub_nc_u32 v53, v2, v55
	v_cmp_ne_u32_e64 s8, v53, v40
	v_cmp_eq_u32_e32 vcc_lo, v53, v40
	s_wait_xcnt 0x0
	s_and_saveexec_b32 s46, s8
	s_delay_alu instid0(SALU_CYCLE_1)
	s_xor_b32 s8, exec_lo, s46
; %bb.11:                               ;   in Loop: Header=BB43_10 Depth=2
	v_min_i32_e32 v52, v53, v52
                                        ; implicit-def: $vgpr49
                                        ; implicit-def: $vgpr2
; %bb.12:                               ;   in Loop: Header=BB43_10 Depth=2
	s_or_saveexec_b32 s8, s8
	v_mov_b32_e32 v39, v38
	s_xor_b32 exec_lo, exec_lo, s8
	s_cbranch_execz .LBB43_9
; %bb.13:                               ;   in Loop: Header=BB43_10 Depth=2
	v_ashrrev_i32_e32 v39, 31, v38
	s_delay_alu instid0(VALU_DEP_1)
	v_lshl_add_u64 v[54:55], v[38:39], 2, s[24:25]
	v_sub_nc_u32_e32 v39, v49, v41
	global_load_b32 v53, v[54:55], off
	v_lshl_add_u32 v49, v39, 2, v44
	v_mov_b32_e32 v39, v2
	ds_store_b8 v3, v51 offset:16384
	s_wait_loadcnt 0x0
	ds_store_b32 v49, v53
	s_branch .LBB43_9
.LBB43_14:                              ;   in Loop: Header=BB43_7 Depth=1
	s_or_b32 exec_lo, exec_lo, s45
.LBB43_15:                              ;   in Loop: Header=BB43_7 Depth=1
	s_delay_alu instid0(SALU_CYCLE_1)
	s_or_b32 exec_lo, exec_lo, s13
	ds_bpermute_b32 v2, v47, v39
	s_wait_dscnt 0x0
	s_barrier_signal -1
	s_barrier_wait -1
	s_mov_b32 s8, 0
	v_min_i32_e32 v2, v2, v39
	ds_load_u8 v39, v3 offset:16384
	ds_bpermute_b32 v38, v48, v2
	s_wait_dscnt 0x0
	v_min_i32_e32 v2, v38, v2
	ds_bpermute_b32 v49, v46, v2
	v_and_b32_e32 v2, 1, v39
	s_delay_alu instid0(VALU_DEP_1)
	v_cmp_eq_u32_e32 vcc_lo, 0, v2
	s_cbranch_vccnz .LBB43_81
; %bb.16:                               ;   in Loop: Header=BB43_7 Depth=1
	s_ashr_i32 s13, s12, 31
	v_dual_mov_b32 v53, s12 :: v_dual_add_nc_u32 v2, s22, v40
	s_mul_u64 s[46:47], s[14:15], s[12:13]
	s_delay_alu instid0(SALU_CYCLE_1) | instskip(NEXT) | instid1(SALU_CYCLE_1)
	s_lshl_b64 s[46:47], s[46:47], 2
	v_add_nc_u64_e32 v[40:41], s[46:47], v[0:1]
	v_add_nc_u64_e32 v[38:39], s[46:47], v[6:7]
	global_store_b32 v53, v2, s[10:11] scale_offset
	s_wait_xcnt 0x0
	s_and_saveexec_b32 s8, s23
	s_cbranch_execz .LBB43_20
; %bb.17:                               ;   in Loop: Header=BB43_7 Depth=1
	ds_load_b32 v2, v50
	s_and_b32 vcc_lo, exec_lo, s19
	s_cbranch_vccz .LBB43_97
; %bb.18:                               ;   in Loop: Header=BB43_7 Depth=1
	v_lshl_add_u64 v[54:55], v[4:5], 2, v[40:41]
	s_wait_dscnt 0x0
	global_store_b32 v[54:55], v2, off
	s_cbranch_execnz .LBB43_20
.LBB43_19:                              ;   in Loop: Header=BB43_7 Depth=1
	s_wait_dscnt 0x0
	global_store_b32 v[38:39], v2, off
.LBB43_20:                              ;   in Loop: Header=BB43_7 Depth=1
	s_wait_xcnt 0x0
	s_or_b32 exec_lo, exec_lo, s8
	s_and_saveexec_b32 s8, s28
	s_cbranch_execz .LBB43_24
; %bb.21:                               ;   in Loop: Header=BB43_7 Depth=1
	s_wait_dscnt 0x0
	ds_load_b32 v2, v50 offset:16
	s_and_not1_b32 vcc_lo, exec_lo, s19
	s_cbranch_vccnz .LBB43_98
; %bb.22:                               ;   in Loop: Header=BB43_7 Depth=1
	v_lshl_add_u64 v[54:55], v[8:9], 2, v[40:41]
	s_wait_dscnt 0x0
	global_store_b32 v[54:55], v2, off
	s_cbranch_execnz .LBB43_24
.LBB43_23:                              ;   in Loop: Header=BB43_7 Depth=1
	s_wait_dscnt 0x0
	global_store_b32 v[38:39], v2, off offset:16
.LBB43_24:                              ;   in Loop: Header=BB43_7 Depth=1
	s_wait_xcnt 0x0
	s_or_b32 exec_lo, exec_lo, s8
	s_and_saveexec_b32 s8, s29
	s_cbranch_execz .LBB43_28
; %bb.25:                               ;   in Loop: Header=BB43_7 Depth=1
	s_wait_dscnt 0x0
	ds_load_b32 v2, v50 offset:32
	s_and_not1_b32 vcc_lo, exec_lo, s19
	s_cbranch_vccnz .LBB43_99
; %bb.26:                               ;   in Loop: Header=BB43_7 Depth=1
	v_lshl_add_u64 v[54:55], v[10:11], 2, v[40:41]
	s_wait_dscnt 0x0
	global_store_b32 v[54:55], v2, off
	s_cbranch_execnz .LBB43_28
.LBB43_27:                              ;   in Loop: Header=BB43_7 Depth=1
	s_wait_dscnt 0x0
	global_store_b32 v[38:39], v2, off offset:32
.LBB43_28:                              ;   in Loop: Header=BB43_7 Depth=1
	s_wait_xcnt 0x0
	s_or_b32 exec_lo, exec_lo, s8
	s_and_saveexec_b32 s8, s30
	s_cbranch_execz .LBB43_32
; %bb.29:                               ;   in Loop: Header=BB43_7 Depth=1
	s_wait_dscnt 0x0
	ds_load_b32 v2, v50 offset:48
	s_and_not1_b32 vcc_lo, exec_lo, s19
	s_cbranch_vccnz .LBB43_100
; %bb.30:                               ;   in Loop: Header=BB43_7 Depth=1
	v_lshl_add_u64 v[54:55], v[12:13], 2, v[40:41]
	s_wait_dscnt 0x0
	global_store_b32 v[54:55], v2, off
	s_cbranch_execnz .LBB43_32
.LBB43_31:                              ;   in Loop: Header=BB43_7 Depth=1
	s_wait_dscnt 0x0
	global_store_b32 v[38:39], v2, off offset:48
.LBB43_32:                              ;   in Loop: Header=BB43_7 Depth=1
	s_wait_xcnt 0x0
	s_or_b32 exec_lo, exec_lo, s8
	s_and_saveexec_b32 s8, s31
	s_cbranch_execz .LBB43_36
; %bb.33:                               ;   in Loop: Header=BB43_7 Depth=1
	s_wait_dscnt 0x0
	ds_load_b32 v2, v50 offset:64
	s_and_not1_b32 vcc_lo, exec_lo, s19
	s_cbranch_vccnz .LBB43_101
; %bb.34:                               ;   in Loop: Header=BB43_7 Depth=1
	v_lshl_add_u64 v[54:55], v[14:15], 2, v[40:41]
	s_wait_dscnt 0x0
	global_store_b32 v[54:55], v2, off
	s_cbranch_execnz .LBB43_36
.LBB43_35:                              ;   in Loop: Header=BB43_7 Depth=1
	s_wait_dscnt 0x0
	global_store_b32 v[38:39], v2, off offset:64
.LBB43_36:                              ;   in Loop: Header=BB43_7 Depth=1
	s_wait_xcnt 0x0
	s_or_b32 exec_lo, exec_lo, s8
	s_and_saveexec_b32 s8, s33
	s_cbranch_execz .LBB43_40
; %bb.37:                               ;   in Loop: Header=BB43_7 Depth=1
	s_wait_dscnt 0x0
	ds_load_b32 v2, v50 offset:80
	s_and_not1_b32 vcc_lo, exec_lo, s19
	s_cbranch_vccnz .LBB43_102
; %bb.38:                               ;   in Loop: Header=BB43_7 Depth=1
	v_lshl_add_u64 v[54:55], v[16:17], 2, v[40:41]
	s_wait_dscnt 0x0
	global_store_b32 v[54:55], v2, off
	s_cbranch_execnz .LBB43_40
.LBB43_39:                              ;   in Loop: Header=BB43_7 Depth=1
	s_wait_dscnt 0x0
	global_store_b32 v[38:39], v2, off offset:80
.LBB43_40:                              ;   in Loop: Header=BB43_7 Depth=1
	s_wait_xcnt 0x0
	s_or_b32 exec_lo, exec_lo, s8
	s_and_saveexec_b32 s8, s34
	s_cbranch_execz .LBB43_44
; %bb.41:                               ;   in Loop: Header=BB43_7 Depth=1
	s_wait_dscnt 0x0
	ds_load_b32 v2, v50 offset:96
	s_and_not1_b32 vcc_lo, exec_lo, s19
	s_cbranch_vccnz .LBB43_103
; %bb.42:                               ;   in Loop: Header=BB43_7 Depth=1
	v_lshl_add_u64 v[54:55], v[18:19], 2, v[40:41]
	s_wait_dscnt 0x0
	global_store_b32 v[54:55], v2, off
	s_cbranch_execnz .LBB43_44
.LBB43_43:                              ;   in Loop: Header=BB43_7 Depth=1
	s_wait_dscnt 0x0
	global_store_b32 v[38:39], v2, off offset:96
.LBB43_44:                              ;   in Loop: Header=BB43_7 Depth=1
	s_wait_xcnt 0x0
	s_or_b32 exec_lo, exec_lo, s8
	s_and_saveexec_b32 s8, s35
	s_cbranch_execz .LBB43_48
; %bb.45:                               ;   in Loop: Header=BB43_7 Depth=1
	s_wait_dscnt 0x0
	ds_load_b32 v2, v50 offset:112
	s_and_not1_b32 vcc_lo, exec_lo, s19
	s_cbranch_vccnz .LBB43_104
; %bb.46:                               ;   in Loop: Header=BB43_7 Depth=1
	v_lshl_add_u64 v[54:55], v[20:21], 2, v[40:41]
	s_wait_dscnt 0x0
	global_store_b32 v[54:55], v2, off
	s_cbranch_execnz .LBB43_48
.LBB43_47:                              ;   in Loop: Header=BB43_7 Depth=1
	s_wait_dscnt 0x0
	global_store_b32 v[38:39], v2, off offset:112
.LBB43_48:                              ;   in Loop: Header=BB43_7 Depth=1
	s_wait_xcnt 0x0
	s_or_b32 exec_lo, exec_lo, s8
	s_and_saveexec_b32 s8, s36
	s_cbranch_execz .LBB43_52
; %bb.49:                               ;   in Loop: Header=BB43_7 Depth=1
	s_wait_dscnt 0x0
	ds_load_b32 v2, v50 offset:128
	s_and_not1_b32 vcc_lo, exec_lo, s19
	s_cbranch_vccnz .LBB43_105
; %bb.50:                               ;   in Loop: Header=BB43_7 Depth=1
	v_lshl_add_u64 v[54:55], v[22:23], 2, v[40:41]
	s_wait_dscnt 0x0
	global_store_b32 v[54:55], v2, off
	s_cbranch_execnz .LBB43_52
.LBB43_51:                              ;   in Loop: Header=BB43_7 Depth=1
	s_wait_dscnt 0x0
	global_store_b32 v[38:39], v2, off offset:128
.LBB43_52:                              ;   in Loop: Header=BB43_7 Depth=1
	s_wait_xcnt 0x0
	s_or_b32 exec_lo, exec_lo, s8
	s_and_saveexec_b32 s8, s37
	s_cbranch_execz .LBB43_56
; %bb.53:                               ;   in Loop: Header=BB43_7 Depth=1
	s_wait_dscnt 0x0
	ds_load_b32 v2, v50 offset:144
	s_and_not1_b32 vcc_lo, exec_lo, s19
	s_cbranch_vccnz .LBB43_106
; %bb.54:                               ;   in Loop: Header=BB43_7 Depth=1
	v_lshl_add_u64 v[54:55], v[24:25], 2, v[40:41]
	s_wait_dscnt 0x0
	global_store_b32 v[54:55], v2, off
	s_cbranch_execnz .LBB43_56
.LBB43_55:                              ;   in Loop: Header=BB43_7 Depth=1
	s_wait_dscnt 0x0
	global_store_b32 v[38:39], v2, off offset:144
.LBB43_56:                              ;   in Loop: Header=BB43_7 Depth=1
	s_wait_xcnt 0x0
	s_or_b32 exec_lo, exec_lo, s8
	s_and_saveexec_b32 s8, s38
	s_cbranch_execz .LBB43_60
; %bb.57:                               ;   in Loop: Header=BB43_7 Depth=1
	s_wait_dscnt 0x0
	ds_load_b32 v2, v50 offset:160
	s_and_not1_b32 vcc_lo, exec_lo, s19
	s_cbranch_vccnz .LBB43_107
; %bb.58:                               ;   in Loop: Header=BB43_7 Depth=1
	v_lshl_add_u64 v[54:55], v[26:27], 2, v[40:41]
	s_wait_dscnt 0x0
	global_store_b32 v[54:55], v2, off
	s_cbranch_execnz .LBB43_60
.LBB43_59:                              ;   in Loop: Header=BB43_7 Depth=1
	s_wait_dscnt 0x0
	global_store_b32 v[38:39], v2, off offset:160
.LBB43_60:                              ;   in Loop: Header=BB43_7 Depth=1
	s_wait_xcnt 0x0
	s_or_b32 exec_lo, exec_lo, s8
	s_and_saveexec_b32 s8, s39
	s_cbranch_execz .LBB43_64
; %bb.61:                               ;   in Loop: Header=BB43_7 Depth=1
	s_wait_dscnt 0x0
	ds_load_b32 v2, v50 offset:176
	s_and_not1_b32 vcc_lo, exec_lo, s19
	s_cbranch_vccnz .LBB43_108
; %bb.62:                               ;   in Loop: Header=BB43_7 Depth=1
	v_lshl_add_u64 v[54:55], v[28:29], 2, v[40:41]
	s_wait_dscnt 0x0
	global_store_b32 v[54:55], v2, off
	s_cbranch_execnz .LBB43_64
.LBB43_63:                              ;   in Loop: Header=BB43_7 Depth=1
	s_wait_dscnt 0x0
	global_store_b32 v[38:39], v2, off offset:176
.LBB43_64:                              ;   in Loop: Header=BB43_7 Depth=1
	s_wait_xcnt 0x0
	s_or_b32 exec_lo, exec_lo, s8
	s_and_saveexec_b32 s8, s41
	s_cbranch_execz .LBB43_68
; %bb.65:                               ;   in Loop: Header=BB43_7 Depth=1
	s_wait_dscnt 0x0
	ds_load_b32 v2, v50 offset:192
	s_and_not1_b32 vcc_lo, exec_lo, s19
	s_cbranch_vccnz .LBB43_109
; %bb.66:                               ;   in Loop: Header=BB43_7 Depth=1
	v_lshl_add_u64 v[54:55], v[30:31], 2, v[40:41]
	s_wait_dscnt 0x0
	global_store_b32 v[54:55], v2, off
	s_cbranch_execnz .LBB43_68
.LBB43_67:                              ;   in Loop: Header=BB43_7 Depth=1
	s_wait_dscnt 0x0
	global_store_b32 v[38:39], v2, off offset:192
.LBB43_68:                              ;   in Loop: Header=BB43_7 Depth=1
	s_wait_xcnt 0x0
	s_or_b32 exec_lo, exec_lo, s8
	s_and_saveexec_b32 s8, s42
	s_cbranch_execz .LBB43_72
; %bb.69:                               ;   in Loop: Header=BB43_7 Depth=1
	s_wait_dscnt 0x0
	ds_load_b32 v2, v50 offset:208
	s_and_not1_b32 vcc_lo, exec_lo, s19
	s_cbranch_vccnz .LBB43_110
; %bb.70:                               ;   in Loop: Header=BB43_7 Depth=1
	v_lshl_add_u64 v[54:55], v[32:33], 2, v[40:41]
	s_wait_dscnt 0x0
	global_store_b32 v[54:55], v2, off
	s_cbranch_execnz .LBB43_72
.LBB43_71:                              ;   in Loop: Header=BB43_7 Depth=1
	s_wait_dscnt 0x0
	global_store_b32 v[38:39], v2, off offset:208
.LBB43_72:                              ;   in Loop: Header=BB43_7 Depth=1
	s_wait_xcnt 0x0
	s_or_b32 exec_lo, exec_lo, s8
	s_and_saveexec_b32 s8, s43
	s_cbranch_execz .LBB43_76
; %bb.73:                               ;   in Loop: Header=BB43_7 Depth=1
	s_wait_dscnt 0x0
	ds_load_b32 v2, v50 offset:224
	s_and_not1_b32 vcc_lo, exec_lo, s19
	s_cbranch_vccnz .LBB43_111
; %bb.74:                               ;   in Loop: Header=BB43_7 Depth=1
	v_lshl_add_u64 v[54:55], v[34:35], 2, v[40:41]
	s_wait_dscnt 0x0
	global_store_b32 v[54:55], v2, off
	s_cbranch_execnz .LBB43_76
.LBB43_75:                              ;   in Loop: Header=BB43_7 Depth=1
	s_wait_dscnt 0x0
	global_store_b32 v[38:39], v2, off offset:224
.LBB43_76:                              ;   in Loop: Header=BB43_7 Depth=1
	s_wait_xcnt 0x0
	s_or_b32 exec_lo, exec_lo, s8
	s_and_saveexec_b32 s8, s9
	s_cbranch_execz .LBB43_80
; %bb.77:                               ;   in Loop: Header=BB43_7 Depth=1
	s_wait_dscnt 0x0
	ds_load_b32 v2, v50 offset:240
	s_and_not1_b32 vcc_lo, exec_lo, s19
	s_cbranch_vccnz .LBB43_112
; %bb.78:                               ;   in Loop: Header=BB43_7 Depth=1
	v_lshl_add_u64 v[40:41], v[36:37], 2, v[40:41]
	s_wait_dscnt 0x0
	global_store_b32 v[40:41], v2, off
	s_cbranch_execnz .LBB43_80
.LBB43_79:                              ;   in Loop: Header=BB43_7 Depth=1
	s_wait_dscnt 0x0
	global_store_b32 v[38:39], v2, off offset:240
.LBB43_80:                              ;   in Loop: Header=BB43_7 Depth=1
	s_wait_xcnt 0x0
	s_or_b32 exec_lo, exec_lo, s8
	s_mov_b32 s8, 1
.LBB43_81:                              ;   in Loop: Header=BB43_7 Depth=1
	s_wait_storecnt_dscnt 0x0
	s_barrier_signal -1
	s_barrier_wait -1
	ds_store_b32 v45, v52
	s_wait_dscnt 0x0
	s_barrier_signal -1
	s_barrier_wait -1
	s_and_saveexec_b32 s13, s0
	s_cbranch_execz .LBB43_83
; %bb.82:                               ;   in Loop: Header=BB43_7 Depth=1
	ds_load_2addr_stride64_b32 v[38:39], v45 offset1:2
	s_wait_dscnt 0x0
	v_min_i32_e32 v2, v39, v38
	ds_store_b32 v45, v2
.LBB43_83:                              ;   in Loop: Header=BB43_7 Depth=1
	s_or_b32 exec_lo, exec_lo, s13
	s_wait_dscnt 0x0
	s_barrier_signal -1
	s_barrier_wait -1
	s_and_saveexec_b32 s13, s1
	s_cbranch_execz .LBB43_85
; %bb.84:                               ;   in Loop: Header=BB43_7 Depth=1
	ds_load_2addr_stride64_b32 v[38:39], v45 offset1:1
	s_wait_dscnt 0x0
	v_min_i32_e32 v2, v39, v38
	ds_store_b32 v45, v2
.LBB43_85:                              ;   in Loop: Header=BB43_7 Depth=1
	s_or_b32 exec_lo, exec_lo, s13
	s_wait_dscnt 0x0
	s_barrier_signal -1
	s_barrier_wait -1
	s_and_saveexec_b32 s13, s2
	s_cbranch_execz .LBB43_87
; %bb.86:                               ;   in Loop: Header=BB43_7 Depth=1
	ds_load_2addr_b32 v[38:39], v45 offset1:32
	s_wait_dscnt 0x0
	v_min_i32_e32 v2, v39, v38
	ds_store_b32 v45, v2
.LBB43_87:                              ;   in Loop: Header=BB43_7 Depth=1
	s_or_b32 exec_lo, exec_lo, s13
	s_wait_dscnt 0x0
	s_barrier_signal -1
	s_barrier_wait -1
	s_and_saveexec_b32 s13, s3
	s_cbranch_execz .LBB43_89
; %bb.88:                               ;   in Loop: Header=BB43_7 Depth=1
	ds_load_2addr_b32 v[38:39], v45 offset1:16
	s_wait_dscnt 0x0
	v_min_i32_e32 v2, v39, v38
	ds_store_b32 v45, v2
.LBB43_89:                              ;   in Loop: Header=BB43_7 Depth=1
	;; [unrolled: 12-line block ×5, first 2 shown]
	s_or_b32 exec_lo, exec_lo, s13
	s_wait_dscnt 0x0
	s_barrier_signal -1
	s_barrier_wait -1
	s_and_saveexec_b32 s13, s7
	s_cbranch_execz .LBB43_6
; %bb.96:                               ;   in Loop: Header=BB43_7 Depth=1
	ds_load_b64 v[38:39], v3
	s_wait_dscnt 0x0
	v_min_i32_e32 v2, v39, v38
	ds_store_b32 v3, v2
	s_branch .LBB43_6
.LBB43_97:                              ;   in Loop: Header=BB43_7 Depth=1
	s_branch .LBB43_19
.LBB43_98:                              ;   in Loop: Header=BB43_7 Depth=1
	s_branch .LBB43_23
.LBB43_99:                              ;   in Loop: Header=BB43_7 Depth=1
	s_branch .LBB43_27
.LBB43_100:                             ;   in Loop: Header=BB43_7 Depth=1
	s_branch .LBB43_31
.LBB43_101:                             ;   in Loop: Header=BB43_7 Depth=1
	s_branch .LBB43_35
.LBB43_102:                             ;   in Loop: Header=BB43_7 Depth=1
	s_branch .LBB43_39
.LBB43_103:                             ;   in Loop: Header=BB43_7 Depth=1
	s_branch .LBB43_43
.LBB43_104:                             ;   in Loop: Header=BB43_7 Depth=1
	s_branch .LBB43_47
.LBB43_105:                             ;   in Loop: Header=BB43_7 Depth=1
	s_branch .LBB43_51
.LBB43_106:                             ;   in Loop: Header=BB43_7 Depth=1
	s_branch .LBB43_55
.LBB43_107:                             ;   in Loop: Header=BB43_7 Depth=1
	s_branch .LBB43_59
.LBB43_108:                             ;   in Loop: Header=BB43_7 Depth=1
	s_branch .LBB43_63
.LBB43_109:                             ;   in Loop: Header=BB43_7 Depth=1
	s_branch .LBB43_67
.LBB43_110:                             ;   in Loop: Header=BB43_7 Depth=1
	s_branch .LBB43_71
.LBB43_111:                             ;   in Loop: Header=BB43_7 Depth=1
	s_branch .LBB43_75
.LBB43_112:                             ;   in Loop: Header=BB43_7 Depth=1
	s_branch .LBB43_79
.LBB43_113:
	s_endpgm
	.section	.rodata,"a",@progbits
	.p2align	6, 0x0
	.amdhsa_kernel _ZN9rocsparseL38csr2bsr_block_per_row_multipass_kernelILj256ELj64EfiiEEv20rocsparse_direction_T3_S2_S2_S2_S2_21rocsparse_index_base_PKT1_PKT2_PKS2_S3_PS4_PS7_PS2_
		.amdhsa_group_segment_fixed_size 16388
		.amdhsa_private_segment_fixed_size 0
		.amdhsa_kernarg_size 88
		.amdhsa_user_sgpr_count 2
		.amdhsa_user_sgpr_dispatch_ptr 0
		.amdhsa_user_sgpr_queue_ptr 0
		.amdhsa_user_sgpr_kernarg_segment_ptr 1
		.amdhsa_user_sgpr_dispatch_id 0
		.amdhsa_user_sgpr_kernarg_preload_length 0
		.amdhsa_user_sgpr_kernarg_preload_offset 0
		.amdhsa_user_sgpr_private_segment_size 0
		.amdhsa_wavefront_size32 1
		.amdhsa_uses_dynamic_stack 0
		.amdhsa_enable_private_segment 0
		.amdhsa_system_sgpr_workgroup_id_x 1
		.amdhsa_system_sgpr_workgroup_id_y 0
		.amdhsa_system_sgpr_workgroup_id_z 0
		.amdhsa_system_sgpr_workgroup_info 0
		.amdhsa_system_vgpr_workitem_id 0
		.amdhsa_next_free_vgpr 56
		.amdhsa_next_free_sgpr 48
		.amdhsa_named_barrier_count 0
		.amdhsa_reserve_vcc 1
		.amdhsa_float_round_mode_32 0
		.amdhsa_float_round_mode_16_64 0
		.amdhsa_float_denorm_mode_32 3
		.amdhsa_float_denorm_mode_16_64 3
		.amdhsa_fp16_overflow 0
		.amdhsa_memory_ordered 1
		.amdhsa_forward_progress 1
		.amdhsa_inst_pref_size 27
		.amdhsa_round_robin_scheduling 0
		.amdhsa_exception_fp_ieee_invalid_op 0
		.amdhsa_exception_fp_denorm_src 0
		.amdhsa_exception_fp_ieee_div_zero 0
		.amdhsa_exception_fp_ieee_overflow 0
		.amdhsa_exception_fp_ieee_underflow 0
		.amdhsa_exception_fp_ieee_inexact 0
		.amdhsa_exception_int_div_zero 0
	.end_amdhsa_kernel
	.section	.text._ZN9rocsparseL38csr2bsr_block_per_row_multipass_kernelILj256ELj64EfiiEEv20rocsparse_direction_T3_S2_S2_S2_S2_21rocsparse_index_base_PKT1_PKT2_PKS2_S3_PS4_PS7_PS2_,"axG",@progbits,_ZN9rocsparseL38csr2bsr_block_per_row_multipass_kernelILj256ELj64EfiiEEv20rocsparse_direction_T3_S2_S2_S2_S2_21rocsparse_index_base_PKT1_PKT2_PKS2_S3_PS4_PS7_PS2_,comdat
.Lfunc_end43:
	.size	_ZN9rocsparseL38csr2bsr_block_per_row_multipass_kernelILj256ELj64EfiiEEv20rocsparse_direction_T3_S2_S2_S2_S2_21rocsparse_index_base_PKT1_PKT2_PKS2_S3_PS4_PS7_PS2_, .Lfunc_end43-_ZN9rocsparseL38csr2bsr_block_per_row_multipass_kernelILj256ELj64EfiiEEv20rocsparse_direction_T3_S2_S2_S2_S2_21rocsparse_index_base_PKT1_PKT2_PKS2_S3_PS4_PS7_PS2_
                                        ; -- End function
	.set _ZN9rocsparseL38csr2bsr_block_per_row_multipass_kernelILj256ELj64EfiiEEv20rocsparse_direction_T3_S2_S2_S2_S2_21rocsparse_index_base_PKT1_PKT2_PKS2_S3_PS4_PS7_PS2_.num_vgpr, 56
	.set _ZN9rocsparseL38csr2bsr_block_per_row_multipass_kernelILj256ELj64EfiiEEv20rocsparse_direction_T3_S2_S2_S2_S2_21rocsparse_index_base_PKT1_PKT2_PKS2_S3_PS4_PS7_PS2_.num_agpr, 0
	.set _ZN9rocsparseL38csr2bsr_block_per_row_multipass_kernelILj256ELj64EfiiEEv20rocsparse_direction_T3_S2_S2_S2_S2_21rocsparse_index_base_PKT1_PKT2_PKS2_S3_PS4_PS7_PS2_.numbered_sgpr, 48
	.set _ZN9rocsparseL38csr2bsr_block_per_row_multipass_kernelILj256ELj64EfiiEEv20rocsparse_direction_T3_S2_S2_S2_S2_21rocsparse_index_base_PKT1_PKT2_PKS2_S3_PS4_PS7_PS2_.num_named_barrier, 0
	.set _ZN9rocsparseL38csr2bsr_block_per_row_multipass_kernelILj256ELj64EfiiEEv20rocsparse_direction_T3_S2_S2_S2_S2_21rocsparse_index_base_PKT1_PKT2_PKS2_S3_PS4_PS7_PS2_.private_seg_size, 0
	.set _ZN9rocsparseL38csr2bsr_block_per_row_multipass_kernelILj256ELj64EfiiEEv20rocsparse_direction_T3_S2_S2_S2_S2_21rocsparse_index_base_PKT1_PKT2_PKS2_S3_PS4_PS7_PS2_.uses_vcc, 1
	.set _ZN9rocsparseL38csr2bsr_block_per_row_multipass_kernelILj256ELj64EfiiEEv20rocsparse_direction_T3_S2_S2_S2_S2_21rocsparse_index_base_PKT1_PKT2_PKS2_S3_PS4_PS7_PS2_.uses_flat_scratch, 0
	.set _ZN9rocsparseL38csr2bsr_block_per_row_multipass_kernelILj256ELj64EfiiEEv20rocsparse_direction_T3_S2_S2_S2_S2_21rocsparse_index_base_PKT1_PKT2_PKS2_S3_PS4_PS7_PS2_.has_dyn_sized_stack, 0
	.set _ZN9rocsparseL38csr2bsr_block_per_row_multipass_kernelILj256ELj64EfiiEEv20rocsparse_direction_T3_S2_S2_S2_S2_21rocsparse_index_base_PKT1_PKT2_PKS2_S3_PS4_PS7_PS2_.has_recursion, 0
	.set _ZN9rocsparseL38csr2bsr_block_per_row_multipass_kernelILj256ELj64EfiiEEv20rocsparse_direction_T3_S2_S2_S2_S2_21rocsparse_index_base_PKT1_PKT2_PKS2_S3_PS4_PS7_PS2_.has_indirect_call, 0
	.section	.AMDGPU.csdata,"",@progbits
; Kernel info:
; codeLenInByte = 3428
; TotalNumSgprs: 50
; NumVgprs: 56
; ScratchSize: 0
; MemoryBound: 0
; FloatMode: 240
; IeeeMode: 1
; LDSByteSize: 16388 bytes/workgroup (compile time only)
; SGPRBlocks: 0
; VGPRBlocks: 3
; NumSGPRsForWavesPerEU: 50
; NumVGPRsForWavesPerEU: 56
; NamedBarCnt: 0
; Occupancy: 16
; WaveLimiterHint : 0
; COMPUTE_PGM_RSRC2:SCRATCH_EN: 0
; COMPUTE_PGM_RSRC2:USER_SGPR: 2
; COMPUTE_PGM_RSRC2:TRAP_HANDLER: 0
; COMPUTE_PGM_RSRC2:TGID_X_EN: 1
; COMPUTE_PGM_RSRC2:TGID_Y_EN: 0
; COMPUTE_PGM_RSRC2:TGID_Z_EN: 0
; COMPUTE_PGM_RSRC2:TIDIG_COMP_CNT: 0
	.section	.text._ZN9rocsparseL21csr2bsr_65_inf_kernelILj32EfiiEEv20rocsparse_direction_T2_S2_S2_S2_S2_S2_21rocsparse_index_base_PKT0_PKT1_PKS2_S3_PS4_PS7_PS2_SD_SE_SC_,"axG",@progbits,_ZN9rocsparseL21csr2bsr_65_inf_kernelILj32EfiiEEv20rocsparse_direction_T2_S2_S2_S2_S2_S2_21rocsparse_index_base_PKT0_PKT1_PKS2_S3_PS4_PS7_PS2_SD_SE_SC_,comdat
	.globl	_ZN9rocsparseL21csr2bsr_65_inf_kernelILj32EfiiEEv20rocsparse_direction_T2_S2_S2_S2_S2_S2_21rocsparse_index_base_PKT0_PKT1_PKS2_S3_PS4_PS7_PS2_SD_SE_SC_ ; -- Begin function _ZN9rocsparseL21csr2bsr_65_inf_kernelILj32EfiiEEv20rocsparse_direction_T2_S2_S2_S2_S2_S2_21rocsparse_index_base_PKT0_PKT1_PKS2_S3_PS4_PS7_PS2_SD_SE_SC_
	.p2align	8
	.type	_ZN9rocsparseL21csr2bsr_65_inf_kernelILj32EfiiEEv20rocsparse_direction_T2_S2_S2_S2_S2_S2_21rocsparse_index_base_PKT0_PKT1_PKS2_S3_PS4_PS7_PS2_SD_SE_SC_,@function
_ZN9rocsparseL21csr2bsr_65_inf_kernelILj32EfiiEEv20rocsparse_direction_T2_S2_S2_S2_S2_S2_21rocsparse_index_base_PKT0_PKT1_PKS2_S3_PS4_PS7_PS2_SD_SE_SC_: ; @_ZN9rocsparseL21csr2bsr_65_inf_kernelILj32EfiiEEv20rocsparse_direction_T2_S2_S2_S2_S2_S2_21rocsparse_index_base_PKT0_PKT1_PKS2_S3_PS4_PS7_PS2_SD_SE_SC_
; %bb.0:
	s_clause 0x2
	s_load_b128 s[4:7], s[0:1], 0x0
	s_load_b64 s[2:3], s[0:1], 0x58
	s_load_b32 s15, s[0:1], 0x38
	s_bfe_u32 s8, ttmp6, 0x4000c
	s_and_b32 s9, ttmp6, 15
	s_add_co_i32 s8, s8, 1
	s_getreg_b32 s10, hwreg(HW_REG_IB_STS2, 6, 4)
	s_mul_i32 s8, ttmp9, s8
	s_mov_b32 s25, 0
	s_add_co_i32 s9, s9, s8
	s_cmp_eq_u32 s10, 0
	s_cselect_b32 s22, ttmp9, s9
	s_wait_kmcnt 0x0
	s_cmp_ge_i32 s22, s7
	s_mov_b32 s7, 0
	s_cbranch_scc1 .LBB44_2
; %bb.1:
	s_load_b64 s[8:9], s[0:1], 0x48
	s_ashr_i32 s23, s22, 31
	s_delay_alu instid0(SALU_CYCLE_1)
	s_lshl_b64 s[10:11], s[22:23], 2
	s_wait_kmcnt 0x0
	s_add_nc_u64 s[8:9], s[8:9], s[10:11]
	s_load_b32 s7, s[8:9], 0x0
	s_wait_kmcnt 0x0
	s_sub_co_i32 s7, s7, s15
.LBB44_2:
	s_load_b96 s[12:14], s[0:1], 0x14
	s_wait_kmcnt 0x0
	v_mul_lo_u32 v4, s13, v0
	s_mul_i32 s8, s22, s13
	s_delay_alu instid0(SALU_CYCLE_1) | instskip(NEXT) | instid1(SALU_CYCLE_1)
	s_lshl_b32 s24, s8, 6
	s_lshl_b64 s[8:9], s[24:25], 2
	s_lshl_b32 s24, s13, 5
	s_add_nc_u64 s[26:27], s[2:3], s[8:9]
	s_cmp_gt_i32 s13, 0
	s_cselect_b32 s28, -1, 0
	s_delay_alu instid0(VALU_DEP_1) | instskip(SKIP_1) | instid1(VALU_DEP_1)
	v_ashrrev_i32_e32 v5, 31, v4
	s_cmp_lt_i32 s13, 1
	v_lshl_add_u64 v[2:3], v[4:5], 2, s[26:27]
	s_cbranch_scc1 .LBB44_7
; %bb.3:
	s_load_b64 s[8:9], s[0:1], 0x28
	s_delay_alu instid0(VALU_DEP_1)
	v_mov_b64_e32 v[6:7], v[2:3]
	v_dual_mov_b32 v1, 0 :: v_dual_mov_b32 v12, v0
	s_mul_i32 s3, s12, s22
	s_lshl_b64 s[10:11], s[24:25], 2
	s_mov_b32 s16, s13
	s_branch .LBB44_5
.LBB44_4:                               ;   in Loop: Header=BB44_5 Depth=1
	s_wait_xcnt 0x0
	s_or_b32 exec_lo, exec_lo, s2
	v_add_nc_u64_e32 v[6:7], 4, v[6:7]
	v_add_nc_u32_e32 v12, 32, v12
	s_add_co_i32 s16, s16, -1
	s_delay_alu instid0(SALU_CYCLE_1)
	s_cmp_eq_u32 s16, 0
	s_cbranch_scc1 .LBB44_7
.LBB44_5:                               ; =>This Inner Loop Header: Depth=1
	s_delay_alu instid0(VALU_DEP_1) | instskip(NEXT) | instid1(VALU_DEP_3)
	v_add_nc_u32_e32 v10, s3, v12
	v_add_nc_u64_e32 v[8:9], s[10:11], v[6:7]
	v_cmp_gt_u32_e64 s2, s12, v12
	global_store_b32 v[6:7], v1, off
	v_cmp_gt_i32_e32 vcc_lo, s5, v10
	global_store_b32 v[8:9], v1, off
	s_and_b32 s17, s2, vcc_lo
	s_wait_xcnt 0x0
	s_and_saveexec_b32 s2, s17
	s_cbranch_execz .LBB44_4
; %bb.6:                                ;   in Loop: Header=BB44_5 Depth=1
	v_ashrrev_i32_e32 v11, 31, v10
	s_wait_kmcnt 0x0
	s_delay_alu instid0(VALU_DEP_1)
	v_lshl_add_u64 v[10:11], v[10:11], 2, s[8:9]
	global_load_b64 v[10:11], v[10:11], off
	s_wait_loadcnt 0x0
	v_subrev_nc_u32_e32 v10, s14, v10
	v_subrev_nc_u32_e32 v11, s14, v11
	s_clause 0x1
	global_store_b32 v[6:7], v10, off
	global_store_b32 v[8:9], v11, off
	s_branch .LBB44_4
.LBB44_7:
	s_cmp_lt_i32 s6, 1
	s_cbranch_scc1 .LBB44_37
; %bb.8:
	s_wait_kmcnt 0x0
	s_load_b128 s[8:11], s[0:1], 0x60
	v_mbcnt_lo_u32_b32 v10, -1, 0
	v_lshlrev_b64_e32 v[8:9], 2, v[4:5]
	s_clause 0x3
	s_load_b64 s[2:3], s[0:1], 0x50
	s_load_b64 s[16:17], s[0:1], 0x40
	;; [unrolled: 1-line block ×4, first 2 shown]
	s_wait_xcnt 0x0
	s_lshl_b64 s[0:1], s[24:25], 2
	s_mul_i32 s22, s24, s22
	v_xor_b32_e32 v11, 8, v10
	v_xor_b32_e32 v1, 16, v10
	s_mov_b32 s23, 0
	s_add_nc_u64 s[0:1], s[26:27], s[0:1]
	s_lshl_b64 s[24:25], s[22:23], 2
	s_cmp_lg_u32 s4, 0
	v_cmp_gt_i32_e32 vcc_lo, 32, v1
	v_add_nc_u64_e32 v[4:5], s[0:1], v[8:9]
	v_mul_lo_u32 v31, v0, s12
	v_dual_mov_b32 v33, 0 :: v_dual_bitop2_b32 v12, 4, v10 bitop3:0x14
	v_cndmask_b32_e32 v1, v10, v1, vcc_lo
	s_mov_b32 s26, 0
	v_mov_b32_e32 v32, 0
	s_wait_kmcnt 0x0
	s_add_nc_u64 s[0:1], s[8:9], s[24:25]
	s_add_nc_u64 s[4:5], s[10:11], s[24:25]
	v_add_nc_u64_e32 v[6:7], s[0:1], v[8:9]
	s_cselect_b32 s1, -1, 0
	s_abs_i32 s24, s12
	v_lshlrev_b32_e32 v1, 2, v1
	s_cvt_f32_u32 s0, s24
	v_cmp_gt_i32_e32 vcc_lo, 32, v11
	v_add_nc_u64_e32 v[8:9], s[4:5], v[8:9]
	s_sub_co_i32 s8, 0, s24
	v_rcp_iflag_f32_e32 v15, s0
	s_ashr_i32 s5, s12, 31
	v_cndmask_b32_e32 v11, v10, v11, vcc_lo
	v_cmp_gt_i32_e32 vcc_lo, 32, v12
	v_xor_b32_e32 v13, 2, v10
	s_add_co_i32 s25, s7, -1
	v_mov_b32_e32 v30, 0x7c
	v_readfirstlane_b32 s0, v15
	v_cndmask_b32_e32 v12, v10, v12, vcc_lo
	v_cmp_gt_i32_e32 vcc_lo, 32, v13
	v_dual_lshlrev_b32 v26, 2, v11 :: v_dual_bitop2_b32 v14, 1, v10 bitop3:0x14
	s_mul_f32 s4, s0, 0x4f7ffffe
	v_cmp_eq_u32_e64 s0, 31, v0
	v_cndmask_b32_e32 v13, v10, v13, vcc_lo
	s_delay_alu instid0(VALU_DEP_3) | instskip(SKIP_2) | instid1(VALU_DEP_2)
	v_cmp_gt_i32_e32 vcc_lo, 32, v14
	s_cvt_u32_f32 s10, s4
	s_mov_b32 s4, s12
	v_dual_lshlrev_b32 v27, 2, v12 :: v_dual_lshlrev_b32 v28, 2, v13
	v_cndmask_b32_e32 v10, v10, v14, vcc_lo
	s_mul_i32 s11, s8, s10
	v_mov_b32_e32 v11, 0
	s_mul_u64 s[8:9], s[4:5], s[4:5]
	s_mul_hi_u32 s4, s10, s11
	v_dual_mov_b32 v10, 0 :: v_dual_lshlrev_b32 v29, 2, v10
	s_add_co_i32 s10, s10, s4
	s_mov_b32 s11, s23
	s_lshl_b32 s4, s12, 5
	s_branch .LBB44_10
.LBB44_9:                               ;   in Loop: Header=BB44_10 Depth=1
	s_wait_dscnt 0x1
	v_add_nc_u32_e32 v10, 1, v34
	s_delay_alu instid0(VALU_DEP_1) | instskip(SKIP_1) | instid1(SALU_CYCLE_1)
	v_cmp_le_i32_e32 vcc_lo, s6, v10
	s_or_b32 s26, vcc_lo, s26
	s_and_not1_b32 exec_lo, exec_lo, s26
	s_cbranch_execz .LBB44_37
.LBB44_10:                              ; =>This Loop Header: Depth=1
                                        ;     Child Loop BB44_14 Depth 2
                                        ;       Child Loop BB44_17 Depth 3
                                        ;     Child Loop BB44_31 Depth 2
	v_mov_b32_e32 v24, s6
	s_and_not1_b32 vcc_lo, exec_lo, s28
	s_cbranch_vccnz .LBB44_23
; %bb.11:                               ;   in Loop: Header=BB44_10 Depth=1
	v_mov_b32_e32 v24, s6
	s_mov_b32 s22, 0
	s_branch .LBB44_14
.LBB44_12:                              ;   in Loop: Header=BB44_14 Depth=2
	s_wait_xcnt 0x0
	s_or_b32 exec_lo, exec_lo, s29
.LBB44_13:                              ;   in Loop: Header=BB44_14 Depth=2
	s_delay_alu instid0(SALU_CYCLE_1) | instskip(SKIP_1) | instid1(SALU_CYCLE_1)
	s_or_b32 exec_lo, exec_lo, s27
	s_add_co_i32 s22, s22, 1
	s_cmp_eq_u32 s22, s13
	s_cbranch_scc1 .LBB44_23
.LBB44_14:                              ;   Parent Loop BB44_10 Depth=1
                                        ; =>  This Loop Header: Depth=2
                                        ;       Child Loop BB44_17 Depth 3
	s_lshl_b64 s[30:31], s[22:23], 2
	v_mov_b32_e32 v18, s6
	v_add_nc_u64_e32 v[12:13], s[30:31], v[2:3]
	v_add_nc_u64_e32 v[14:15], s[30:31], v[4:5]
	;; [unrolled: 1-line block ×3, first 2 shown]
	s_mov_b32 s27, exec_lo
	s_clause 0x1
	global_load_b32 v20, v[12:13], off
	global_load_b32 v34, v[14:15], off
	s_wait_xcnt 0x0
	v_add_nc_u64_e32 v[14:15], s[30:31], v[8:9]
	global_store_b32 v[14:15], v11, off
	global_store_b32 v[16:17], v18, off
	s_wait_loadcnt 0x0
	s_wait_xcnt 0x0
	v_cmpx_lt_i32_e64 v20, v34
	s_cbranch_execz .LBB44_13
; %bb.15:                               ;   in Loop: Header=BB44_14 Depth=2
	v_ashrrev_i32_e32 v21, 31, v20
	s_mov_b32 s29, 0
                                        ; implicit-def: $sgpr30
                                        ; implicit-def: $sgpr33
                                        ; implicit-def: $sgpr31
	s_delay_alu instid0(VALU_DEP_1)
	v_lshl_add_u64 v[22:23], v[20:21], 2, s[20:21]
	s_branch .LBB44_17
.LBB44_16:                              ;   in Loop: Header=BB44_17 Depth=3
	s_or_b32 exec_lo, exec_lo, s34
	s_delay_alu instid0(SALU_CYCLE_1) | instskip(NEXT) | instid1(SALU_CYCLE_1)
	s_and_b32 s34, exec_lo, s33
	s_or_b32 s29, s34, s29
	s_and_not1_b32 s30, s30, exec_lo
	s_and_b32 s34, s31, exec_lo
	s_delay_alu instid0(SALU_CYCLE_1)
	s_or_b32 s30, s30, s34
	s_and_not1_b32 exec_lo, exec_lo, s29
	s_cbranch_execz .LBB44_19
.LBB44_17:                              ;   Parent Loop BB44_10 Depth=1
                                        ;     Parent Loop BB44_14 Depth=2
                                        ; =>    This Inner Loop Header: Depth=3
	global_load_b32 v18, v[22:23], off
	s_or_b32 s31, s31, exec_lo
	s_or_b32 s33, s33, exec_lo
	s_mov_b32 s34, exec_lo
	s_wait_loadcnt 0x0
	v_subrev_nc_u32_e32 v25, s14, v18
	v_mov_b64_e32 v[18:19], v[20:21]
                                        ; implicit-def: $vgpr20_vgpr21
	s_wait_xcnt 0x0
	s_delay_alu instid0(VALU_DEP_2)
	v_cmpx_lt_i32_e64 v25, v10
	s_cbranch_execz .LBB44_16
; %bb.18:                               ;   in Loop: Header=BB44_17 Depth=3
	s_delay_alu instid0(VALU_DEP_2) | instskip(SKIP_3) | instid1(VALU_DEP_2)
	v_add_nc_u64_e32 v[20:21], 1, v[18:19]
	v_add_nc_u64_e32 v[22:23], 4, v[22:23]
	s_and_not1_b32 s33, s33, exec_lo
	s_and_not1_b32 s31, s31, exec_lo
	v_cmp_ge_i32_e32 vcc_lo, v20, v34
	s_and_b32 s35, vcc_lo, exec_lo
	s_delay_alu instid0(SALU_CYCLE_1)
	s_or_b32 s33, s33, s35
	s_branch .LBB44_16
.LBB44_19:                              ;   in Loop: Header=BB44_14 Depth=2
	s_or_b32 exec_lo, exec_lo, s29
	v_lshl_add_u64 v[20:21], v[18:19], 2, s[18:19]
	s_xor_b32 s29, s30, -1
	s_delay_alu instid0(SALU_CYCLE_1) | instskip(NEXT) | instid1(SALU_CYCLE_1)
	s_and_saveexec_b32 s30, s29
	s_xor_b32 s29, exec_lo, s30
	s_cbranch_execz .LBB44_21
; %bb.20:                               ;   in Loop: Header=BB44_14 Depth=2
	global_load_b32 v12, v[20:21], off
                                        ; implicit-def: $vgpr20_vgpr21
	s_wait_loadcnt 0x0
	global_store_b32 v[14:15], v12, off
	global_store_b32 v[16:17], v25, off
                                        ; implicit-def: $vgpr14_vgpr15
                                        ; implicit-def: $vgpr16_vgpr17
                                        ; implicit-def: $vgpr12_vgpr13
.LBB44_21:                              ;   in Loop: Header=BB44_14 Depth=2
	s_wait_xcnt 0x0
	s_and_not1_saveexec_b32 s29, s29
	s_cbranch_execz .LBB44_12
; %bb.22:                               ;   in Loop: Header=BB44_14 Depth=2
	global_load_b32 v19, v[20:21], off
	v_min_i32_e32 v24, v25, v24
	global_store_b32 v[16:17], v25, off
	s_wait_loadcnt 0x0
	global_store_b32 v[14:15], v19, off
	global_store_b32 v[12:13], v18, off
	s_branch .LBB44_12
.LBB44_23:                              ;   in Loop: Header=BB44_10 Depth=1
	ds_bpermute_b32 v10, v1, v24
	s_wait_dscnt 0x0
	v_min_i32_e32 v10, v10, v24
	ds_bpermute_b32 v12, v26, v10
	s_wait_dscnt 0x0
	v_min_i32_e32 v10, v12, v10
	;; [unrolled: 3-line block ×5, first 2 shown]
	s_delay_alu instid0(VALU_DEP_1) | instskip(SKIP_1) | instid1(SALU_CYCLE_1)
	v_cmp_gt_i32_e32 vcc_lo, s6, v12
	s_and_b32 s27, s0, vcc_lo
	s_and_saveexec_b32 s22, s27
	s_cbranch_execz .LBB44_27
; %bb.24:                               ;   in Loop: Header=BB44_10 Depth=1
	v_sub_nc_u32_e32 v10, 0, v12
	s_mov_b32 s27, exec_lo
	s_delay_alu instid0(VALU_DEP_1) | instskip(NEXT) | instid1(VALU_DEP_1)
	v_max_i32_e32 v10, v12, v10
	v_mul_u64_e32 v[14:15], s[10:11], v[10:11]
	s_delay_alu instid0(VALU_DEP_1) | instskip(NEXT) | instid1(VALU_DEP_1)
	v_mul_lo_u32 v13, v15, s24
	v_dual_sub_nc_u32 v10, v10, v13 :: v_dual_add_nc_u32 v13, 1, v15
	s_delay_alu instid0(VALU_DEP_1) | instskip(NEXT) | instid1(VALU_DEP_2)
	v_cmp_le_u32_e32 vcc_lo, s24, v10
	v_dual_cndmask_b32 v13, v15, v13, vcc_lo :: v_dual_ashrrev_i32 v15, 31, v12
	v_subrev_nc_u32_e32 v14, s24, v10
	s_delay_alu instid0(VALU_DEP_1) | instskip(NEXT) | instid1(VALU_DEP_1)
	v_dual_cndmask_b32 v10, v10, v14, vcc_lo :: v_dual_add_nc_u32 v14, 1, v13
	v_cmp_le_u32_e32 vcc_lo, s24, v10
	s_delay_alu instid0(VALU_DEP_2) | instskip(NEXT) | instid1(VALU_DEP_1)
	v_dual_cndmask_b32 v10, v13, v14, vcc_lo :: v_dual_bitop2_b32 v15, s5, v15 bitop3:0x14
	v_xor_b32_e32 v10, v10, v15
	s_delay_alu instid0(VALU_DEP_1) | instskip(NEXT) | instid1(VALU_DEP_1)
	v_sub_nc_u32_e32 v10, v10, v15
	v_cmpx_ge_i32_e64 v10, v32
	s_cbranch_execz .LBB44_26
; %bb.25:                               ;   in Loop: Header=BB44_10 Depth=1
	v_dual_add_nc_u32 v13, 1, v33 :: v_dual_add_nc_u32 v32, 1, v10
	v_dual_add_nc_u32 v14, s7, v33 :: v_dual_add_nc_u32 v10, s15, v10
	s_delay_alu instid0(VALU_DEP_2)
	v_mov_b32_e32 v33, v13
	global_store_b32 v14, v10, s[2:3] scale_offset
.LBB44_26:                              ;   in Loop: Header=BB44_10 Depth=1
	s_wait_xcnt 0x0
	s_or_b32 exec_lo, exec_lo, s27
.LBB44_27:                              ;   in Loop: Header=BB44_10 Depth=1
	s_delay_alu instid0(SALU_CYCLE_1)
	s_or_b32 exec_lo, exec_lo, s22
	ds_bpermute_b32 v34, v30, v12
	ds_bpermute_b32 v33, v30, v33
	s_and_not1_b32 vcc_lo, exec_lo, s28
	s_cbranch_vccnz .LBB44_9
; %bb.28:                               ;   in Loop: Header=BB44_10 Depth=1
	s_wait_dscnt 0x0
	v_dual_sub_nc_u32 v10, 0, v34 :: v_dual_add_nc_u32 v14, s25, v33
	s_mov_b32 s22, s13
	v_dual_mov_b32 v16, v0 :: v_dual_mov_b32 v20, v31
	s_delay_alu instid0(VALU_DEP_2) | instskip(NEXT) | instid1(VALU_DEP_1)
	v_max_i32_e32 v10, v34, v10
	v_mul_u64_e32 v[12:13], s[10:11], v[10:11]
	s_delay_alu instid0(VALU_DEP_1) | instskip(NEXT) | instid1(VALU_DEP_1)
	v_mul_lo_u32 v12, v13, s24
	v_dual_ashrrev_i32 v15, 31, v14 :: v_dual_sub_nc_u32 v10, v10, v12
	s_delay_alu instid0(VALU_DEP_1) | instskip(SKIP_1) | instid1(VALU_DEP_3)
	v_mul_u64_e32 v[18:19], s[8:9], v[14:15]
	v_add_nc_u32_e32 v12, 1, v13
	v_subrev_nc_u32_e32 v14, s24, v10
	v_cmp_le_u32_e32 vcc_lo, s24, v10
	s_delay_alu instid0(VALU_DEP_3) | instskip(NEXT) | instid1(VALU_DEP_1)
	v_dual_cndmask_b32 v12, v13, v12 :: v_dual_ashrrev_i32 v13, 31, v34
	v_dual_cndmask_b32 v10, v10, v14, vcc_lo :: v_dual_add_nc_u32 v14, 1, v12
	s_delay_alu instid0(VALU_DEP_1) | instskip(NEXT) | instid1(VALU_DEP_2)
	v_cmp_le_u32_e32 vcc_lo, s24, v10
	v_dual_cndmask_b32 v10, v12, v14, vcc_lo :: v_dual_bitop2_b32 v17, s5, v13 bitop3:0x14
	v_mov_b64_e32 v[12:13], v[8:9]
	v_mov_b64_e32 v[14:15], v[6:7]
	s_delay_alu instid0(VALU_DEP_3) | instskip(NEXT) | instid1(VALU_DEP_1)
	v_xor_b32_e32 v10, v10, v17
	v_sub_nc_u32_e32 v35, v10, v17
	v_lshl_add_u64 v[18:19], v[18:19], 2, s[16:17]
	s_branch .LBB44_31
.LBB44_29:                              ;   in Loop: Header=BB44_31 Depth=2
	s_delay_alu instid0(VALU_DEP_1) | instskip(NEXT) | instid1(VALU_DEP_1)
	v_lshl_add_u64 v[22:23], v[22:23], 2, v[18:19]
	v_lshl_add_u64 v[22:23], v[24:25], 2, v[22:23]
	s_wait_loadcnt 0x0
	global_store_b32 v[22:23], v37, off
.LBB44_30:                              ;   in Loop: Header=BB44_31 Depth=2
	s_wait_xcnt 0x0
	s_or_b32 exec_lo, exec_lo, s27
	v_add_nc_u64_e32 v[14:15], 4, v[14:15]
	v_add_nc_u64_e32 v[12:13], 4, v[12:13]
	v_add_nc_u32_e32 v20, s4, v20
	v_add_nc_u32_e32 v16, 32, v16
	s_add_co_i32 s22, s22, -1
	s_delay_alu instid0(SALU_CYCLE_1)
	s_cmp_eq_u32 s22, 0
	s_cbranch_scc1 .LBB44_9
.LBB44_31:                              ;   Parent Loop BB44_10 Depth=1
                                        ; =>  This Inner Loop Header: Depth=2
	global_load_b32 v17, v[14:15], off
	s_mov_b32 s27, exec_lo
	s_wait_loadcnt 0x0
	v_cmpx_gt_i32_e64 s6, v17
	s_cbranch_execz .LBB44_30
; %bb.32:                               ;   in Loop: Header=BB44_31 Depth=2
	v_dual_sub_nc_u32 v10, 0, v17 :: v_dual_ashrrev_i32 v36, 31, v17
	s_delay_alu instid0(VALU_DEP_1) | instskip(NEXT) | instid1(VALU_DEP_1)
	v_max_i32_e32 v10, v17, v10
	v_mul_u64_e32 v[22:23], s[10:11], v[10:11]
	s_delay_alu instid0(VALU_DEP_1) | instskip(NEXT) | instid1(VALU_DEP_1)
	v_mul_lo_u32 v21, v23, s24
	v_dual_add_nc_u32 v22, 1, v23 :: v_dual_sub_nc_u32 v21, v10, v21
	s_delay_alu instid0(VALU_DEP_1) | instskip(NEXT) | instid1(VALU_DEP_2)
	v_cmp_le_u32_e32 vcc_lo, s24, v21
	v_cndmask_b32_e32 v22, v23, v22, vcc_lo
	v_subrev_nc_u32_e32 v24, s24, v21
	s_delay_alu instid0(VALU_DEP_1) | instskip(NEXT) | instid1(VALU_DEP_1)
	v_dual_add_nc_u32 v23, 1, v22 :: v_dual_cndmask_b32 v21, v21, v24, vcc_lo
	v_cmp_le_u32_e32 vcc_lo, s24, v21
	s_delay_alu instid0(VALU_DEP_2) | instskip(NEXT) | instid1(VALU_DEP_1)
	v_dual_cndmask_b32 v21, v22, v23, vcc_lo :: v_dual_bitop2_b32 v24, s5, v36 bitop3:0x14
	v_xor_b32_e32 v21, v21, v24
	s_delay_alu instid0(VALU_DEP_1) | instskip(NEXT) | instid1(VALU_DEP_1)
	v_sub_nc_u32_e32 v21, v21, v24
	v_cmp_eq_u32_e32 vcc_lo, v21, v35
	s_and_b32 exec_lo, exec_lo, vcc_lo
	s_cbranch_execz .LBB44_30
; %bb.33:                               ;   in Loop: Header=BB44_31 Depth=2
	global_load_b32 v37, v[12:13], off
	s_and_b32 vcc_lo, exec_lo, s1
	s_cbranch_vccz .LBB44_35
; %bb.34:                               ;   in Loop: Header=BB44_31 Depth=2
	v_mul_lo_u32 v21, v35, s12
	s_delay_alu instid0(VALU_DEP_1) | instskip(NEXT) | instid1(VALU_DEP_1)
	v_sub_nc_u32_e32 v17, v17, v21
	v_mul_lo_u32 v22, v17, s12
	v_mov_b32_e32 v17, v11
	s_delay_alu instid0(VALU_DEP_1) | instskip(NEXT) | instid1(VALU_DEP_3)
	v_mov_b64_e32 v[24:25], v[16:17]
	v_ashrrev_i32_e32 v23, 31, v22
	s_cbranch_execnz .LBB44_29
	s_branch .LBB44_36
.LBB44_35:                              ;   in Loop: Header=BB44_31 Depth=2
	v_mov_b32_e32 v21, v11
                                        ; implicit-def: $vgpr24_vgpr25
	s_delay_alu instid0(VALU_DEP_1)
	v_mov_b64_e32 v[22:23], v[20:21]
.LBB44_36:                              ;   in Loop: Header=BB44_31 Depth=2
	v_mul_u64_e32 v[24:25], s[10:11], v[10:11]
	s_delay_alu instid0(VALU_DEP_1) | instskip(NEXT) | instid1(VALU_DEP_1)
	v_mul_lo_u32 v17, v25, s24
	v_sub_nc_u32_e32 v10, v10, v17
	s_delay_alu instid0(VALU_DEP_1) | instskip(SKIP_1) | instid1(VALU_DEP_2)
	v_subrev_nc_u32_e32 v17, s24, v10
	v_cmp_le_u32_e32 vcc_lo, s24, v10
	v_cndmask_b32_e32 v10, v10, v17, vcc_lo
	s_delay_alu instid0(VALU_DEP_1) | instskip(SKIP_1) | instid1(VALU_DEP_2)
	v_subrev_nc_u32_e32 v17, s24, v10
	v_cmp_le_u32_e32 vcc_lo, s24, v10
	v_cndmask_b32_e32 v10, v10, v17, vcc_lo
	s_delay_alu instid0(VALU_DEP_1) | instskip(NEXT) | instid1(VALU_DEP_1)
	v_xor_b32_e32 v10, v10, v36
	v_sub_nc_u32_e32 v24, v10, v36
	s_delay_alu instid0(VALU_DEP_1)
	v_ashrrev_i32_e32 v25, 31, v24
	s_branch .LBB44_29
.LBB44_37:
	s_endpgm
	.section	.rodata,"a",@progbits
	.p2align	6, 0x0
	.amdhsa_kernel _ZN9rocsparseL21csr2bsr_65_inf_kernelILj32EfiiEEv20rocsparse_direction_T2_S2_S2_S2_S2_S2_21rocsparse_index_base_PKT0_PKT1_PKS2_S3_PS4_PS7_PS2_SD_SE_SC_
		.amdhsa_group_segment_fixed_size 0
		.amdhsa_private_segment_fixed_size 0
		.amdhsa_kernarg_size 112
		.amdhsa_user_sgpr_count 2
		.amdhsa_user_sgpr_dispatch_ptr 0
		.amdhsa_user_sgpr_queue_ptr 0
		.amdhsa_user_sgpr_kernarg_segment_ptr 1
		.amdhsa_user_sgpr_dispatch_id 0
		.amdhsa_user_sgpr_kernarg_preload_length 0
		.amdhsa_user_sgpr_kernarg_preload_offset 0
		.amdhsa_user_sgpr_private_segment_size 0
		.amdhsa_wavefront_size32 1
		.amdhsa_uses_dynamic_stack 0
		.amdhsa_enable_private_segment 0
		.amdhsa_system_sgpr_workgroup_id_x 1
		.amdhsa_system_sgpr_workgroup_id_y 0
		.amdhsa_system_sgpr_workgroup_id_z 0
		.amdhsa_system_sgpr_workgroup_info 0
		.amdhsa_system_vgpr_workitem_id 0
		.amdhsa_next_free_vgpr 38
		.amdhsa_next_free_sgpr 36
		.amdhsa_named_barrier_count 0
		.amdhsa_reserve_vcc 1
		.amdhsa_float_round_mode_32 0
		.amdhsa_float_round_mode_16_64 0
		.amdhsa_float_denorm_mode_32 3
		.amdhsa_float_denorm_mode_16_64 3
		.amdhsa_fp16_overflow 0
		.amdhsa_memory_ordered 1
		.amdhsa_forward_progress 1
		.amdhsa_inst_pref_size 17
		.amdhsa_round_robin_scheduling 0
		.amdhsa_exception_fp_ieee_invalid_op 0
		.amdhsa_exception_fp_denorm_src 0
		.amdhsa_exception_fp_ieee_div_zero 0
		.amdhsa_exception_fp_ieee_overflow 0
		.amdhsa_exception_fp_ieee_underflow 0
		.amdhsa_exception_fp_ieee_inexact 0
		.amdhsa_exception_int_div_zero 0
	.end_amdhsa_kernel
	.section	.text._ZN9rocsparseL21csr2bsr_65_inf_kernelILj32EfiiEEv20rocsparse_direction_T2_S2_S2_S2_S2_S2_21rocsparse_index_base_PKT0_PKT1_PKS2_S3_PS4_PS7_PS2_SD_SE_SC_,"axG",@progbits,_ZN9rocsparseL21csr2bsr_65_inf_kernelILj32EfiiEEv20rocsparse_direction_T2_S2_S2_S2_S2_S2_21rocsparse_index_base_PKT0_PKT1_PKS2_S3_PS4_PS7_PS2_SD_SE_SC_,comdat
.Lfunc_end44:
	.size	_ZN9rocsparseL21csr2bsr_65_inf_kernelILj32EfiiEEv20rocsparse_direction_T2_S2_S2_S2_S2_S2_21rocsparse_index_base_PKT0_PKT1_PKS2_S3_PS4_PS7_PS2_SD_SE_SC_, .Lfunc_end44-_ZN9rocsparseL21csr2bsr_65_inf_kernelILj32EfiiEEv20rocsparse_direction_T2_S2_S2_S2_S2_S2_21rocsparse_index_base_PKT0_PKT1_PKS2_S3_PS4_PS7_PS2_SD_SE_SC_
                                        ; -- End function
	.set _ZN9rocsparseL21csr2bsr_65_inf_kernelILj32EfiiEEv20rocsparse_direction_T2_S2_S2_S2_S2_S2_21rocsparse_index_base_PKT0_PKT1_PKS2_S3_PS4_PS7_PS2_SD_SE_SC_.num_vgpr, 38
	.set _ZN9rocsparseL21csr2bsr_65_inf_kernelILj32EfiiEEv20rocsparse_direction_T2_S2_S2_S2_S2_S2_21rocsparse_index_base_PKT0_PKT1_PKS2_S3_PS4_PS7_PS2_SD_SE_SC_.num_agpr, 0
	.set _ZN9rocsparseL21csr2bsr_65_inf_kernelILj32EfiiEEv20rocsparse_direction_T2_S2_S2_S2_S2_S2_21rocsparse_index_base_PKT0_PKT1_PKS2_S3_PS4_PS7_PS2_SD_SE_SC_.numbered_sgpr, 36
	.set _ZN9rocsparseL21csr2bsr_65_inf_kernelILj32EfiiEEv20rocsparse_direction_T2_S2_S2_S2_S2_S2_21rocsparse_index_base_PKT0_PKT1_PKS2_S3_PS4_PS7_PS2_SD_SE_SC_.num_named_barrier, 0
	.set _ZN9rocsparseL21csr2bsr_65_inf_kernelILj32EfiiEEv20rocsparse_direction_T2_S2_S2_S2_S2_S2_21rocsparse_index_base_PKT0_PKT1_PKS2_S3_PS4_PS7_PS2_SD_SE_SC_.private_seg_size, 0
	.set _ZN9rocsparseL21csr2bsr_65_inf_kernelILj32EfiiEEv20rocsparse_direction_T2_S2_S2_S2_S2_S2_21rocsparse_index_base_PKT0_PKT1_PKS2_S3_PS4_PS7_PS2_SD_SE_SC_.uses_vcc, 1
	.set _ZN9rocsparseL21csr2bsr_65_inf_kernelILj32EfiiEEv20rocsparse_direction_T2_S2_S2_S2_S2_S2_21rocsparse_index_base_PKT0_PKT1_PKS2_S3_PS4_PS7_PS2_SD_SE_SC_.uses_flat_scratch, 0
	.set _ZN9rocsparseL21csr2bsr_65_inf_kernelILj32EfiiEEv20rocsparse_direction_T2_S2_S2_S2_S2_S2_21rocsparse_index_base_PKT0_PKT1_PKS2_S3_PS4_PS7_PS2_SD_SE_SC_.has_dyn_sized_stack, 0
	.set _ZN9rocsparseL21csr2bsr_65_inf_kernelILj32EfiiEEv20rocsparse_direction_T2_S2_S2_S2_S2_S2_21rocsparse_index_base_PKT0_PKT1_PKS2_S3_PS4_PS7_PS2_SD_SE_SC_.has_recursion, 0
	.set _ZN9rocsparseL21csr2bsr_65_inf_kernelILj32EfiiEEv20rocsparse_direction_T2_S2_S2_S2_S2_S2_21rocsparse_index_base_PKT0_PKT1_PKS2_S3_PS4_PS7_PS2_SD_SE_SC_.has_indirect_call, 0
	.section	.AMDGPU.csdata,"",@progbits
; Kernel info:
; codeLenInByte = 2108
; TotalNumSgprs: 38
; NumVgprs: 38
; ScratchSize: 0
; MemoryBound: 0
; FloatMode: 240
; IeeeMode: 1
; LDSByteSize: 0 bytes/workgroup (compile time only)
; SGPRBlocks: 0
; VGPRBlocks: 2
; NumSGPRsForWavesPerEU: 38
; NumVGPRsForWavesPerEU: 38
; NamedBarCnt: 0
; Occupancy: 16
; WaveLimiterHint : 0
; COMPUTE_PGM_RSRC2:SCRATCH_EN: 0
; COMPUTE_PGM_RSRC2:USER_SGPR: 2
; COMPUTE_PGM_RSRC2:TRAP_HANDLER: 0
; COMPUTE_PGM_RSRC2:TGID_X_EN: 1
; COMPUTE_PGM_RSRC2:TGID_Y_EN: 0
; COMPUTE_PGM_RSRC2:TGID_Z_EN: 0
; COMPUTE_PGM_RSRC2:TIDIG_COMP_CNT: 0
	.section	.text._ZN9rocsparseL35csr2bsr_block_dim_equals_one_kernelILj256EfliEEvT2_S1_S1_S1_21rocsparse_index_base_PKT0_PKT1_PKS1_S2_PS3_PS6_PS1_,"axG",@progbits,_ZN9rocsparseL35csr2bsr_block_dim_equals_one_kernelILj256EfliEEvT2_S1_S1_S1_21rocsparse_index_base_PKT0_PKT1_PKS1_S2_PS3_PS6_PS1_,comdat
	.globl	_ZN9rocsparseL35csr2bsr_block_dim_equals_one_kernelILj256EfliEEvT2_S1_S1_S1_21rocsparse_index_base_PKT0_PKT1_PKS1_S2_PS3_PS6_PS1_ ; -- Begin function _ZN9rocsparseL35csr2bsr_block_dim_equals_one_kernelILj256EfliEEvT2_S1_S1_S1_21rocsparse_index_base_PKT0_PKT1_PKS1_S2_PS3_PS6_PS1_
	.p2align	8
	.type	_ZN9rocsparseL35csr2bsr_block_dim_equals_one_kernelILj256EfliEEvT2_S1_S1_S1_21rocsparse_index_base_PKT0_PKT1_PKS1_S2_PS3_PS6_PS1_,@function
_ZN9rocsparseL35csr2bsr_block_dim_equals_one_kernelILj256EfliEEvT2_S1_S1_S1_21rocsparse_index_base_PKT0_PKT1_PKS1_S2_PS3_PS6_PS1_: ; @_ZN9rocsparseL35csr2bsr_block_dim_equals_one_kernelILj256EfliEEvT2_S1_S1_S1_21rocsparse_index_base_PKT0_PKT1_PKS1_S2_PS3_PS6_PS1_
; %bb.0:
	s_clause 0x1
	s_load_b32 s2, s[0:1], 0x0
	s_load_b128 s[4:7], s[0:1], 0x18
	s_bfe_u32 s3, ttmp6, 0x4000c
	s_and_b32 s8, ttmp6, 15
	s_add_co_i32 s3, s3, 1
	s_getreg_b32 s9, hwreg(HW_REG_IB_STS2, 6, 4)
	s_mul_i32 s3, ttmp9, s3
	s_delay_alu instid0(SALU_CYCLE_1)
	s_add_co_i32 s8, s8, s3
	s_wait_kmcnt 0x0
	s_ashr_i32 s3, s2, 31
	s_cmp_eq_u32 s9, 0
	s_cselect_b32 s12, ttmp9, s8
	s_lshl_b64 s[2:3], s[2:3], 3
	v_lshl_or_b32 v0, s12, 8, v0
	s_add_nc_u64 s[2:3], s[6:7], s[2:3]
	s_clause 0x1
	s_load_b64 s[8:9], s[2:3], 0x0
	s_load_b64 s[10:11], s[6:7], 0x0
	s_wait_xcnt 0x0
	s_mov_b32 s7, 0
	v_ashrrev_i32_e32 v1, 31, v0
	s_mov_b32 s6, exec_lo
	s_wait_kmcnt 0x0
	s_sub_nc_u64 s[2:3], s[8:9], s[10:11]
	s_delay_alu instid0(VALU_DEP_1) | instid1(SALU_CYCLE_1)
	v_cmpx_gt_i64_e64 s[2:3], v[0:1]
	s_cbranch_execz .LBB45_3
; %bb.1:
	s_clause 0x3
	s_load_b96 s[8:10], s[0:1], 0x48
	s_load_b96 s[12:14], s[0:1], 0x28
	s_load_b64 s[16:17], s[0:1], 0x38
	s_load_b32 s11, s[0:1], 0x10
	v_lshlrev_b64_e32 v[2:3], 2, v[0:1]
	s_wait_kmcnt 0x0
	s_lshl_b32 s6, s10, 8
	s_delay_alu instid0(SALU_CYCLE_1)
	s_lshl_b64 s[0:1], s[6:7], 2
	s_sub_co_i32 s10, s14, s11
	s_mov_b32 s11, s7
.LBB45_2:                               ; =>This Inner Loop Header: Depth=1
	s_delay_alu instid0(VALU_DEP_1)
	v_add_nc_u64_e32 v[4:5], s[12:13], v[2:3]
	v_add_nc_u64_e32 v[6:7], s[4:5], v[2:3]
	;; [unrolled: 1-line block ×3, first 2 shown]
	global_load_b32 v8, v[4:5], off
	global_load_b32 v9, v[6:7], off
	s_wait_xcnt 0x1
	v_add_nc_u64_e32 v[4:5], s[16:17], v[2:3]
	v_cmp_le_i64_e32 vcc_lo, s[2:3], v[0:1]
	s_wait_xcnt 0x0
	v_add_nc_u64_e32 v[6:7], s[8:9], v[2:3]
	v_add_nc_u64_e32 v[2:3], s[0:1], v[2:3]
	s_or_b32 s11, vcc_lo, s11
	s_wait_loadcnt 0x1
	v_add_nc_u32_e32 v8, s10, v8
	s_wait_loadcnt 0x0
	global_store_b32 v[4:5], v9, off
	global_store_b32 v[6:7], v8, off
	s_wait_xcnt 0x0
	s_and_not1_b32 exec_lo, exec_lo, s11
	s_cbranch_execnz .LBB45_2
.LBB45_3:
	s_endpgm
	.section	.rodata,"a",@progbits
	.p2align	6, 0x0
	.amdhsa_kernel _ZN9rocsparseL35csr2bsr_block_dim_equals_one_kernelILj256EfliEEvT2_S1_S1_S1_21rocsparse_index_base_PKT0_PKT1_PKS1_S2_PS3_PS6_PS1_
		.amdhsa_group_segment_fixed_size 0
		.amdhsa_private_segment_fixed_size 0
		.amdhsa_kernarg_size 336
		.amdhsa_user_sgpr_count 2
		.amdhsa_user_sgpr_dispatch_ptr 0
		.amdhsa_user_sgpr_queue_ptr 0
		.amdhsa_user_sgpr_kernarg_segment_ptr 1
		.amdhsa_user_sgpr_dispatch_id 0
		.amdhsa_user_sgpr_kernarg_preload_length 0
		.amdhsa_user_sgpr_kernarg_preload_offset 0
		.amdhsa_user_sgpr_private_segment_size 0
		.amdhsa_wavefront_size32 1
		.amdhsa_uses_dynamic_stack 0
		.amdhsa_enable_private_segment 0
		.amdhsa_system_sgpr_workgroup_id_x 1
		.amdhsa_system_sgpr_workgroup_id_y 0
		.amdhsa_system_sgpr_workgroup_id_z 0
		.amdhsa_system_sgpr_workgroup_info 0
		.amdhsa_system_vgpr_workitem_id 0
		.amdhsa_next_free_vgpr 10
		.amdhsa_next_free_sgpr 18
		.amdhsa_named_barrier_count 0
		.amdhsa_reserve_vcc 1
		.amdhsa_float_round_mode_32 0
		.amdhsa_float_round_mode_16_64 0
		.amdhsa_float_denorm_mode_32 3
		.amdhsa_float_denorm_mode_16_64 3
		.amdhsa_fp16_overflow 0
		.amdhsa_memory_ordered 1
		.amdhsa_forward_progress 1
		.amdhsa_inst_pref_size 3
		.amdhsa_round_robin_scheduling 0
		.amdhsa_exception_fp_ieee_invalid_op 0
		.amdhsa_exception_fp_denorm_src 0
		.amdhsa_exception_fp_ieee_div_zero 0
		.amdhsa_exception_fp_ieee_overflow 0
		.amdhsa_exception_fp_ieee_underflow 0
		.amdhsa_exception_fp_ieee_inexact 0
		.amdhsa_exception_int_div_zero 0
	.end_amdhsa_kernel
	.section	.text._ZN9rocsparseL35csr2bsr_block_dim_equals_one_kernelILj256EfliEEvT2_S1_S1_S1_21rocsparse_index_base_PKT0_PKT1_PKS1_S2_PS3_PS6_PS1_,"axG",@progbits,_ZN9rocsparseL35csr2bsr_block_dim_equals_one_kernelILj256EfliEEvT2_S1_S1_S1_21rocsparse_index_base_PKT0_PKT1_PKS1_S2_PS3_PS6_PS1_,comdat
.Lfunc_end45:
	.size	_ZN9rocsparseL35csr2bsr_block_dim_equals_one_kernelILj256EfliEEvT2_S1_S1_S1_21rocsparse_index_base_PKT0_PKT1_PKS1_S2_PS3_PS6_PS1_, .Lfunc_end45-_ZN9rocsparseL35csr2bsr_block_dim_equals_one_kernelILj256EfliEEvT2_S1_S1_S1_21rocsparse_index_base_PKT0_PKT1_PKS1_S2_PS3_PS6_PS1_
                                        ; -- End function
	.set _ZN9rocsparseL35csr2bsr_block_dim_equals_one_kernelILj256EfliEEvT2_S1_S1_S1_21rocsparse_index_base_PKT0_PKT1_PKS1_S2_PS3_PS6_PS1_.num_vgpr, 10
	.set _ZN9rocsparseL35csr2bsr_block_dim_equals_one_kernelILj256EfliEEvT2_S1_S1_S1_21rocsparse_index_base_PKT0_PKT1_PKS1_S2_PS3_PS6_PS1_.num_agpr, 0
	.set _ZN9rocsparseL35csr2bsr_block_dim_equals_one_kernelILj256EfliEEvT2_S1_S1_S1_21rocsparse_index_base_PKT0_PKT1_PKS1_S2_PS3_PS6_PS1_.numbered_sgpr, 18
	.set _ZN9rocsparseL35csr2bsr_block_dim_equals_one_kernelILj256EfliEEvT2_S1_S1_S1_21rocsparse_index_base_PKT0_PKT1_PKS1_S2_PS3_PS6_PS1_.num_named_barrier, 0
	.set _ZN9rocsparseL35csr2bsr_block_dim_equals_one_kernelILj256EfliEEvT2_S1_S1_S1_21rocsparse_index_base_PKT0_PKT1_PKS1_S2_PS3_PS6_PS1_.private_seg_size, 0
	.set _ZN9rocsparseL35csr2bsr_block_dim_equals_one_kernelILj256EfliEEvT2_S1_S1_S1_21rocsparse_index_base_PKT0_PKT1_PKS1_S2_PS3_PS6_PS1_.uses_vcc, 1
	.set _ZN9rocsparseL35csr2bsr_block_dim_equals_one_kernelILj256EfliEEvT2_S1_S1_S1_21rocsparse_index_base_PKT0_PKT1_PKS1_S2_PS3_PS6_PS1_.uses_flat_scratch, 0
	.set _ZN9rocsparseL35csr2bsr_block_dim_equals_one_kernelILj256EfliEEvT2_S1_S1_S1_21rocsparse_index_base_PKT0_PKT1_PKS1_S2_PS3_PS6_PS1_.has_dyn_sized_stack, 0
	.set _ZN9rocsparseL35csr2bsr_block_dim_equals_one_kernelILj256EfliEEvT2_S1_S1_S1_21rocsparse_index_base_PKT0_PKT1_PKS1_S2_PS3_PS6_PS1_.has_recursion, 0
	.set _ZN9rocsparseL35csr2bsr_block_dim_equals_one_kernelILj256EfliEEvT2_S1_S1_S1_21rocsparse_index_base_PKT0_PKT1_PKS1_S2_PS3_PS6_PS1_.has_indirect_call, 0
	.section	.AMDGPU.csdata,"",@progbits
; Kernel info:
; codeLenInByte = 328
; TotalNumSgprs: 20
; NumVgprs: 10
; ScratchSize: 0
; MemoryBound: 0
; FloatMode: 240
; IeeeMode: 1
; LDSByteSize: 0 bytes/workgroup (compile time only)
; SGPRBlocks: 0
; VGPRBlocks: 0
; NumSGPRsForWavesPerEU: 20
; NumVGPRsForWavesPerEU: 10
; NamedBarCnt: 0
; Occupancy: 16
; WaveLimiterHint : 0
; COMPUTE_PGM_RSRC2:SCRATCH_EN: 0
; COMPUTE_PGM_RSRC2:USER_SGPR: 2
; COMPUTE_PGM_RSRC2:TRAP_HANDLER: 0
; COMPUTE_PGM_RSRC2:TGID_X_EN: 1
; COMPUTE_PGM_RSRC2:TGID_Y_EN: 0
; COMPUTE_PGM_RSRC2:TGID_Z_EN: 0
; COMPUTE_PGM_RSRC2:TIDIG_COMP_CNT: 0
	.section	.text._ZN9rocsparseL42csr2bsr_wavefront_per_row_multipass_kernelILj256ELj16ELj4EfliEEv20rocsparse_direction_T4_S2_S2_S2_S2_21rocsparse_index_base_PKT2_PKT3_PKS2_S3_PS4_PS7_PS2_,"axG",@progbits,_ZN9rocsparseL42csr2bsr_wavefront_per_row_multipass_kernelILj256ELj16ELj4EfliEEv20rocsparse_direction_T4_S2_S2_S2_S2_21rocsparse_index_base_PKT2_PKT3_PKS2_S3_PS4_PS7_PS2_,comdat
	.globl	_ZN9rocsparseL42csr2bsr_wavefront_per_row_multipass_kernelILj256ELj16ELj4EfliEEv20rocsparse_direction_T4_S2_S2_S2_S2_21rocsparse_index_base_PKT2_PKT3_PKS2_S3_PS4_PS7_PS2_ ; -- Begin function _ZN9rocsparseL42csr2bsr_wavefront_per_row_multipass_kernelILj256ELj16ELj4EfliEEv20rocsparse_direction_T4_S2_S2_S2_S2_21rocsparse_index_base_PKT2_PKT3_PKS2_S3_PS4_PS7_PS2_
	.p2align	8
	.type	_ZN9rocsparseL42csr2bsr_wavefront_per_row_multipass_kernelILj256ELj16ELj4EfliEEv20rocsparse_direction_T4_S2_S2_S2_S2_21rocsparse_index_base_PKT2_PKT3_PKS2_S3_PS4_PS7_PS2_,@function
_ZN9rocsparseL42csr2bsr_wavefront_per_row_multipass_kernelILj256ELj16ELj4EfliEEv20rocsparse_direction_T4_S2_S2_S2_S2_21rocsparse_index_base_PKT2_PKT3_PKS2_S3_PS4_PS7_PS2_: ; @_ZN9rocsparseL42csr2bsr_wavefront_per_row_multipass_kernelILj256ELj16ELj4EfliEEv20rocsparse_direction_T4_S2_S2_S2_S2_21rocsparse_index_base_PKT2_PKT3_PKS2_S3_PS4_PS7_PS2_
; %bb.0:
	s_clause 0x1
	s_load_b128 s[4:7], s[0:1], 0xc
	s_load_b64 s[14:15], s[0:1], 0x0
	s_bfe_u32 s2, ttmp6, 0x4000c
	s_and_b32 s3, ttmp6, 15
	s_add_co_i32 s2, s2, 1
	s_getreg_b32 s8, hwreg(HW_REG_IB_STS2, 6, 4)
	s_mul_i32 s2, ttmp9, s2
	v_lshrrev_b32_e32 v26, 4, v0
	s_add_co_i32 s3, s3, s2
	s_cmp_eq_u32 s8, 0
	v_bfe_u32 v7, v0, 2, 2
	s_cselect_b32 s2, ttmp9, s3
	s_load_b64 s[8:9], s[0:1], 0x28
	v_lshl_or_b32 v1, s2, 4, v26
	v_mov_b64_e32 v[2:3], 0
	v_mov_b64_e32 v[12:13], 0
	s_mov_b32 s3, 0
	s_wait_kmcnt 0x0
	v_mad_u32 v4, v1, s6, v7
	v_cmp_gt_i32_e32 vcc_lo, s6, v7
	s_delay_alu instid0(VALU_DEP_2) | instskip(SKIP_1) | instid1(SALU_CYCLE_1)
	v_cmp_gt_i32_e64 s2, s15, v4
	s_and_b32 s10, vcc_lo, s2
	s_and_saveexec_b32 s11, s10
	s_cbranch_execz .LBB46_2
; %bb.1:
	global_load_b64 v[8:9], v4, s[8:9] scale_offset
	s_mov_b32 s2, s7
	s_wait_loadcnt 0x0
	v_sub_nc_u64_e64 v[12:13], v[8:9], s[2:3]
.LBB46_2:
	s_or_b32 exec_lo, exec_lo, s11
	s_and_saveexec_b32 s2, s10
	s_cbranch_execz .LBB46_4
; %bb.3:
	global_load_b64 v[2:3], v4, s[8:9] offset:8 scale_offset
	s_wait_xcnt 0x0
	s_mov_b32 s9, 0
	s_mov_b32 s8, s7
	s_wait_loadcnt 0x0
	v_sub_nc_u64_e64 v[2:3], v[2:3], s[8:9]
.LBB46_4:
	s_or_b32 exec_lo, exec_lo, s2
	s_load_b32 s8, s[0:1], 0x38
	v_mov_b64_e32 v[4:5], 0
	s_mov_b32 s3, exec_lo
	v_cmpx_gt_i32_e64 s4, v1
	s_cbranch_execz .LBB46_6
; %bb.5:
	s_load_b64 s[10:11], s[0:1], 0x48
	s_mov_b32 s9, 0
	s_wait_kmcnt 0x0
	global_load_b64 v[4:5], v1, s[10:11] scale_offset
	s_wait_loadcnt 0x0
	v_sub_nc_u64_e64 v[4:5], v[4:5], s[8:9]
.LBB46_6:
	s_or_b32 exec_lo, exec_lo, s3
	s_cmp_lt_i32 s5, 1
	s_cbranch_scc1 .LBB46_24
; %bb.7:
	s_load_b64 s[16:17], s[0:1], 0x40
	v_dual_lshlrev_b32 v8, 4, v7 :: v_dual_bitop2_b32 v6, 3, v0 bitop3:0x40
	v_and_b32_e32 v1, 0xf0, v0
	v_mbcnt_lo_u32_b32 v16, -1, 0
	s_clause 0x2
	s_load_b64 s[2:3], s[0:1], 0x50
	s_load_b64 s[10:11], s[0:1], 0x20
	;; [unrolled: 1-line block ×3, first 2 shown]
	v_mul_lo_u32 v0, s6, v6
	v_lshlrev_b32_e32 v10, 2, v6
	v_lshl_or_b32 v27, v1, 2, v8
	v_dual_mov_b32 v1, 0 :: v_dual_bitop2_b32 v8, 2, v16 bitop3:0x14
	v_xor_b32_e32 v11, 1, v16
	s_wait_xcnt 0x0
	v_cmp_gt_u32_e64 s0, s6, v6
	v_xor_b32_e32 v19, 8, v16
	v_cmp_gt_i32_e64 s1, 32, v8
	v_or_b32_e32 v28, v27, v10
	s_mov_b32 s15, 0
	v_lshlrev_b32_e32 v17, 2, v16
	s_mov_b32 s19, s15
	v_cndmask_b32_e64 v14, v16, v8, s1
	s_wait_kmcnt 0x0
	v_lshl_add_u64 v[8:9], v[0:1], 2, s[16:17]
	v_lshlrev_b32_e32 v0, 2, v7
	s_and_b32 s1, vcc_lo, s0
	s_cmp_lg_u32 s14, 0
	v_cmp_gt_i32_e32 vcc_lo, 32, v11
	s_cselect_b32 s4, -1, 0
	s_abs_i32 s9, s6
	v_add_nc_u64_e32 v[8:9], v[8:9], v[0:1]
	v_mul_lo_u32 v0, s6, v7
	s_cvt_f32_u32 s0, s9
	v_dual_cndmask_b32 v11, v16, v11, vcc_lo :: v_dual_mov_b32 v7, v1
	v_lshlrev_b32_e32 v29, 2, v14
	s_delay_alu instid0(SALU_CYCLE_1) | instskip(SKIP_1) | instid1(VALU_DEP_3)
	v_rcp_iflag_f32_e32 v18, s0
	v_cmp_gt_i32_e32 vcc_lo, 32, v19
	v_dual_lshlrev_b32 v30, 2, v11 :: v_dual_bitop2_b32 v31, 12, v17 bitop3:0x54
	v_mov_b32_e32 v11, v1
	s_mov_b32 s14, s6
	v_lshl_add_u64 v[14:15], v[0:1], 2, s[16:17]
	v_xor_b32_e32 v0, 4, v16
	v_readfirstlane_b32 s0, v18
	v_cndmask_b32_e32 v18, v16, v19, vcc_lo
	s_mul_u64 s[16:17], s[14:15], s[14:15]
	s_sub_co_i32 s14, 0, s9
	v_cmp_gt_i32_e32 vcc_lo, 32, v0
	s_mul_f32 s0, s0, 0x4f7ffffe
	v_add_nc_u64_e32 v[10:11], v[14:15], v[10:11]
	v_mov_b64_e32 v[14:15], 0
	v_dual_lshlrev_b32 v32, 2, v18 :: v_dual_cndmask_b32 v0, v16, v0, vcc_lo
	v_or_b32_e32 v34, 60, v17
	s_cvt_u32_f32 s0, s0
	v_mov_b32_e32 v35, 1
	s_ashr_i32 s18, s6, 31
	v_lshlrev_b32_e32 v33, 2, v0
	s_mul_i32 s14, s14, s0
	s_delay_alu instid0(SALU_CYCLE_1) | instskip(NEXT) | instid1(SALU_CYCLE_1)
	s_mul_hi_u32 s14, s0, s14
	s_add_co_i32 s14, s0, s14
	s_branch .LBB46_10
.LBB46_8:                               ;   in Loop: Header=BB46_10 Depth=1
	s_wait_xcnt 0x0
	s_or_b32 exec_lo, exec_lo, s20
	v_mov_b64_e32 v[16:17], 1
.LBB46_9:                               ;   in Loop: Header=BB46_10 Depth=1
	s_or_b32 exec_lo, exec_lo, s0
	s_wait_dscnt 0x0
	ds_bpermute_b32 v0, v32, v36
	v_add_nc_u64_e32 v[4:5], v[16:17], v[4:5]
	s_wait_storecnt_dscnt 0x0
	v_min_i32_e32 v0, v0, v36
	ds_bpermute_b32 v14, v33, v0
	s_wait_dscnt 0x0
	v_min_i32_e32 v0, v14, v0
	ds_bpermute_b32 v14, v29, v0
	s_wait_dscnt 0x0
	;; [unrolled: 3-line block ×4, first 2 shown]
	v_cmp_le_i32_e32 vcc_lo, s5, v14
	v_ashrrev_i32_e32 v15, 31, v14
	s_or_b32 s19, vcc_lo, s19
	s_delay_alu instid0(SALU_CYCLE_1)
	s_and_not1_b32 exec_lo, exec_lo, s19
	s_cbranch_execz .LBB46_24
.LBB46_10:                              ; =>This Loop Header: Depth=1
                                        ;     Child Loop BB46_13 Depth 2
	v_add_nc_u64_e32 v[12:13], v[12:13], v[6:7]
	v_mov_b64_e32 v[20:21], v[2:3]
	v_mov_b32_e32 v36, s5
	s_mov_b32 s20, exec_lo
	ds_store_b8 v26, v1 offset:1024
	ds_store_b32 v28, v1
	s_wait_dscnt 0x0
	v_cmpx_lt_i64_e64 v[12:13], v[2:3]
	s_cbranch_execz .LBB46_18
; %bb.11:                               ;   in Loop: Header=BB46_10 Depth=1
	v_lshlrev_b64_e32 v[18:19], 2, v[12:13]
	v_mov_b64_e32 v[20:21], v[2:3]
	v_mov_b32_e32 v36, s5
	s_mov_b32 s21, 0
	s_delay_alu instid0(VALU_DEP_3)
	v_add_nc_u64_e32 v[16:17], s[10:11], v[18:19]
	v_add_nc_u64_e32 v[18:19], s[12:13], v[18:19]
	s_branch .LBB46_13
.LBB46_12:                              ;   in Loop: Header=BB46_13 Depth=2
	s_wait_xcnt 0x0
	s_or_b32 exec_lo, exec_lo, s0
	v_add_nc_u64_e32 v[12:13], 4, v[12:13]
	s_xor_b32 s22, vcc_lo, -1
	v_add_nc_u64_e32 v[16:17], 16, v[16:17]
	v_add_nc_u64_e32 v[18:19], 16, v[18:19]
	s_delay_alu instid0(VALU_DEP_3) | instskip(SKIP_1) | instid1(SALU_CYCLE_1)
	v_cmp_ge_i64_e64 s0, v[12:13], v[2:3]
	s_or_b32 s0, s22, s0
	s_and_b32 s0, exec_lo, s0
	s_delay_alu instid0(SALU_CYCLE_1) | instskip(NEXT) | instid1(SALU_CYCLE_1)
	s_or_b32 s21, s0, s21
	s_and_not1_b32 exec_lo, exec_lo, s21
	s_cbranch_execz .LBB46_17
.LBB46_13:                              ;   Parent Loop BB46_10 Depth=1
                                        ; =>  This Inner Loop Header: Depth=2
	global_load_b32 v0, v[18:19], off
	s_wait_loadcnt 0x0
	v_subrev_nc_u32_e32 v37, s7, v0
	s_delay_alu instid0(VALU_DEP_1) | instskip(NEXT) | instid1(VALU_DEP_1)
	v_sub_nc_u32_e32 v0, 0, v37
	v_max_i32_e32 v0, v37, v0
	s_delay_alu instid0(VALU_DEP_1) | instskip(NEXT) | instid1(VALU_DEP_1)
	v_mul_u64_e32 v[22:23], s[14:15], v[0:1]
	v_mul_lo_u32 v22, v23, s9
	s_delay_alu instid0(VALU_DEP_1) | instskip(NEXT) | instid1(VALU_DEP_1)
	v_dual_sub_nc_u32 v0, v0, v22 :: v_dual_add_nc_u32 v22, 1, v23
	v_cmp_le_u32_e32 vcc_lo, s9, v0
	s_delay_alu instid0(VALU_DEP_2) | instskip(SKIP_1) | instid1(VALU_DEP_1)
	v_dual_cndmask_b32 v22, v23, v22 :: v_dual_ashrrev_i32 v23, 31, v37
	v_subrev_nc_u32_e32 v24, s9, v0
	v_dual_cndmask_b32 v0, v0, v24, vcc_lo :: v_dual_add_nc_u32 v24, 1, v22
	s_delay_alu instid0(VALU_DEP_1) | instskip(NEXT) | instid1(VALU_DEP_2)
	v_cmp_le_u32_e32 vcc_lo, s9, v0
	v_dual_cndmask_b32 v0, v22, v24, vcc_lo :: v_dual_bitop2_b32 v23, s18, v23 bitop3:0x14
	v_mov_b64_e32 v[24:25], v[20:21]
	s_delay_alu instid0(VALU_DEP_2) | instskip(NEXT) | instid1(VALU_DEP_1)
	v_xor_b32_e32 v0, v0, v23
	v_sub_nc_u32_e32 v22, v0, v23
	s_delay_alu instid0(VALU_DEP_1) | instskip(NEXT) | instid1(VALU_DEP_1)
	v_ashrrev_i32_e32 v23, 31, v22
	v_cmp_ne_u64_e64 s0, v[14:15], v[22:23]
	v_cmp_eq_u64_e32 vcc_lo, v[14:15], v[22:23]
	s_wait_xcnt 0x0
	s_and_saveexec_b32 s22, s0
	s_delay_alu instid0(SALU_CYCLE_1)
	s_xor_b32 s0, exec_lo, s22
; %bb.14:                               ;   in Loop: Header=BB46_13 Depth=2
	v_min_i32_e32 v36, v22, v36
                                        ; implicit-def: $vgpr22
                                        ; implicit-def: $vgpr37
                                        ; implicit-def: $vgpr24_vgpr25
; %bb.15:                               ;   in Loop: Header=BB46_13 Depth=2
	s_or_saveexec_b32 s0, s0
	v_mov_b64_e32 v[20:21], v[12:13]
	s_xor_b32 exec_lo, exec_lo, s0
	s_cbranch_execz .LBB46_12
; %bb.16:                               ;   in Loop: Header=BB46_13 Depth=2
	global_load_b32 v0, v[16:17], off
	v_mul_lo_u32 v20, v22, s6
	s_delay_alu instid0(VALU_DEP_1) | instskip(NEXT) | instid1(VALU_DEP_1)
	v_sub_nc_u32_e32 v20, v37, v20
	v_lshl_add_u32 v22, v20, 2, v27
	v_mov_b64_e32 v[20:21], v[24:25]
	ds_store_b8 v26, v35 offset:1024
	s_wait_loadcnt 0x0
	ds_store_b32 v22, v0
	s_branch .LBB46_12
.LBB46_17:                              ;   in Loop: Header=BB46_10 Depth=1
	s_or_b32 exec_lo, exec_lo, s21
.LBB46_18:                              ;   in Loop: Header=BB46_10 Depth=1
	s_delay_alu instid0(SALU_CYCLE_1)
	s_or_b32 exec_lo, exec_lo, s20
	ds_bpermute_b32 v12, v29, v20
	ds_bpermute_b32 v13, v29, v21
	s_wait_dscnt 0x0
	ds_load_u8 v0, v26 offset:1024
	s_mov_b32 s0, exec_lo
	v_min_i64 v[12:13], v[12:13], v[20:21]
	s_wait_dscnt 0x0
	v_and_b32_e32 v0, 1, v0
	ds_bpermute_b32 v16, v30, v12
	ds_bpermute_b32 v17, v30, v13
	s_wait_dscnt 0x0
	v_min_i64 v[12:13], v[16:17], v[12:13]
	v_mov_b64_e32 v[16:17], 0
	ds_bpermute_b32 v12, v31, v12
	ds_bpermute_b32 v13, v31, v13
	v_cmpx_eq_u32_e32 1, v0
	s_cbranch_execz .LBB46_9
; %bb.19:                               ;   in Loop: Header=BB46_10 Depth=1
	v_add_nc_u32_e32 v0, s8, v14
	v_lshl_add_u64 v[14:15], v[4:5], 2, s[2:3]
	global_store_b32 v[14:15], v0, off
	s_wait_xcnt 0x0
	s_and_saveexec_b32 s20, s1
	s_cbranch_execz .LBB46_8
; %bb.20:                               ;   in Loop: Header=BB46_10 Depth=1
	v_mul_u64_e32 v[14:15], s[16:17], v[4:5]
	ds_load_b32 v0, v28
	s_and_b32 vcc_lo, exec_lo, s4
	s_cbranch_vccz .LBB46_22
; %bb.21:                               ;   in Loop: Header=BB46_10 Depth=1
	v_lshl_add_u64 v[16:17], v[14:15], 2, v[8:9]
	s_wait_dscnt 0x0
	global_store_b32 v[16:17], v0, off
	s_cbranch_execnz .LBB46_8
	s_branch .LBB46_23
.LBB46_22:                              ;   in Loop: Header=BB46_10 Depth=1
.LBB46_23:                              ;   in Loop: Header=BB46_10 Depth=1
	v_lshl_add_u64 v[14:15], v[14:15], 2, v[10:11]
	s_wait_dscnt 0x0
	global_store_b32 v[14:15], v0, off
	s_branch .LBB46_8
.LBB46_24:
	s_endpgm
	.section	.rodata,"a",@progbits
	.p2align	6, 0x0
	.amdhsa_kernel _ZN9rocsparseL42csr2bsr_wavefront_per_row_multipass_kernelILj256ELj16ELj4EfliEEv20rocsparse_direction_T4_S2_S2_S2_S2_21rocsparse_index_base_PKT2_PKT3_PKS2_S3_PS4_PS7_PS2_
		.amdhsa_group_segment_fixed_size 1040
		.amdhsa_private_segment_fixed_size 0
		.amdhsa_kernarg_size 88
		.amdhsa_user_sgpr_count 2
		.amdhsa_user_sgpr_dispatch_ptr 0
		.amdhsa_user_sgpr_queue_ptr 0
		.amdhsa_user_sgpr_kernarg_segment_ptr 1
		.amdhsa_user_sgpr_dispatch_id 0
		.amdhsa_user_sgpr_kernarg_preload_length 0
		.amdhsa_user_sgpr_kernarg_preload_offset 0
		.amdhsa_user_sgpr_private_segment_size 0
		.amdhsa_wavefront_size32 1
		.amdhsa_uses_dynamic_stack 0
		.amdhsa_enable_private_segment 0
		.amdhsa_system_sgpr_workgroup_id_x 1
		.amdhsa_system_sgpr_workgroup_id_y 0
		.amdhsa_system_sgpr_workgroup_id_z 0
		.amdhsa_system_sgpr_workgroup_info 0
		.amdhsa_system_vgpr_workitem_id 0
		.amdhsa_next_free_vgpr 38
		.amdhsa_next_free_sgpr 23
		.amdhsa_named_barrier_count 0
		.amdhsa_reserve_vcc 1
		.amdhsa_float_round_mode_32 0
		.amdhsa_float_round_mode_16_64 0
		.amdhsa_float_denorm_mode_32 3
		.amdhsa_float_denorm_mode_16_64 3
		.amdhsa_fp16_overflow 0
		.amdhsa_memory_ordered 1
		.amdhsa_forward_progress 1
		.amdhsa_inst_pref_size 11
		.amdhsa_round_robin_scheduling 0
		.amdhsa_exception_fp_ieee_invalid_op 0
		.amdhsa_exception_fp_denorm_src 0
		.amdhsa_exception_fp_ieee_div_zero 0
		.amdhsa_exception_fp_ieee_overflow 0
		.amdhsa_exception_fp_ieee_underflow 0
		.amdhsa_exception_fp_ieee_inexact 0
		.amdhsa_exception_int_div_zero 0
	.end_amdhsa_kernel
	.section	.text._ZN9rocsparseL42csr2bsr_wavefront_per_row_multipass_kernelILj256ELj16ELj4EfliEEv20rocsparse_direction_T4_S2_S2_S2_S2_21rocsparse_index_base_PKT2_PKT3_PKS2_S3_PS4_PS7_PS2_,"axG",@progbits,_ZN9rocsparseL42csr2bsr_wavefront_per_row_multipass_kernelILj256ELj16ELj4EfliEEv20rocsparse_direction_T4_S2_S2_S2_S2_21rocsparse_index_base_PKT2_PKT3_PKS2_S3_PS4_PS7_PS2_,comdat
.Lfunc_end46:
	.size	_ZN9rocsparseL42csr2bsr_wavefront_per_row_multipass_kernelILj256ELj16ELj4EfliEEv20rocsparse_direction_T4_S2_S2_S2_S2_21rocsparse_index_base_PKT2_PKT3_PKS2_S3_PS4_PS7_PS2_, .Lfunc_end46-_ZN9rocsparseL42csr2bsr_wavefront_per_row_multipass_kernelILj256ELj16ELj4EfliEEv20rocsparse_direction_T4_S2_S2_S2_S2_21rocsparse_index_base_PKT2_PKT3_PKS2_S3_PS4_PS7_PS2_
                                        ; -- End function
	.set _ZN9rocsparseL42csr2bsr_wavefront_per_row_multipass_kernelILj256ELj16ELj4EfliEEv20rocsparse_direction_T4_S2_S2_S2_S2_21rocsparse_index_base_PKT2_PKT3_PKS2_S3_PS4_PS7_PS2_.num_vgpr, 38
	.set _ZN9rocsparseL42csr2bsr_wavefront_per_row_multipass_kernelILj256ELj16ELj4EfliEEv20rocsparse_direction_T4_S2_S2_S2_S2_21rocsparse_index_base_PKT2_PKT3_PKS2_S3_PS4_PS7_PS2_.num_agpr, 0
	.set _ZN9rocsparseL42csr2bsr_wavefront_per_row_multipass_kernelILj256ELj16ELj4EfliEEv20rocsparse_direction_T4_S2_S2_S2_S2_21rocsparse_index_base_PKT2_PKT3_PKS2_S3_PS4_PS7_PS2_.numbered_sgpr, 23
	.set _ZN9rocsparseL42csr2bsr_wavefront_per_row_multipass_kernelILj256ELj16ELj4EfliEEv20rocsparse_direction_T4_S2_S2_S2_S2_21rocsparse_index_base_PKT2_PKT3_PKS2_S3_PS4_PS7_PS2_.num_named_barrier, 0
	.set _ZN9rocsparseL42csr2bsr_wavefront_per_row_multipass_kernelILj256ELj16ELj4EfliEEv20rocsparse_direction_T4_S2_S2_S2_S2_21rocsparse_index_base_PKT2_PKT3_PKS2_S3_PS4_PS7_PS2_.private_seg_size, 0
	.set _ZN9rocsparseL42csr2bsr_wavefront_per_row_multipass_kernelILj256ELj16ELj4EfliEEv20rocsparse_direction_T4_S2_S2_S2_S2_21rocsparse_index_base_PKT2_PKT3_PKS2_S3_PS4_PS7_PS2_.uses_vcc, 1
	.set _ZN9rocsparseL42csr2bsr_wavefront_per_row_multipass_kernelILj256ELj16ELj4EfliEEv20rocsparse_direction_T4_S2_S2_S2_S2_21rocsparse_index_base_PKT2_PKT3_PKS2_S3_PS4_PS7_PS2_.uses_flat_scratch, 0
	.set _ZN9rocsparseL42csr2bsr_wavefront_per_row_multipass_kernelILj256ELj16ELj4EfliEEv20rocsparse_direction_T4_S2_S2_S2_S2_21rocsparse_index_base_PKT2_PKT3_PKS2_S3_PS4_PS7_PS2_.has_dyn_sized_stack, 0
	.set _ZN9rocsparseL42csr2bsr_wavefront_per_row_multipass_kernelILj256ELj16ELj4EfliEEv20rocsparse_direction_T4_S2_S2_S2_S2_21rocsparse_index_base_PKT2_PKT3_PKS2_S3_PS4_PS7_PS2_.has_recursion, 0
	.set _ZN9rocsparseL42csr2bsr_wavefront_per_row_multipass_kernelILj256ELj16ELj4EfliEEv20rocsparse_direction_T4_S2_S2_S2_S2_21rocsparse_index_base_PKT2_PKT3_PKS2_S3_PS4_PS7_PS2_.has_indirect_call, 0
	.section	.AMDGPU.csdata,"",@progbits
; Kernel info:
; codeLenInByte = 1396
; TotalNumSgprs: 25
; NumVgprs: 38
; ScratchSize: 0
; MemoryBound: 0
; FloatMode: 240
; IeeeMode: 1
; LDSByteSize: 1040 bytes/workgroup (compile time only)
; SGPRBlocks: 0
; VGPRBlocks: 2
; NumSGPRsForWavesPerEU: 25
; NumVGPRsForWavesPerEU: 38
; NamedBarCnt: 0
; Occupancy: 16
; WaveLimiterHint : 0
; COMPUTE_PGM_RSRC2:SCRATCH_EN: 0
; COMPUTE_PGM_RSRC2:USER_SGPR: 2
; COMPUTE_PGM_RSRC2:TRAP_HANDLER: 0
; COMPUTE_PGM_RSRC2:TGID_X_EN: 1
; COMPUTE_PGM_RSRC2:TGID_Y_EN: 0
; COMPUTE_PGM_RSRC2:TGID_Z_EN: 0
; COMPUTE_PGM_RSRC2:TIDIG_COMP_CNT: 0
	.section	.text._ZN9rocsparseL42csr2bsr_wavefront_per_row_multipass_kernelILj256ELj64ELj8EfliEEv20rocsparse_direction_T4_S2_S2_S2_S2_21rocsparse_index_base_PKT2_PKT3_PKS2_S3_PS4_PS7_PS2_,"axG",@progbits,_ZN9rocsparseL42csr2bsr_wavefront_per_row_multipass_kernelILj256ELj64ELj8EfliEEv20rocsparse_direction_T4_S2_S2_S2_S2_21rocsparse_index_base_PKT2_PKT3_PKS2_S3_PS4_PS7_PS2_,comdat
	.globl	_ZN9rocsparseL42csr2bsr_wavefront_per_row_multipass_kernelILj256ELj64ELj8EfliEEv20rocsparse_direction_T4_S2_S2_S2_S2_21rocsparse_index_base_PKT2_PKT3_PKS2_S3_PS4_PS7_PS2_ ; -- Begin function _ZN9rocsparseL42csr2bsr_wavefront_per_row_multipass_kernelILj256ELj64ELj8EfliEEv20rocsparse_direction_T4_S2_S2_S2_S2_21rocsparse_index_base_PKT2_PKT3_PKS2_S3_PS4_PS7_PS2_
	.p2align	8
	.type	_ZN9rocsparseL42csr2bsr_wavefront_per_row_multipass_kernelILj256ELj64ELj8EfliEEv20rocsparse_direction_T4_S2_S2_S2_S2_21rocsparse_index_base_PKT2_PKT3_PKS2_S3_PS4_PS7_PS2_,@function
_ZN9rocsparseL42csr2bsr_wavefront_per_row_multipass_kernelILj256ELj64ELj8EfliEEv20rocsparse_direction_T4_S2_S2_S2_S2_21rocsparse_index_base_PKT2_PKT3_PKS2_S3_PS4_PS7_PS2_: ; @_ZN9rocsparseL42csr2bsr_wavefront_per_row_multipass_kernelILj256ELj64ELj8EfliEEv20rocsparse_direction_T4_S2_S2_S2_S2_21rocsparse_index_base_PKT2_PKT3_PKS2_S3_PS4_PS7_PS2_
; %bb.0:
	s_clause 0x1
	s_load_b128 s[4:7], s[0:1], 0xc
	s_load_b64 s[14:15], s[0:1], 0x0
	s_bfe_u32 s2, ttmp6, 0x4000c
	s_and_b32 s3, ttmp6, 15
	s_add_co_i32 s2, s2, 1
	s_getreg_b32 s8, hwreg(HW_REG_IB_STS2, 6, 4)
	s_mul_i32 s2, ttmp9, s2
	v_lshrrev_b32_e32 v26, 6, v0
	s_add_co_i32 s3, s3, s2
	s_cmp_eq_u32 s8, 0
	v_bfe_u32 v12, v0, 3, 3
	s_cselect_b32 s2, ttmp9, s3
	s_load_b64 s[8:9], s[0:1], 0x28
	v_lshl_or_b32 v1, s2, 2, v26
	v_mov_b64_e32 v[2:3], 0
	v_mov_b64_e32 v[10:11], 0
	s_mov_b32 s3, 0
	s_wait_kmcnt 0x0
	v_mad_u32 v4, v1, s6, v12
	v_cmp_gt_i32_e32 vcc_lo, s6, v12
	s_delay_alu instid0(VALU_DEP_2) | instskip(SKIP_1) | instid1(SALU_CYCLE_1)
	v_cmp_gt_i32_e64 s2, s15, v4
	s_and_b32 s10, vcc_lo, s2
	s_and_saveexec_b32 s11, s10
	s_cbranch_execz .LBB47_2
; %bb.1:
	global_load_b64 v[6:7], v4, s[8:9] scale_offset
	s_mov_b32 s2, s7
	s_wait_loadcnt 0x0
	v_sub_nc_u64_e64 v[10:11], v[6:7], s[2:3]
.LBB47_2:
	s_or_b32 exec_lo, exec_lo, s11
	s_and_saveexec_b32 s2, s10
	s_cbranch_execz .LBB47_4
; %bb.3:
	global_load_b64 v[2:3], v4, s[8:9] offset:8 scale_offset
	s_wait_xcnt 0x0
	s_mov_b32 s9, 0
	s_mov_b32 s8, s7
	s_wait_loadcnt 0x0
	v_sub_nc_u64_e64 v[2:3], v[2:3], s[8:9]
.LBB47_4:
	s_or_b32 exec_lo, exec_lo, s2
	s_load_b32 s8, s[0:1], 0x38
	v_mov_b64_e32 v[4:5], 0
	s_mov_b32 s3, exec_lo
	v_cmpx_gt_i32_e64 s4, v1
	s_cbranch_execz .LBB47_6
; %bb.5:
	s_load_b64 s[10:11], s[0:1], 0x48
	s_mov_b32 s9, 0
	s_wait_kmcnt 0x0
	global_load_b64 v[4:5], v1, s[10:11] scale_offset
	s_wait_loadcnt 0x0
	v_sub_nc_u64_e64 v[4:5], v[4:5], s[8:9]
.LBB47_6:
	s_or_b32 exec_lo, exec_lo, s3
	s_cmp_lt_i32 s5, 1
	s_cbranch_scc1 .LBB47_24
; %bb.7:
	v_and_b32_e32 v6, 7, v0
	v_and_b32_e32 v0, 0xc0, v0
	v_lshlrev_b32_e32 v1, 5, v12
	v_mbcnt_lo_u32_b32 v16, -1, 0
	s_clause 0x3
	s_load_b64 s[18:19], s[0:1], 0x40
	s_load_b64 s[2:3], s[0:1], 0x50
	;; [unrolled: 1-line block ×4, first 2 shown]
	s_mov_b32 s15, 0
	v_bfrev_b32_e32 v36, 0.5
	v_lshl_or_b32 v27, v0, 2, v1
	v_dual_mov_b32 v1, 0 :: v_dual_bitop2_b32 v9, 2, v16 bitop3:0x14
	v_xor_b32_e32 v7, 4, v16
	v_mul_lo_u32 v0, s6, v6
	v_dual_lshlrev_b32 v14, 2, v6 :: v_dual_bitop2_b32 v15, 1, v16 bitop3:0x14
	v_or_b32_e32 v17, 32, v16
	s_wait_xcnt 0x0
	v_cmp_gt_i32_e64 s0, 32, v7
	v_lshl_or_b32 v32, v16, 2, 28
	v_or_b32_e32 v28, v27, v14
	v_cmp_gt_i32_e64 s1, 32, v15
	s_delay_alu instid0(VALU_DEP_4) | instskip(SKIP_2) | instid1(VALU_DEP_1)
	v_dual_mov_b32 v37, 1 :: v_dual_cndmask_b32 v8, v16, v7, s0
	v_mov_b32_e32 v7, v1
	v_cmp_gt_i32_e64 s0, 32, v9
	v_dual_cndmask_b32 v13, v16, v9, s0 :: v_dual_lshlrev_b32 v29, 2, v8
	s_wait_kmcnt 0x0
	v_lshl_add_u64 v[8:9], v[0:1], 2, s[18:19]
	v_lshlrev_b32_e32 v0, 2, v12
	v_cmp_gt_u32_e64 s0, s6, v6
	v_dual_lshlrev_b32 v30, 2, v13 :: v_dual_cndmask_b32 v13, v16, v15, s1
	v_mov_b32_e32 v15, v1
	s_delay_alu instid0(VALU_DEP_4)
	v_add_nc_u64_e32 v[8:9], v[8:9], v[0:1]
	v_mul_lo_u32 v0, s6, v12
	s_and_b32 s1, vcc_lo, s0
	s_cmp_lg_u32 s14, 0
	v_lshlrev_b32_e32 v31, 2, v13
	s_cselect_b32 s4, -1, 0
	s_abs_i32 s9, s6
	v_cmp_gt_i32_e32 vcc_lo, 32, v17
	s_cvt_f32_u32 s0, s9
	s_mov_b32 s14, s6
	s_delay_alu instid0(SALU_CYCLE_1) | instskip(NEXT) | instid1(SALU_CYCLE_1)
	s_mul_u64 s[16:17], s[14:15], s[14:15]
	v_rcp_iflag_f32_e32 v18, s0
	v_lshl_add_u64 v[12:13], v[0:1], 2, s[18:19]
	v_dual_cndmask_b32 v17, v16, v17, vcc_lo :: v_dual_bitop2_b32 v0, 16, v16 bitop3:0x14
	v_xor_b32_e32 v19, 8, v16
	s_sub_co_i32 s14, 0, s9
	s_delay_alu instid0(VALU_DEP_3) | instskip(NEXT) | instid1(VALU_DEP_3)
	v_add_nc_u64_e32 v[12:13], v[12:13], v[14:15]
	v_cmp_gt_i32_e32 vcc_lo, 32, v0
	v_readfirstlane_b32 s0, v18
	v_lshlrev_b32_e32 v33, 2, v17
	v_mov_b64_e32 v[14:15], 0
	s_ashr_i32 s18, s6, 31
	v_cndmask_b32_e32 v0, v16, v0, vcc_lo
	v_cmp_gt_i32_e32 vcc_lo, 32, v19
	s_mul_f32 s0, s0, 0x4f7ffffe
	s_mov_b32 s19, s15
	v_cndmask_b32_e32 v16, v16, v19, vcc_lo
	s_delay_alu instid0(SALU_CYCLE_1) | instskip(SKIP_1) | instid1(SALU_CYCLE_2)
	s_cvt_u32_f32 s0, s0
	v_lshlrev_b32_e32 v34, 2, v0
	s_mul_i32 s14, s14, s0
	s_delay_alu instid0(VALU_DEP_2) | instskip(SKIP_1) | instid1(SALU_CYCLE_1)
	v_lshlrev_b32_e32 v35, 2, v16
	s_mul_hi_u32 s14, s0, s14
	s_add_co_i32 s14, s0, s14
	s_branch .LBB47_10
.LBB47_8:                               ;   in Loop: Header=BB47_10 Depth=1
	s_wait_xcnt 0x0
	s_or_b32 exec_lo, exec_lo, s20
	v_mov_b64_e32 v[16:17], 1
.LBB47_9:                               ;   in Loop: Header=BB47_10 Depth=1
	s_or_b32 exec_lo, exec_lo, s0
	s_wait_dscnt 0x0
	ds_bpermute_b32 v0, v33, v38
	v_add_nc_u64_e32 v[4:5], v[16:17], v[4:5]
	s_wait_storecnt_dscnt 0x0
	v_min_i32_e32 v0, v0, v38
	ds_bpermute_b32 v14, v34, v0
	s_wait_dscnt 0x0
	v_min_i32_e32 v0, v14, v0
	ds_bpermute_b32 v14, v35, v0
	s_wait_dscnt 0x0
	;; [unrolled: 3-line block ×6, first 2 shown]
	v_cmp_le_i32_e32 vcc_lo, s5, v14
	v_ashrrev_i32_e32 v15, 31, v14
	s_or_b32 s19, vcc_lo, s19
	s_delay_alu instid0(SALU_CYCLE_1)
	s_and_not1_b32 exec_lo, exec_lo, s19
	s_cbranch_execz .LBB47_24
.LBB47_10:                              ; =>This Loop Header: Depth=1
                                        ;     Child Loop BB47_13 Depth 2
	v_add_nc_u64_e32 v[10:11], v[10:11], v[6:7]
	v_mov_b64_e32 v[20:21], v[2:3]
	v_mov_b32_e32 v38, s5
	s_mov_b32 s20, exec_lo
	ds_store_b8 v26, v1 offset:1024
	ds_store_b32 v28, v1
	s_wait_dscnt 0x0
	v_cmpx_lt_i64_e64 v[10:11], v[2:3]
	s_cbranch_execz .LBB47_18
; %bb.11:                               ;   in Loop: Header=BB47_10 Depth=1
	v_lshlrev_b64_e32 v[18:19], 2, v[10:11]
	v_mov_b64_e32 v[20:21], v[2:3]
	v_mov_b32_e32 v38, s5
	s_mov_b32 s21, 0
	s_delay_alu instid0(VALU_DEP_3)
	v_add_nc_u64_e32 v[16:17], s[10:11], v[18:19]
	v_add_nc_u64_e32 v[18:19], s[12:13], v[18:19]
	s_branch .LBB47_13
.LBB47_12:                              ;   in Loop: Header=BB47_13 Depth=2
	s_wait_xcnt 0x0
	s_or_b32 exec_lo, exec_lo, s0
	v_add_nc_u64_e32 v[10:11], 8, v[10:11]
	s_xor_b32 s22, vcc_lo, -1
	v_add_nc_u64_e32 v[16:17], 32, v[16:17]
	v_add_nc_u64_e32 v[18:19], 32, v[18:19]
	s_delay_alu instid0(VALU_DEP_3) | instskip(SKIP_1) | instid1(SALU_CYCLE_1)
	v_cmp_ge_i64_e64 s0, v[10:11], v[2:3]
	s_or_b32 s0, s22, s0
	s_and_b32 s0, exec_lo, s0
	s_delay_alu instid0(SALU_CYCLE_1) | instskip(NEXT) | instid1(SALU_CYCLE_1)
	s_or_b32 s21, s0, s21
	s_and_not1_b32 exec_lo, exec_lo, s21
	s_cbranch_execz .LBB47_17
.LBB47_13:                              ;   Parent Loop BB47_10 Depth=1
                                        ; =>  This Inner Loop Header: Depth=2
	global_load_b32 v0, v[18:19], off
	s_wait_loadcnt 0x0
	v_subrev_nc_u32_e32 v39, s7, v0
	s_delay_alu instid0(VALU_DEP_1) | instskip(NEXT) | instid1(VALU_DEP_1)
	v_sub_nc_u32_e32 v0, 0, v39
	v_max_i32_e32 v0, v39, v0
	s_delay_alu instid0(VALU_DEP_1) | instskip(NEXT) | instid1(VALU_DEP_1)
	v_mul_u64_e32 v[22:23], s[14:15], v[0:1]
	v_mul_lo_u32 v22, v23, s9
	s_delay_alu instid0(VALU_DEP_1) | instskip(NEXT) | instid1(VALU_DEP_1)
	v_dual_sub_nc_u32 v0, v0, v22 :: v_dual_add_nc_u32 v22, 1, v23
	v_cmp_le_u32_e32 vcc_lo, s9, v0
	s_delay_alu instid0(VALU_DEP_2) | instskip(SKIP_1) | instid1(VALU_DEP_1)
	v_dual_cndmask_b32 v22, v23, v22 :: v_dual_ashrrev_i32 v23, 31, v39
	v_subrev_nc_u32_e32 v24, s9, v0
	v_dual_cndmask_b32 v0, v0, v24, vcc_lo :: v_dual_add_nc_u32 v24, 1, v22
	s_delay_alu instid0(VALU_DEP_1) | instskip(NEXT) | instid1(VALU_DEP_2)
	v_cmp_le_u32_e32 vcc_lo, s9, v0
	v_dual_cndmask_b32 v0, v22, v24, vcc_lo :: v_dual_bitop2_b32 v23, s18, v23 bitop3:0x14
	v_mov_b64_e32 v[24:25], v[20:21]
	s_delay_alu instid0(VALU_DEP_2) | instskip(NEXT) | instid1(VALU_DEP_1)
	v_xor_b32_e32 v0, v0, v23
	v_sub_nc_u32_e32 v22, v0, v23
	s_delay_alu instid0(VALU_DEP_1) | instskip(NEXT) | instid1(VALU_DEP_1)
	v_ashrrev_i32_e32 v23, 31, v22
	v_cmp_ne_u64_e64 s0, v[14:15], v[22:23]
	v_cmp_eq_u64_e32 vcc_lo, v[14:15], v[22:23]
	s_wait_xcnt 0x0
	s_and_saveexec_b32 s22, s0
	s_delay_alu instid0(SALU_CYCLE_1)
	s_xor_b32 s0, exec_lo, s22
; %bb.14:                               ;   in Loop: Header=BB47_13 Depth=2
	v_min_i32_e32 v38, v22, v38
                                        ; implicit-def: $vgpr22
                                        ; implicit-def: $vgpr39
                                        ; implicit-def: $vgpr24_vgpr25
; %bb.15:                               ;   in Loop: Header=BB47_13 Depth=2
	s_or_saveexec_b32 s0, s0
	v_mov_b64_e32 v[20:21], v[10:11]
	s_xor_b32 exec_lo, exec_lo, s0
	s_cbranch_execz .LBB47_12
; %bb.16:                               ;   in Loop: Header=BB47_13 Depth=2
	global_load_b32 v0, v[16:17], off
	v_mul_lo_u32 v20, v22, s6
	s_delay_alu instid0(VALU_DEP_1) | instskip(NEXT) | instid1(VALU_DEP_1)
	v_sub_nc_u32_e32 v20, v39, v20
	v_lshl_add_u32 v22, v20, 2, v27
	v_mov_b64_e32 v[20:21], v[24:25]
	ds_store_b8 v26, v37 offset:1024
	s_wait_loadcnt 0x0
	ds_store_b32 v22, v0
	s_branch .LBB47_12
.LBB47_17:                              ;   in Loop: Header=BB47_10 Depth=1
	s_or_b32 exec_lo, exec_lo, s21
.LBB47_18:                              ;   in Loop: Header=BB47_10 Depth=1
	s_delay_alu instid0(SALU_CYCLE_1)
	s_or_b32 exec_lo, exec_lo, s20
	ds_bpermute_b32 v10, v29, v20
	ds_bpermute_b32 v11, v29, v21
	s_wait_dscnt 0x0
	ds_load_u8 v0, v26 offset:1024
	s_mov_b32 s0, exec_lo
	v_min_i64 v[10:11], v[10:11], v[20:21]
	s_wait_dscnt 0x0
	v_and_b32_e32 v0, 1, v0
	ds_bpermute_b32 v16, v30, v10
	ds_bpermute_b32 v17, v30, v11
	s_wait_dscnt 0x0
	v_min_i64 v[10:11], v[16:17], v[10:11]
	ds_bpermute_b32 v16, v31, v10
	ds_bpermute_b32 v17, v31, v11
	s_wait_dscnt 0x0
	v_min_i64 v[10:11], v[16:17], v[10:11]
	v_mov_b64_e32 v[16:17], 0
	ds_bpermute_b32 v10, v32, v10
	ds_bpermute_b32 v11, v32, v11
	v_cmpx_eq_u32_e32 1, v0
	s_cbranch_execz .LBB47_9
; %bb.19:                               ;   in Loop: Header=BB47_10 Depth=1
	v_add_nc_u32_e32 v0, s8, v14
	v_lshl_add_u64 v[14:15], v[4:5], 2, s[2:3]
	global_store_b32 v[14:15], v0, off
	s_wait_xcnt 0x0
	s_and_saveexec_b32 s20, s1
	s_cbranch_execz .LBB47_8
; %bb.20:                               ;   in Loop: Header=BB47_10 Depth=1
	v_mul_u64_e32 v[14:15], s[16:17], v[4:5]
	ds_load_b32 v0, v28
	s_and_b32 vcc_lo, exec_lo, s4
	s_cbranch_vccz .LBB47_22
; %bb.21:                               ;   in Loop: Header=BB47_10 Depth=1
	v_lshl_add_u64 v[16:17], v[14:15], 2, v[8:9]
	s_wait_dscnt 0x0
	global_store_b32 v[16:17], v0, off
	s_cbranch_execnz .LBB47_8
	s_branch .LBB47_23
.LBB47_22:                              ;   in Loop: Header=BB47_10 Depth=1
.LBB47_23:                              ;   in Loop: Header=BB47_10 Depth=1
	v_lshl_add_u64 v[14:15], v[14:15], 2, v[12:13]
	s_wait_dscnt 0x0
	global_store_b32 v[14:15], v0, off
	s_branch .LBB47_8
.LBB47_24:
	s_endpgm
	.section	.rodata,"a",@progbits
	.p2align	6, 0x0
	.amdhsa_kernel _ZN9rocsparseL42csr2bsr_wavefront_per_row_multipass_kernelILj256ELj64ELj8EfliEEv20rocsparse_direction_T4_S2_S2_S2_S2_21rocsparse_index_base_PKT2_PKT3_PKS2_S3_PS4_PS7_PS2_
		.amdhsa_group_segment_fixed_size 1028
		.amdhsa_private_segment_fixed_size 0
		.amdhsa_kernarg_size 88
		.amdhsa_user_sgpr_count 2
		.amdhsa_user_sgpr_dispatch_ptr 0
		.amdhsa_user_sgpr_queue_ptr 0
		.amdhsa_user_sgpr_kernarg_segment_ptr 1
		.amdhsa_user_sgpr_dispatch_id 0
		.amdhsa_user_sgpr_kernarg_preload_length 0
		.amdhsa_user_sgpr_kernarg_preload_offset 0
		.amdhsa_user_sgpr_private_segment_size 0
		.amdhsa_wavefront_size32 1
		.amdhsa_uses_dynamic_stack 0
		.amdhsa_enable_private_segment 0
		.amdhsa_system_sgpr_workgroup_id_x 1
		.amdhsa_system_sgpr_workgroup_id_y 0
		.amdhsa_system_sgpr_workgroup_id_z 0
		.amdhsa_system_sgpr_workgroup_info 0
		.amdhsa_system_vgpr_workitem_id 0
		.amdhsa_next_free_vgpr 40
		.amdhsa_next_free_sgpr 23
		.amdhsa_named_barrier_count 0
		.amdhsa_reserve_vcc 1
		.amdhsa_float_round_mode_32 0
		.amdhsa_float_round_mode_16_64 0
		.amdhsa_float_denorm_mode_32 3
		.amdhsa_float_denorm_mode_16_64 3
		.amdhsa_fp16_overflow 0
		.amdhsa_memory_ordered 1
		.amdhsa_forward_progress 1
		.amdhsa_inst_pref_size 12
		.amdhsa_round_robin_scheduling 0
		.amdhsa_exception_fp_ieee_invalid_op 0
		.amdhsa_exception_fp_denorm_src 0
		.amdhsa_exception_fp_ieee_div_zero 0
		.amdhsa_exception_fp_ieee_overflow 0
		.amdhsa_exception_fp_ieee_underflow 0
		.amdhsa_exception_fp_ieee_inexact 0
		.amdhsa_exception_int_div_zero 0
	.end_amdhsa_kernel
	.section	.text._ZN9rocsparseL42csr2bsr_wavefront_per_row_multipass_kernelILj256ELj64ELj8EfliEEv20rocsparse_direction_T4_S2_S2_S2_S2_21rocsparse_index_base_PKT2_PKT3_PKS2_S3_PS4_PS7_PS2_,"axG",@progbits,_ZN9rocsparseL42csr2bsr_wavefront_per_row_multipass_kernelILj256ELj64ELj8EfliEEv20rocsparse_direction_T4_S2_S2_S2_S2_21rocsparse_index_base_PKT2_PKT3_PKS2_S3_PS4_PS7_PS2_,comdat
.Lfunc_end47:
	.size	_ZN9rocsparseL42csr2bsr_wavefront_per_row_multipass_kernelILj256ELj64ELj8EfliEEv20rocsparse_direction_T4_S2_S2_S2_S2_21rocsparse_index_base_PKT2_PKT3_PKS2_S3_PS4_PS7_PS2_, .Lfunc_end47-_ZN9rocsparseL42csr2bsr_wavefront_per_row_multipass_kernelILj256ELj64ELj8EfliEEv20rocsparse_direction_T4_S2_S2_S2_S2_21rocsparse_index_base_PKT2_PKT3_PKS2_S3_PS4_PS7_PS2_
                                        ; -- End function
	.set _ZN9rocsparseL42csr2bsr_wavefront_per_row_multipass_kernelILj256ELj64ELj8EfliEEv20rocsparse_direction_T4_S2_S2_S2_S2_21rocsparse_index_base_PKT2_PKT3_PKS2_S3_PS4_PS7_PS2_.num_vgpr, 40
	.set _ZN9rocsparseL42csr2bsr_wavefront_per_row_multipass_kernelILj256ELj64ELj8EfliEEv20rocsparse_direction_T4_S2_S2_S2_S2_21rocsparse_index_base_PKT2_PKT3_PKS2_S3_PS4_PS7_PS2_.num_agpr, 0
	.set _ZN9rocsparseL42csr2bsr_wavefront_per_row_multipass_kernelILj256ELj64ELj8EfliEEv20rocsparse_direction_T4_S2_S2_S2_S2_21rocsparse_index_base_PKT2_PKT3_PKS2_S3_PS4_PS7_PS2_.numbered_sgpr, 23
	.set _ZN9rocsparseL42csr2bsr_wavefront_per_row_multipass_kernelILj256ELj64ELj8EfliEEv20rocsparse_direction_T4_S2_S2_S2_S2_21rocsparse_index_base_PKT2_PKT3_PKS2_S3_PS4_PS7_PS2_.num_named_barrier, 0
	.set _ZN9rocsparseL42csr2bsr_wavefront_per_row_multipass_kernelILj256ELj64ELj8EfliEEv20rocsparse_direction_T4_S2_S2_S2_S2_21rocsparse_index_base_PKT2_PKT3_PKS2_S3_PS4_PS7_PS2_.private_seg_size, 0
	.set _ZN9rocsparseL42csr2bsr_wavefront_per_row_multipass_kernelILj256ELj64ELj8EfliEEv20rocsparse_direction_T4_S2_S2_S2_S2_21rocsparse_index_base_PKT2_PKT3_PKS2_S3_PS4_PS7_PS2_.uses_vcc, 1
	.set _ZN9rocsparseL42csr2bsr_wavefront_per_row_multipass_kernelILj256ELj64ELj8EfliEEv20rocsparse_direction_T4_S2_S2_S2_S2_21rocsparse_index_base_PKT2_PKT3_PKS2_S3_PS4_PS7_PS2_.uses_flat_scratch, 0
	.set _ZN9rocsparseL42csr2bsr_wavefront_per_row_multipass_kernelILj256ELj64ELj8EfliEEv20rocsparse_direction_T4_S2_S2_S2_S2_21rocsparse_index_base_PKT2_PKT3_PKS2_S3_PS4_PS7_PS2_.has_dyn_sized_stack, 0
	.set _ZN9rocsparseL42csr2bsr_wavefront_per_row_multipass_kernelILj256ELj64ELj8EfliEEv20rocsparse_direction_T4_S2_S2_S2_S2_21rocsparse_index_base_PKT2_PKT3_PKS2_S3_PS4_PS7_PS2_.has_recursion, 0
	.set _ZN9rocsparseL42csr2bsr_wavefront_per_row_multipass_kernelILj256ELj64ELj8EfliEEv20rocsparse_direction_T4_S2_S2_S2_S2_21rocsparse_index_base_PKT2_PKT3_PKS2_S3_PS4_PS7_PS2_.has_indirect_call, 0
	.section	.AMDGPU.csdata,"",@progbits
; Kernel info:
; codeLenInByte = 1512
; TotalNumSgprs: 25
; NumVgprs: 40
; ScratchSize: 0
; MemoryBound: 0
; FloatMode: 240
; IeeeMode: 1
; LDSByteSize: 1028 bytes/workgroup (compile time only)
; SGPRBlocks: 0
; VGPRBlocks: 2
; NumSGPRsForWavesPerEU: 25
; NumVGPRsForWavesPerEU: 40
; NamedBarCnt: 0
; Occupancy: 16
; WaveLimiterHint : 0
; COMPUTE_PGM_RSRC2:SCRATCH_EN: 0
; COMPUTE_PGM_RSRC2:USER_SGPR: 2
; COMPUTE_PGM_RSRC2:TRAP_HANDLER: 0
; COMPUTE_PGM_RSRC2:TGID_X_EN: 1
; COMPUTE_PGM_RSRC2:TGID_Y_EN: 0
; COMPUTE_PGM_RSRC2:TGID_Z_EN: 0
; COMPUTE_PGM_RSRC2:TIDIG_COMP_CNT: 0
	.section	.text._ZN9rocsparseL42csr2bsr_wavefront_per_row_multipass_kernelILj256ELj32ELj8EfliEEv20rocsparse_direction_T4_S2_S2_S2_S2_21rocsparse_index_base_PKT2_PKT3_PKS2_S3_PS4_PS7_PS2_,"axG",@progbits,_ZN9rocsparseL42csr2bsr_wavefront_per_row_multipass_kernelILj256ELj32ELj8EfliEEv20rocsparse_direction_T4_S2_S2_S2_S2_21rocsparse_index_base_PKT2_PKT3_PKS2_S3_PS4_PS7_PS2_,comdat
	.globl	_ZN9rocsparseL42csr2bsr_wavefront_per_row_multipass_kernelILj256ELj32ELj8EfliEEv20rocsparse_direction_T4_S2_S2_S2_S2_21rocsparse_index_base_PKT2_PKT3_PKS2_S3_PS4_PS7_PS2_ ; -- Begin function _ZN9rocsparseL42csr2bsr_wavefront_per_row_multipass_kernelILj256ELj32ELj8EfliEEv20rocsparse_direction_T4_S2_S2_S2_S2_21rocsparse_index_base_PKT2_PKT3_PKS2_S3_PS4_PS7_PS2_
	.p2align	8
	.type	_ZN9rocsparseL42csr2bsr_wavefront_per_row_multipass_kernelILj256ELj32ELj8EfliEEv20rocsparse_direction_T4_S2_S2_S2_S2_21rocsparse_index_base_PKT2_PKT3_PKS2_S3_PS4_PS7_PS2_,@function
_ZN9rocsparseL42csr2bsr_wavefront_per_row_multipass_kernelILj256ELj32ELj8EfliEEv20rocsparse_direction_T4_S2_S2_S2_S2_21rocsparse_index_base_PKT2_PKT3_PKS2_S3_PS4_PS7_PS2_: ; @_ZN9rocsparseL42csr2bsr_wavefront_per_row_multipass_kernelILj256ELj32ELj8EfliEEv20rocsparse_direction_T4_S2_S2_S2_S2_21rocsparse_index_base_PKT2_PKT3_PKS2_S3_PS4_PS7_PS2_
; %bb.0:
	s_clause 0x1
	s_load_b128 s[4:7], s[0:1], 0xc
	s_load_b64 s[14:15], s[0:1], 0x0
	s_bfe_u32 s2, ttmp6, 0x4000c
	s_and_b32 s3, ttmp6, 15
	s_add_co_i32 s2, s2, 1
	s_getreg_b32 s8, hwreg(HW_REG_IB_STS2, 6, 4)
	s_mul_i32 s2, ttmp9, s2
	v_lshrrev_b32_e32 v30, 5, v0
	s_add_co_i32 s3, s3, s2
	s_cmp_eq_u32 s8, 0
	v_bfe_u32 v10, v0, 2, 3
	s_cselect_b32 s2, ttmp9, s3
	s_load_b64 s[8:9], s[0:1], 0x28
	v_lshl_or_b32 v1, s2, 3, v30
	v_mov_b64_e32 v[2:3], 0
	v_mov_b64_e32 v[16:17], 0
	s_mov_b32 s3, 0
	s_wait_kmcnt 0x0
	v_mad_u32 v4, v1, s6, v10
	v_cmp_gt_i32_e32 vcc_lo, s6, v10
	s_delay_alu instid0(VALU_DEP_2) | instskip(SKIP_1) | instid1(SALU_CYCLE_1)
	v_cmp_gt_i32_e64 s2, s15, v4
	s_and_b32 s10, vcc_lo, s2
	s_and_saveexec_b32 s11, s10
	s_cbranch_execz .LBB48_2
; %bb.1:
	global_load_b64 v[6:7], v4, s[8:9] scale_offset
	s_mov_b32 s2, s7
	s_wait_loadcnt 0x0
	v_sub_nc_u64_e64 v[16:17], v[6:7], s[2:3]
.LBB48_2:
	s_or_b32 exec_lo, exec_lo, s11
	s_and_saveexec_b32 s2, s10
	s_cbranch_execz .LBB48_4
; %bb.3:
	global_load_b64 v[2:3], v4, s[8:9] offset:8 scale_offset
	s_wait_xcnt 0x0
	s_mov_b32 s9, 0
	s_mov_b32 s8, s7
	s_wait_loadcnt 0x0
	v_sub_nc_u64_e64 v[2:3], v[2:3], s[8:9]
.LBB48_4:
	s_or_b32 exec_lo, exec_lo, s2
	s_load_b32 s8, s[0:1], 0x38
	v_mov_b64_e32 v[4:5], 0
	s_mov_b32 s3, exec_lo
	v_cmpx_gt_i32_e64 s4, v1
	s_cbranch_execz .LBB48_6
; %bb.5:
	s_load_b64 s[10:11], s[0:1], 0x48
	s_mov_b32 s9, 0
	s_wait_kmcnt 0x0
	global_load_b64 v[4:5], v1, s[10:11] scale_offset
	s_wait_loadcnt 0x0
	v_sub_nc_u64_e64 v[4:5], v[4:5], s[8:9]
.LBB48_6:
	s_or_b32 exec_lo, exec_lo, s3
	s_cmp_lt_i32 s5, 1
	s_cbranch_scc1 .LBB48_29
; %bb.7:
	v_mbcnt_lo_u32_b32 v11, -1, 0
	v_lshlrev_b32_e32 v1, 5, v10
	s_clause 0x3
	s_load_b64 s[18:19], s[0:1], 0x40
	s_load_b64 s[2:3], s[0:1], 0x50
	;; [unrolled: 1-line block ×4, first 2 shown]
	v_dual_mov_b32 v7, 0 :: v_dual_bitop2_b32 v0, 3, v0 bitop3:0x40
	v_xor_b32_e32 v6, 2, v11
	s_cmp_lg_u32 s14, 0
	v_lshl_or_b32 v31, v30, 8, v1
	s_cselect_b32 s4, -1, 0
	s_abs_i32 s9, s6
	s_wait_xcnt 0x0
	v_cmp_gt_i32_e64 s0, 32, v6
	v_xor_b32_e32 v8, 1, v11
	s_cvt_f32_u32 s1, s9
	s_mov_b32 s15, 0
	s_mov_b32 s14, s6
	v_cndmask_b32_e64 v6, v11, v6, s0
	v_cmp_gt_i32_e64 s0, 32, v8
	v_rcp_iflag_f32_e32 v18, s1
	s_mul_u64 s[16:17], s[14:15], s[14:15]
	v_lshl_or_b32 v35, v11, 2, 12
	v_dual_lshlrev_b32 v33, 2, v6 :: v_dual_cndmask_b32 v8, v11, v8, s0
	v_dual_mov_b32 v1, v7 :: v_dual_lshlrev_b32 v6, 2, v10
	s_delay_alu instid0(TRANS32_DEP_1) | instskip(SKIP_1) | instid1(VALU_DEP_4)
	v_readfirstlane_b32 s1, v18
	v_mov_b64_e32 v[18:19], 0
	v_lshlrev_b32_e32 v34, 2, v8
	s_wait_kmcnt 0x0
	v_add_nc_u64_e32 v[8:9], s[18:19], v[6:7]
	v_mul_lo_u32 v6, s6, v10
	v_xor_b32_e32 v10, 16, v11
	s_mul_f32 s14, s1, 0x4f7ffffe
	v_lshl_or_b32 v32, v0, 2, v31
	v_dual_mov_b32 v39, 0x7c :: v_dual_mov_b32 v40, 1
	s_delay_alu instid0(VALU_DEP_3) | instskip(SKIP_4) | instid1(VALU_DEP_2)
	v_cmp_gt_i32_e64 s0, 32, v10
	v_xor_b32_e32 v12, 8, v11
	s_cvt_u32_f32 s14, s14
	s_mov_b32 s20, s15
	v_cndmask_b32_e64 v14, v11, v10, s0
	v_cmp_gt_i32_e64 s0, 32, v12
	s_delay_alu instid0(VALU_DEP_2) | instskip(NEXT) | instid1(VALU_DEP_2)
	v_dual_lshlrev_b32 v36, 2, v14 :: v_dual_bitop2_b32 v13, 4, v11 bitop3:0x14
	v_cndmask_b32_e64 v15, v11, v12, s0
	s_delay_alu instid0(VALU_DEP_2) | instskip(SKIP_1) | instid1(VALU_DEP_2)
	v_cmp_gt_i32_e64 s0, 32, v13
	v_mul_lo_u32 v12, v0, s6
	v_cndmask_b32_e64 v13, v11, v13, s0
	v_cmp_gt_u32_e64 s0, s6, v0
	v_lshl_add_u64 v[10:11], v[6:7], 2, s[18:19]
	v_dual_lshlrev_b32 v37, 2, v15 :: v_dual_bitop2_b32 v6, 4, v0 bitop3:0x54
	s_delay_alu instid0(VALU_DEP_4)
	v_lshlrev_b32_e32 v38, 2, v13
	s_and_b32 s18, s0, vcc_lo
	s_sub_co_i32 s0, 0, s9
	v_mov_b32_e32 v13, v7
	v_cmp_gt_u32_e64 s1, s6, v6
	s_mul_i32 s0, s0, s14
	v_lshl_add_u32 v14, s6, 2, v12
	v_mov_b32_e32 v15, v7
	s_mul_hi_u32 s0, s14, s0
	s_and_b32 s1, vcc_lo, s1
	s_ashr_i32 s19, s6, 31
	s_add_co_i32 s14, s14, s0
	s_branch .LBB48_10
.LBB48_8:                               ;   in Loop: Header=BB48_10 Depth=1
	s_wait_xcnt 0x0
	s_or_b32 exec_lo, exec_lo, s21
	v_mov_b64_e32 v[20:21], 1
.LBB48_9:                               ;   in Loop: Header=BB48_10 Depth=1
	s_or_b32 exec_lo, exec_lo, s0
	ds_bpermute_b32 v6, v36, v41
	v_add_nc_u64_e32 v[4:5], v[20:21], v[4:5]
	s_wait_storecnt_dscnt 0x0
	v_min_i32_e32 v6, v6, v41
	ds_bpermute_b32 v18, v37, v6
	s_wait_dscnt 0x0
	v_min_i32_e32 v6, v18, v6
	ds_bpermute_b32 v18, v38, v6
	s_wait_dscnt 0x0
	;; [unrolled: 3-line block ×5, first 2 shown]
	v_cmp_le_i32_e32 vcc_lo, s5, v18
	v_ashrrev_i32_e32 v19, 31, v18
	s_or_b32 s20, vcc_lo, s20
	s_delay_alu instid0(SALU_CYCLE_1)
	s_and_not1_b32 exec_lo, exec_lo, s20
	s_cbranch_execz .LBB48_29
.LBB48_10:                              ; =>This Loop Header: Depth=1
                                        ;     Child Loop BB48_13 Depth 2
	v_add_nc_u64_e32 v[16:17], v[16:17], v[0:1]
	v_mov_b64_e32 v[24:25], v[2:3]
	v_mov_b32_e32 v41, s5
	s_mov_b32 s21, exec_lo
	ds_store_b8 v30, v7 offset:2048
	ds_store_2addr_b32 v32, v7, v7 offset1:4
	s_wait_dscnt 0x0
	v_cmpx_lt_i64_e64 v[16:17], v[2:3]
	s_cbranch_execz .LBB48_18
; %bb.11:                               ;   in Loop: Header=BB48_10 Depth=1
	v_lshlrev_b64_e32 v[22:23], 2, v[16:17]
	v_mov_b64_e32 v[24:25], v[2:3]
	v_mov_b32_e32 v41, s5
	s_mov_b32 s22, 0
	s_delay_alu instid0(VALU_DEP_3)
	v_add_nc_u64_e32 v[20:21], s[10:11], v[22:23]
	v_add_nc_u64_e32 v[22:23], s[12:13], v[22:23]
	s_branch .LBB48_13
.LBB48_12:                              ;   in Loop: Header=BB48_13 Depth=2
	s_wait_xcnt 0x0
	s_or_b32 exec_lo, exec_lo, s0
	v_add_nc_u64_e32 v[16:17], 4, v[16:17]
	s_xor_b32 s23, vcc_lo, -1
	v_add_nc_u64_e32 v[20:21], 16, v[20:21]
	v_add_nc_u64_e32 v[22:23], 16, v[22:23]
	s_delay_alu instid0(VALU_DEP_3) | instskip(SKIP_1) | instid1(SALU_CYCLE_1)
	v_cmp_ge_i64_e64 s0, v[16:17], v[2:3]
	s_or_b32 s0, s23, s0
	s_and_b32 s0, exec_lo, s0
	s_delay_alu instid0(SALU_CYCLE_1) | instskip(NEXT) | instid1(SALU_CYCLE_1)
	s_or_b32 s22, s0, s22
	s_and_not1_b32 exec_lo, exec_lo, s22
	s_cbranch_execz .LBB48_17
.LBB48_13:                              ;   Parent Loop BB48_10 Depth=1
                                        ; =>  This Inner Loop Header: Depth=2
	global_load_b32 v6, v[22:23], off
	s_wait_loadcnt 0x0
	v_subrev_nc_u32_e32 v42, s7, v6
	s_delay_alu instid0(VALU_DEP_1) | instskip(NEXT) | instid1(VALU_DEP_1)
	v_sub_nc_u32_e32 v6, 0, v42
	v_max_i32_e32 v6, v42, v6
	s_delay_alu instid0(VALU_DEP_1) | instskip(NEXT) | instid1(VALU_DEP_1)
	v_mul_u64_e32 v[26:27], s[14:15], v[6:7]
	v_mul_lo_u32 v26, v27, s9
	s_delay_alu instid0(VALU_DEP_1) | instskip(NEXT) | instid1(VALU_DEP_1)
	v_dual_sub_nc_u32 v6, v6, v26 :: v_dual_add_nc_u32 v26, 1, v27
	v_cmp_le_u32_e32 vcc_lo, s9, v6
	s_delay_alu instid0(VALU_DEP_2) | instskip(SKIP_1) | instid1(VALU_DEP_1)
	v_cndmask_b32_e32 v26, v27, v26, vcc_lo
	v_subrev_nc_u32_e32 v28, s9, v6
	v_dual_cndmask_b32 v6, v6, v28 :: v_dual_ashrrev_i32 v27, 31, v42
	s_delay_alu instid0(VALU_DEP_1) | instskip(NEXT) | instid1(VALU_DEP_2)
	v_dual_add_nc_u32 v28, 1, v26 :: v_dual_bitop2_b32 v27, s19, v27 bitop3:0x14
	v_cmp_le_u32_e32 vcc_lo, s9, v6
	s_delay_alu instid0(VALU_DEP_2) | instskip(SKIP_1) | instid1(VALU_DEP_2)
	v_cndmask_b32_e32 v6, v26, v28, vcc_lo
	v_mov_b64_e32 v[28:29], v[24:25]
	v_xor_b32_e32 v6, v6, v27
	s_delay_alu instid0(VALU_DEP_1) | instskip(NEXT) | instid1(VALU_DEP_1)
	v_sub_nc_u32_e32 v26, v6, v27
	v_ashrrev_i32_e32 v27, 31, v26
	s_delay_alu instid0(VALU_DEP_1) | instskip(SKIP_3) | instid1(SALU_CYCLE_1)
	v_cmp_ne_u64_e64 s0, v[18:19], v[26:27]
	v_cmp_eq_u64_e32 vcc_lo, v[18:19], v[26:27]
	s_wait_xcnt 0x0
	s_and_saveexec_b32 s23, s0
	s_xor_b32 s0, exec_lo, s23
; %bb.14:                               ;   in Loop: Header=BB48_13 Depth=2
	v_min_i32_e32 v41, v26, v41
                                        ; implicit-def: $vgpr26
                                        ; implicit-def: $vgpr42
                                        ; implicit-def: $vgpr28_vgpr29
; %bb.15:                               ;   in Loop: Header=BB48_13 Depth=2
	s_or_saveexec_b32 s0, s0
	v_mov_b64_e32 v[24:25], v[16:17]
	s_xor_b32 exec_lo, exec_lo, s0
	s_cbranch_execz .LBB48_12
; %bb.16:                               ;   in Loop: Header=BB48_13 Depth=2
	global_load_b32 v6, v[20:21], off
	v_mul_lo_u32 v24, v26, s6
	s_delay_alu instid0(VALU_DEP_1) | instskip(NEXT) | instid1(VALU_DEP_1)
	v_sub_nc_u32_e32 v24, v42, v24
	v_lshl_add_u32 v26, v24, 2, v31
	v_mov_b64_e32 v[24:25], v[28:29]
	ds_store_b8 v30, v40 offset:2048
	s_wait_loadcnt 0x0
	ds_store_b32 v26, v6
	s_branch .LBB48_12
.LBB48_17:                              ;   in Loop: Header=BB48_10 Depth=1
	s_or_b32 exec_lo, exec_lo, s22
.LBB48_18:                              ;   in Loop: Header=BB48_10 Depth=1
	s_delay_alu instid0(SALU_CYCLE_1)
	s_or_b32 exec_lo, exec_lo, s21
	ds_bpermute_b32 v16, v33, v24
	ds_bpermute_b32 v17, v33, v25
	s_wait_dscnt 0x0
	ds_load_u8 v6, v30 offset:2048
	s_mov_b32 s0, exec_lo
	v_min_i64 v[16:17], v[16:17], v[24:25]
	s_wait_dscnt 0x0
	v_and_b32_e32 v6, 1, v6
	ds_bpermute_b32 v20, v34, v16
	ds_bpermute_b32 v21, v34, v17
	s_wait_dscnt 0x0
	v_min_i64 v[16:17], v[20:21], v[16:17]
	v_mov_b64_e32 v[20:21], 0
	ds_bpermute_b32 v16, v35, v16
	ds_bpermute_b32 v17, v35, v17
	v_cmpx_eq_u32_e32 1, v6
	s_cbranch_execz .LBB48_9
; %bb.19:                               ;   in Loop: Header=BB48_10 Depth=1
	v_mul_u64_e32 v[20:21], s[16:17], v[4:5]
	v_add_nc_u32_e32 v6, s8, v18
	s_delay_alu instid0(VALU_DEP_2) | instskip(NEXT) | instid1(VALU_DEP_1)
	v_lshlrev_b64_e32 v[22:23], 2, v[20:21]
	v_add_nc_u64_e32 v[20:21], v[8:9], v[22:23]
	v_add_nc_u64_e32 v[18:19], v[10:11], v[22:23]
	v_lshl_add_u64 v[22:23], v[4:5], 2, s[2:3]
	global_store_b32 v[22:23], v6, off
	s_wait_xcnt 0x0
	s_and_saveexec_b32 s21, s18
	s_cbranch_execz .LBB48_23
; %bb.20:                               ;   in Loop: Header=BB48_10 Depth=1
	ds_load_b32 v22, v32
	s_and_b32 vcc_lo, exec_lo, s4
	s_cbranch_vccz .LBB48_26
; %bb.21:                               ;   in Loop: Header=BB48_10 Depth=1
	v_lshl_add_u64 v[24:25], v[12:13], 2, v[20:21]
	s_wait_dscnt 0x0
	global_store_b32 v[24:25], v22, off
	s_cbranch_execnz .LBB48_23
.LBB48_22:                              ;   in Loop: Header=BB48_10 Depth=1
	v_lshlrev_b32_e32 v6, 2, v0
	s_wait_xcnt 0x0
	s_delay_alu instid0(VALU_DEP_1)
	v_add_nc_u64_e32 v[24:25], v[18:19], v[6:7]
	s_wait_dscnt 0x0
	global_store_b32 v[24:25], v22, off
.LBB48_23:                              ;   in Loop: Header=BB48_10 Depth=1
	s_wait_xcnt 0x0
	s_or_b32 exec_lo, exec_lo, s21
	s_and_saveexec_b32 s21, s1
	s_cbranch_execz .LBB48_8
; %bb.24:                               ;   in Loop: Header=BB48_10 Depth=1
	s_and_not1_b32 vcc_lo, exec_lo, s4
	s_cbranch_vccnz .LBB48_27
; %bb.25:                               ;   in Loop: Header=BB48_10 Depth=1
	ds_load_b32 v6, v32 offset:16
	v_lshl_add_u64 v[20:21], v[14:15], 2, v[20:21]
	s_wait_dscnt 0x0
	global_store_b32 v[20:21], v6, off
	s_cbranch_execnz .LBB48_8
	s_branch .LBB48_28
.LBB48_26:                              ;   in Loop: Header=BB48_10 Depth=1
	s_branch .LBB48_22
.LBB48_27:                              ;   in Loop: Header=BB48_10 Depth=1
.LBB48_28:                              ;   in Loop: Header=BB48_10 Depth=1
	s_wait_xcnt 0x0
	ds_load_b32 v20, v32 offset:16
	v_lshlrev_b32_e32 v6, 2, v0
	s_delay_alu instid0(VALU_DEP_1)
	v_add_nc_u64_e32 v[18:19], v[18:19], v[6:7]
	s_wait_dscnt 0x0
	global_store_b32 v[18:19], v20, off offset:16
	s_branch .LBB48_8
.LBB48_29:
	s_endpgm
	.section	.rodata,"a",@progbits
	.p2align	6, 0x0
	.amdhsa_kernel _ZN9rocsparseL42csr2bsr_wavefront_per_row_multipass_kernelILj256ELj32ELj8EfliEEv20rocsparse_direction_T4_S2_S2_S2_S2_21rocsparse_index_base_PKT2_PKT3_PKS2_S3_PS4_PS7_PS2_
		.amdhsa_group_segment_fixed_size 2056
		.amdhsa_private_segment_fixed_size 0
		.amdhsa_kernarg_size 88
		.amdhsa_user_sgpr_count 2
		.amdhsa_user_sgpr_dispatch_ptr 0
		.amdhsa_user_sgpr_queue_ptr 0
		.amdhsa_user_sgpr_kernarg_segment_ptr 1
		.amdhsa_user_sgpr_dispatch_id 0
		.amdhsa_user_sgpr_kernarg_preload_length 0
		.amdhsa_user_sgpr_kernarg_preload_offset 0
		.amdhsa_user_sgpr_private_segment_size 0
		.amdhsa_wavefront_size32 1
		.amdhsa_uses_dynamic_stack 0
		.amdhsa_enable_private_segment 0
		.amdhsa_system_sgpr_workgroup_id_x 1
		.amdhsa_system_sgpr_workgroup_id_y 0
		.amdhsa_system_sgpr_workgroup_id_z 0
		.amdhsa_system_sgpr_workgroup_info 0
		.amdhsa_system_vgpr_workitem_id 0
		.amdhsa_next_free_vgpr 43
		.amdhsa_next_free_sgpr 24
		.amdhsa_named_barrier_count 0
		.amdhsa_reserve_vcc 1
		.amdhsa_float_round_mode_32 0
		.amdhsa_float_round_mode_16_64 0
		.amdhsa_float_denorm_mode_32 3
		.amdhsa_float_denorm_mode_16_64 3
		.amdhsa_fp16_overflow 0
		.amdhsa_memory_ordered 1
		.amdhsa_forward_progress 1
		.amdhsa_inst_pref_size 13
		.amdhsa_round_robin_scheduling 0
		.amdhsa_exception_fp_ieee_invalid_op 0
		.amdhsa_exception_fp_denorm_src 0
		.amdhsa_exception_fp_ieee_div_zero 0
		.amdhsa_exception_fp_ieee_overflow 0
		.amdhsa_exception_fp_ieee_underflow 0
		.amdhsa_exception_fp_ieee_inexact 0
		.amdhsa_exception_int_div_zero 0
	.end_amdhsa_kernel
	.section	.text._ZN9rocsparseL42csr2bsr_wavefront_per_row_multipass_kernelILj256ELj32ELj8EfliEEv20rocsparse_direction_T4_S2_S2_S2_S2_21rocsparse_index_base_PKT2_PKT3_PKS2_S3_PS4_PS7_PS2_,"axG",@progbits,_ZN9rocsparseL42csr2bsr_wavefront_per_row_multipass_kernelILj256ELj32ELj8EfliEEv20rocsparse_direction_T4_S2_S2_S2_S2_21rocsparse_index_base_PKT2_PKT3_PKS2_S3_PS4_PS7_PS2_,comdat
.Lfunc_end48:
	.size	_ZN9rocsparseL42csr2bsr_wavefront_per_row_multipass_kernelILj256ELj32ELj8EfliEEv20rocsparse_direction_T4_S2_S2_S2_S2_21rocsparse_index_base_PKT2_PKT3_PKS2_S3_PS4_PS7_PS2_, .Lfunc_end48-_ZN9rocsparseL42csr2bsr_wavefront_per_row_multipass_kernelILj256ELj32ELj8EfliEEv20rocsparse_direction_T4_S2_S2_S2_S2_21rocsparse_index_base_PKT2_PKT3_PKS2_S3_PS4_PS7_PS2_
                                        ; -- End function
	.set _ZN9rocsparseL42csr2bsr_wavefront_per_row_multipass_kernelILj256ELj32ELj8EfliEEv20rocsparse_direction_T4_S2_S2_S2_S2_21rocsparse_index_base_PKT2_PKT3_PKS2_S3_PS4_PS7_PS2_.num_vgpr, 43
	.set _ZN9rocsparseL42csr2bsr_wavefront_per_row_multipass_kernelILj256ELj32ELj8EfliEEv20rocsparse_direction_T4_S2_S2_S2_S2_21rocsparse_index_base_PKT2_PKT3_PKS2_S3_PS4_PS7_PS2_.num_agpr, 0
	.set _ZN9rocsparseL42csr2bsr_wavefront_per_row_multipass_kernelILj256ELj32ELj8EfliEEv20rocsparse_direction_T4_S2_S2_S2_S2_21rocsparse_index_base_PKT2_PKT3_PKS2_S3_PS4_PS7_PS2_.numbered_sgpr, 24
	.set _ZN9rocsparseL42csr2bsr_wavefront_per_row_multipass_kernelILj256ELj32ELj8EfliEEv20rocsparse_direction_T4_S2_S2_S2_S2_21rocsparse_index_base_PKT2_PKT3_PKS2_S3_PS4_PS7_PS2_.num_named_barrier, 0
	.set _ZN9rocsparseL42csr2bsr_wavefront_per_row_multipass_kernelILj256ELj32ELj8EfliEEv20rocsparse_direction_T4_S2_S2_S2_S2_21rocsparse_index_base_PKT2_PKT3_PKS2_S3_PS4_PS7_PS2_.private_seg_size, 0
	.set _ZN9rocsparseL42csr2bsr_wavefront_per_row_multipass_kernelILj256ELj32ELj8EfliEEv20rocsparse_direction_T4_S2_S2_S2_S2_21rocsparse_index_base_PKT2_PKT3_PKS2_S3_PS4_PS7_PS2_.uses_vcc, 1
	.set _ZN9rocsparseL42csr2bsr_wavefront_per_row_multipass_kernelILj256ELj32ELj8EfliEEv20rocsparse_direction_T4_S2_S2_S2_S2_21rocsparse_index_base_PKT2_PKT3_PKS2_S3_PS4_PS7_PS2_.uses_flat_scratch, 0
	.set _ZN9rocsparseL42csr2bsr_wavefront_per_row_multipass_kernelILj256ELj32ELj8EfliEEv20rocsparse_direction_T4_S2_S2_S2_S2_21rocsparse_index_base_PKT2_PKT3_PKS2_S3_PS4_PS7_PS2_.has_dyn_sized_stack, 0
	.set _ZN9rocsparseL42csr2bsr_wavefront_per_row_multipass_kernelILj256ELj32ELj8EfliEEv20rocsparse_direction_T4_S2_S2_S2_S2_21rocsparse_index_base_PKT2_PKT3_PKS2_S3_PS4_PS7_PS2_.has_recursion, 0
	.set _ZN9rocsparseL42csr2bsr_wavefront_per_row_multipass_kernelILj256ELj32ELj8EfliEEv20rocsparse_direction_T4_S2_S2_S2_S2_21rocsparse_index_base_PKT2_PKT3_PKS2_S3_PS4_PS7_PS2_.has_indirect_call, 0
	.section	.AMDGPU.csdata,"",@progbits
; Kernel info:
; codeLenInByte = 1596
; TotalNumSgprs: 26
; NumVgprs: 43
; ScratchSize: 0
; MemoryBound: 0
; FloatMode: 240
; IeeeMode: 1
; LDSByteSize: 2056 bytes/workgroup (compile time only)
; SGPRBlocks: 0
; VGPRBlocks: 2
; NumSGPRsForWavesPerEU: 26
; NumVGPRsForWavesPerEU: 43
; NamedBarCnt: 0
; Occupancy: 16
; WaveLimiterHint : 0
; COMPUTE_PGM_RSRC2:SCRATCH_EN: 0
; COMPUTE_PGM_RSRC2:USER_SGPR: 2
; COMPUTE_PGM_RSRC2:TRAP_HANDLER: 0
; COMPUTE_PGM_RSRC2:TGID_X_EN: 1
; COMPUTE_PGM_RSRC2:TGID_Y_EN: 0
; COMPUTE_PGM_RSRC2:TGID_Z_EN: 0
; COMPUTE_PGM_RSRC2:TIDIG_COMP_CNT: 0
	.section	.text._ZN9rocsparseL42csr2bsr_wavefront_per_row_multipass_kernelILj256ELj64ELj16EfliEEv20rocsparse_direction_T4_S2_S2_S2_S2_21rocsparse_index_base_PKT2_PKT3_PKS2_S3_PS4_PS7_PS2_,"axG",@progbits,_ZN9rocsparseL42csr2bsr_wavefront_per_row_multipass_kernelILj256ELj64ELj16EfliEEv20rocsparse_direction_T4_S2_S2_S2_S2_21rocsparse_index_base_PKT2_PKT3_PKS2_S3_PS4_PS7_PS2_,comdat
	.globl	_ZN9rocsparseL42csr2bsr_wavefront_per_row_multipass_kernelILj256ELj64ELj16EfliEEv20rocsparse_direction_T4_S2_S2_S2_S2_21rocsparse_index_base_PKT2_PKT3_PKS2_S3_PS4_PS7_PS2_ ; -- Begin function _ZN9rocsparseL42csr2bsr_wavefront_per_row_multipass_kernelILj256ELj64ELj16EfliEEv20rocsparse_direction_T4_S2_S2_S2_S2_21rocsparse_index_base_PKT2_PKT3_PKS2_S3_PS4_PS7_PS2_
	.p2align	8
	.type	_ZN9rocsparseL42csr2bsr_wavefront_per_row_multipass_kernelILj256ELj64ELj16EfliEEv20rocsparse_direction_T4_S2_S2_S2_S2_21rocsparse_index_base_PKT2_PKT3_PKS2_S3_PS4_PS7_PS2_,@function
_ZN9rocsparseL42csr2bsr_wavefront_per_row_multipass_kernelILj256ELj64ELj16EfliEEv20rocsparse_direction_T4_S2_S2_S2_S2_21rocsparse_index_base_PKT2_PKT3_PKS2_S3_PS4_PS7_PS2_: ; @_ZN9rocsparseL42csr2bsr_wavefront_per_row_multipass_kernelILj256ELj64ELj16EfliEEv20rocsparse_direction_T4_S2_S2_S2_S2_21rocsparse_index_base_PKT2_PKT3_PKS2_S3_PS4_PS7_PS2_
; %bb.0:
	s_clause 0x1
	s_load_b128 s[4:7], s[0:1], 0xc
	s_load_b64 s[16:17], s[0:1], 0x0
	s_bfe_u32 s2, ttmp6, 0x4000c
	s_and_b32 s3, ttmp6, 15
	s_add_co_i32 s2, s2, 1
	s_getreg_b32 s8, hwreg(HW_REG_IB_STS2, 6, 4)
	s_mul_i32 s2, ttmp9, s2
	v_lshrrev_b32_e32 v34, 6, v0
	s_add_co_i32 s3, s3, s2
	s_cmp_eq_u32 s8, 0
	v_bfe_u32 v10, v0, 2, 4
	s_cselect_b32 s2, ttmp9, s3
	s_load_b64 s[8:9], s[0:1], 0x28
	v_lshl_or_b32 v1, s2, 2, v34
	v_mov_b64_e32 v[2:3], 0
	v_mov_b64_e32 v[14:15], 0
	s_mov_b32 s3, 0
	s_wait_kmcnt 0x0
	v_mad_u32 v4, v1, s6, v10
	v_cmp_gt_i32_e32 vcc_lo, s6, v10
	s_delay_alu instid0(VALU_DEP_2) | instskip(SKIP_1) | instid1(SALU_CYCLE_1)
	v_cmp_gt_i32_e64 s2, s17, v4
	s_and_b32 s10, vcc_lo, s2
	s_and_saveexec_b32 s11, s10
	s_cbranch_execz .LBB49_2
; %bb.1:
	global_load_b64 v[6:7], v4, s[8:9] scale_offset
	s_mov_b32 s2, s7
	s_wait_loadcnt 0x0
	v_sub_nc_u64_e64 v[14:15], v[6:7], s[2:3]
.LBB49_2:
	s_or_b32 exec_lo, exec_lo, s11
	s_and_saveexec_b32 s2, s10
	s_cbranch_execz .LBB49_4
; %bb.3:
	global_load_b64 v[2:3], v4, s[8:9] offset:8 scale_offset
	s_wait_xcnt 0x0
	s_mov_b32 s9, 0
	s_mov_b32 s8, s7
	s_wait_loadcnt 0x0
	v_sub_nc_u64_e64 v[2:3], v[2:3], s[8:9]
.LBB49_4:
	s_or_b32 exec_lo, exec_lo, s2
	s_load_b32 s8, s[0:1], 0x38
	v_mov_b64_e32 v[4:5], 0
	s_mov_b32 s3, exec_lo
	v_cmpx_gt_i32_e64 s4, v1
	s_cbranch_execz .LBB49_6
; %bb.5:
	s_load_b64 s[10:11], s[0:1], 0x48
	s_mov_b32 s9, 0
	s_wait_kmcnt 0x0
	global_load_b64 v[4:5], v1, s[10:11] scale_offset
	s_wait_loadcnt 0x0
	v_sub_nc_u64_e64 v[4:5], v[4:5], s[8:9]
.LBB49_6:
	s_or_b32 exec_lo, exec_lo, s3
	s_cmp_lt_i32 s5, 1
	s_cbranch_scc1 .LBB49_39
; %bb.7:
	s_clause 0x3
	s_load_b64 s[2:3], s[0:1], 0x40
	s_load_b64 s[10:11], s[0:1], 0x50
	;; [unrolled: 1-line block ×4, first 2 shown]
	v_dual_lshlrev_b32 v1, 6, v10 :: v_dual_bitop2_b32 v0, 3, v0 bitop3:0x40
	v_dual_mov_b32 v7, 0 :: v_dual_lshlrev_b32 v6, 2, v10
	v_mbcnt_lo_u32_b32 v12, -1, 0
	s_cmp_lg_u32 s16, 0
	s_delay_alu instid0(VALU_DEP_3) | instskip(NEXT) | instid1(VALU_DEP_3)
	v_lshl_or_b32 v35, v34, 10, v1
	v_mov_b32_e32 v1, v7
	s_cselect_b32 s4, -1, 0
	v_xor_b32_e32 v11, 2, v12
	v_lshl_or_b32 v36, v12, 2, 12
	s_abs_i32 s9, s6
	s_mov_b32 s17, 0
	s_wait_xcnt 0x0
	s_cvt_f32_u32 s1, s9
	v_cmp_gt_i32_e64 s0, 32, v11
	v_xor_b32_e32 v13, 1, v12
	s_wait_kmcnt 0x0
	v_add_nc_u64_e32 v[8:9], s[2:3], v[6:7]
	v_mul_lo_u32 v6, s6, v10
	s_mov_b32 s16, s6
	v_cndmask_b32_e64 v10, v12, v11, s0
	v_cmp_gt_i32_e64 s0, 32, v13
	v_or_b32_e32 v16, 32, v12
	s_mul_u64 s[18:19], s[16:17], s[16:17]
	s_lshl_b32 s16, s6, 2
	v_dual_lshlrev_b32 v38, 2, v10 :: v_dual_cndmask_b32 v11, v12, v13, s0
	v_xor_b32_e32 v13, 16, v12
	v_cmp_gt_i32_e64 s0, 32, v16
	v_xor_b32_e32 v17, 8, v12
	v_rcp_iflag_f32_e32 v19, s1
	v_lshlrev_b32_e32 v39, 2, v11
	v_lshl_add_u64 v[10:11], v[6:7], 2, s[2:3]
	v_cndmask_b32_e64 v6, v12, v16, s0
	v_cmp_gt_i32_e64 s0, 32, v13
	v_or_b32_e32 v20, 12, v0
	v_mov_b64_e32 v[22:23], 0
	v_readfirstlane_b32 s20, v19
	s_delay_alu instid0(VALU_DEP_4) | instskip(SKIP_4) | instid1(VALU_DEP_4)
	v_dual_mov_b32 v19, v7 :: v_dual_cndmask_b32 v13, v12, v13, s0
	v_cmp_gt_i32_e64 s0, 32, v17
	v_xor_b32_e32 v16, 4, v12
	v_cmp_gt_u32_e64 s3, s6, v20
	v_dual_lshlrev_b32 v40, 2, v6 :: v_dual_bitop2_b32 v6, 4, v0 bitop3:0x54
	v_cndmask_b32_e64 v17, v12, v17, s0
	s_delay_alu instid0(VALU_DEP_4) | instskip(SKIP_3) | instid1(VALU_DEP_4)
	v_cmp_gt_i32_e64 s0, 32, v16
	v_lshl_or_b32 v37, v0, 2, v35
	v_bfrev_b32_e32 v44, 0.5
	v_cmp_gt_u32_e64 s1, s6, v6
	v_dual_lshlrev_b32 v42, 2, v17 :: v_dual_cndmask_b32 v16, v12, v16, s0
	v_mul_lo_u32 v12, v0, s6
	v_dual_lshlrev_b32 v41, 2, v13 :: v_dual_mov_b32 v13, v7
	v_cmp_gt_u32_e64 s0, s6, v0
	s_delay_alu instid0(VALU_DEP_4) | instskip(SKIP_4) | instid1(VALU_DEP_2)
	v_lshlrev_b32_e32 v43, 2, v16
	v_dual_mov_b32 v17, v7 :: v_dual_bitop2_b32 v6, 8, v0 bitop3:0x54
	v_mov_b32_e32 v21, v7
	s_and_b32 s1, vcc_lo, s1
	s_and_b32 s3, vcc_lo, s3
	v_cmp_gt_u32_e64 s2, s6, v6
	v_dual_mov_b32 v45, 1 :: v_dual_add_nc_u32 v16, s16, v12
	s_ashr_i32 s21, s6, 31
	s_mov_b32 s22, s17
	s_and_b32 s2, vcc_lo, s2
	s_delay_alu instid0(VALU_DEP_1) | instskip(NEXT) | instid1(VALU_DEP_1)
	v_add_nc_u32_e32 v18, s16, v16
	v_add_nc_u32_e32 v20, s16, v18
	s_mul_f32 s16, s20, 0x4f7ffffe
	s_and_b32 s20, s0, vcc_lo
	s_delay_alu instid0(SALU_CYCLE_2) | instskip(SKIP_1) | instid1(SALU_CYCLE_2)
	s_cvt_u32_f32 s0, s16
	s_sub_co_i32 s16, 0, s9
	s_mul_i32 s16, s16, s0
	s_delay_alu instid0(SALU_CYCLE_1) | instskip(NEXT) | instid1(SALU_CYCLE_1)
	s_mul_hi_u32 s16, s0, s16
	s_add_co_i32 s16, s0, s16
	s_branch .LBB49_10
.LBB49_8:                               ;   in Loop: Header=BB49_10 Depth=1
	s_wait_xcnt 0x0
	s_or_b32 exec_lo, exec_lo, s23
	v_mov_b64_e32 v[24:25], 1
.LBB49_9:                               ;   in Loop: Header=BB49_10 Depth=1
	s_or_b32 exec_lo, exec_lo, s0
	ds_bpermute_b32 v6, v40, v46
	v_add_nc_u64_e32 v[4:5], v[24:25], v[4:5]
	s_wait_storecnt_dscnt 0x0
	v_min_i32_e32 v6, v6, v46
	ds_bpermute_b32 v22, v41, v6
	s_wait_dscnt 0x0
	v_min_i32_e32 v6, v22, v6
	ds_bpermute_b32 v22, v42, v6
	s_wait_dscnt 0x0
	;; [unrolled: 3-line block ×6, first 2 shown]
	v_cmp_le_i32_e32 vcc_lo, s5, v22
	v_ashrrev_i32_e32 v23, 31, v22
	s_or_b32 s22, vcc_lo, s22
	s_delay_alu instid0(SALU_CYCLE_1)
	s_and_not1_b32 exec_lo, exec_lo, s22
	s_cbranch_execz .LBB49_39
.LBB49_10:                              ; =>This Loop Header: Depth=1
                                        ;     Child Loop BB49_13 Depth 2
	v_add_nc_u64_e32 v[14:15], v[14:15], v[0:1]
	v_mov_b64_e32 v[28:29], v[2:3]
	v_mov_b32_e32 v46, s5
	s_mov_b32 s23, exec_lo
	ds_store_b8 v34, v7 offset:4096
	ds_store_2addr_b32 v37, v7, v7 offset1:4
	ds_store_2addr_b32 v37, v7, v7 offset0:8 offset1:12
	s_wait_dscnt 0x0
	v_cmpx_lt_i64_e64 v[14:15], v[2:3]
	s_cbranch_execz .LBB49_18
; %bb.11:                               ;   in Loop: Header=BB49_10 Depth=1
	v_lshlrev_b64_e32 v[26:27], 2, v[14:15]
	v_mov_b64_e32 v[28:29], v[2:3]
	v_mov_b32_e32 v46, s5
	s_mov_b32 s24, 0
	s_delay_alu instid0(VALU_DEP_3)
	v_add_nc_u64_e32 v[24:25], s[12:13], v[26:27]
	v_add_nc_u64_e32 v[26:27], s[14:15], v[26:27]
	s_branch .LBB49_13
.LBB49_12:                              ;   in Loop: Header=BB49_13 Depth=2
	s_wait_xcnt 0x0
	s_or_b32 exec_lo, exec_lo, s0
	v_add_nc_u64_e32 v[14:15], 4, v[14:15]
	s_xor_b32 s25, vcc_lo, -1
	v_add_nc_u64_e32 v[24:25], 16, v[24:25]
	v_add_nc_u64_e32 v[26:27], 16, v[26:27]
	s_delay_alu instid0(VALU_DEP_3) | instskip(SKIP_1) | instid1(SALU_CYCLE_1)
	v_cmp_ge_i64_e64 s0, v[14:15], v[2:3]
	s_or_b32 s0, s25, s0
	s_and_b32 s0, exec_lo, s0
	s_delay_alu instid0(SALU_CYCLE_1) | instskip(NEXT) | instid1(SALU_CYCLE_1)
	s_or_b32 s24, s0, s24
	s_and_not1_b32 exec_lo, exec_lo, s24
	s_cbranch_execz .LBB49_17
.LBB49_13:                              ;   Parent Loop BB49_10 Depth=1
                                        ; =>  This Inner Loop Header: Depth=2
	global_load_b32 v6, v[26:27], off
	s_wait_loadcnt 0x0
	v_subrev_nc_u32_e32 v47, s7, v6
	s_delay_alu instid0(VALU_DEP_1) | instskip(NEXT) | instid1(VALU_DEP_1)
	v_sub_nc_u32_e32 v6, 0, v47
	v_max_i32_e32 v6, v47, v6
	s_delay_alu instid0(VALU_DEP_1) | instskip(NEXT) | instid1(VALU_DEP_1)
	v_mul_u64_e32 v[30:31], s[16:17], v[6:7]
	v_mul_lo_u32 v30, v31, s9
	s_delay_alu instid0(VALU_DEP_1) | instskip(NEXT) | instid1(VALU_DEP_1)
	v_dual_sub_nc_u32 v6, v6, v30 :: v_dual_add_nc_u32 v30, 1, v31
	v_cmp_le_u32_e32 vcc_lo, s9, v6
	s_delay_alu instid0(VALU_DEP_2) | instskip(SKIP_1) | instid1(VALU_DEP_1)
	v_dual_cndmask_b32 v30, v31, v30 :: v_dual_ashrrev_i32 v31, 31, v47
	v_subrev_nc_u32_e32 v32, s9, v6
	v_dual_cndmask_b32 v6, v6, v32, vcc_lo :: v_dual_add_nc_u32 v32, 1, v30
	s_delay_alu instid0(VALU_DEP_1) | instskip(NEXT) | instid1(VALU_DEP_2)
	v_cmp_le_u32_e32 vcc_lo, s9, v6
	v_dual_cndmask_b32 v6, v30, v32, vcc_lo :: v_dual_bitop2_b32 v31, s21, v31 bitop3:0x14
	v_mov_b64_e32 v[32:33], v[28:29]
	s_delay_alu instid0(VALU_DEP_2) | instskip(NEXT) | instid1(VALU_DEP_1)
	v_xor_b32_e32 v6, v6, v31
	v_sub_nc_u32_e32 v30, v6, v31
	s_delay_alu instid0(VALU_DEP_1) | instskip(NEXT) | instid1(VALU_DEP_1)
	v_ashrrev_i32_e32 v31, 31, v30
	v_cmp_ne_u64_e64 s0, v[22:23], v[30:31]
	v_cmp_eq_u64_e32 vcc_lo, v[22:23], v[30:31]
	s_wait_xcnt 0x0
	s_and_saveexec_b32 s25, s0
	s_delay_alu instid0(SALU_CYCLE_1)
	s_xor_b32 s0, exec_lo, s25
; %bb.14:                               ;   in Loop: Header=BB49_13 Depth=2
	v_min_i32_e32 v46, v30, v46
                                        ; implicit-def: $vgpr30
                                        ; implicit-def: $vgpr47
                                        ; implicit-def: $vgpr32_vgpr33
; %bb.15:                               ;   in Loop: Header=BB49_13 Depth=2
	s_or_saveexec_b32 s0, s0
	v_mov_b64_e32 v[28:29], v[14:15]
	s_xor_b32 exec_lo, exec_lo, s0
	s_cbranch_execz .LBB49_12
; %bb.16:                               ;   in Loop: Header=BB49_13 Depth=2
	global_load_b32 v6, v[24:25], off
	v_mul_lo_u32 v28, v30, s6
	s_delay_alu instid0(VALU_DEP_1) | instskip(NEXT) | instid1(VALU_DEP_1)
	v_sub_nc_u32_e32 v28, v47, v28
	v_lshl_add_u32 v30, v28, 2, v35
	v_mov_b64_e32 v[28:29], v[32:33]
	ds_store_b8 v34, v45 offset:4096
	s_wait_loadcnt 0x0
	ds_store_b32 v30, v6
	s_branch .LBB49_12
.LBB49_17:                              ;   in Loop: Header=BB49_10 Depth=1
	s_or_b32 exec_lo, exec_lo, s24
.LBB49_18:                              ;   in Loop: Header=BB49_10 Depth=1
	s_delay_alu instid0(SALU_CYCLE_1)
	s_or_b32 exec_lo, exec_lo, s23
	ds_bpermute_b32 v14, v38, v28
	ds_bpermute_b32 v15, v38, v29
	s_wait_dscnt 0x0
	ds_load_u8 v6, v34 offset:4096
	s_mov_b32 s0, exec_lo
	v_min_i64 v[14:15], v[14:15], v[28:29]
	s_wait_dscnt 0x0
	v_and_b32_e32 v6, 1, v6
	ds_bpermute_b32 v24, v39, v14
	ds_bpermute_b32 v25, v39, v15
	s_wait_dscnt 0x0
	v_min_i64 v[14:15], v[24:25], v[14:15]
	v_mov_b64_e32 v[24:25], 0
	ds_bpermute_b32 v14, v36, v14
	ds_bpermute_b32 v15, v36, v15
	v_cmpx_eq_u32_e32 1, v6
	s_cbranch_execz .LBB49_9
; %bb.19:                               ;   in Loop: Header=BB49_10 Depth=1
	v_mul_u64_e32 v[24:25], s[18:19], v[4:5]
	v_add_nc_u32_e32 v6, s8, v22
	s_delay_alu instid0(VALU_DEP_2) | instskip(NEXT) | instid1(VALU_DEP_1)
	v_lshlrev_b64_e32 v[26:27], 2, v[24:25]
	v_add_nc_u64_e32 v[24:25], v[8:9], v[26:27]
	v_add_nc_u64_e32 v[22:23], v[10:11], v[26:27]
	v_lshl_add_u64 v[26:27], v[4:5], 2, s[10:11]
	global_store_b32 v[26:27], v6, off
	s_wait_xcnt 0x0
	s_and_saveexec_b32 s23, s20
	s_cbranch_execz .LBB49_23
; %bb.20:                               ;   in Loop: Header=BB49_10 Depth=1
	ds_load_b32 v26, v37
	s_and_b32 vcc_lo, exec_lo, s4
	s_cbranch_vccz .LBB49_34
; %bb.21:                               ;   in Loop: Header=BB49_10 Depth=1
	v_lshl_add_u64 v[28:29], v[12:13], 2, v[24:25]
	s_wait_dscnt 0x0
	global_store_b32 v[28:29], v26, off
	s_cbranch_execnz .LBB49_23
.LBB49_22:                              ;   in Loop: Header=BB49_10 Depth=1
	v_lshlrev_b32_e32 v6, 2, v0
	s_wait_xcnt 0x0
	s_delay_alu instid0(VALU_DEP_1)
	v_add_nc_u64_e32 v[28:29], v[22:23], v[6:7]
	s_wait_dscnt 0x0
	global_store_b32 v[28:29], v26, off
.LBB49_23:                              ;   in Loop: Header=BB49_10 Depth=1
	s_wait_xcnt 0x0
	s_or_b32 exec_lo, exec_lo, s23
	s_and_saveexec_b32 s23, s1
	s_cbranch_execz .LBB49_27
; %bb.24:                               ;   in Loop: Header=BB49_10 Depth=1
	s_and_not1_b32 vcc_lo, exec_lo, s4
	s_cbranch_vccnz .LBB49_35
; %bb.25:                               ;   in Loop: Header=BB49_10 Depth=1
	ds_load_b32 v6, v37 offset:16
	s_wait_dscnt 0x1
	v_lshl_add_u64 v[26:27], v[16:17], 2, v[24:25]
	s_wait_dscnt 0x0
	global_store_b32 v[26:27], v6, off
	s_cbranch_execnz .LBB49_27
.LBB49_26:                              ;   in Loop: Header=BB49_10 Depth=1
	ds_load_b32 v28, v37 offset:16
	s_wait_xcnt 0x0
	v_lshlrev_b32_e32 v6, 2, v0
	s_wait_dscnt 0x1
	s_delay_alu instid0(VALU_DEP_1)
	v_add_nc_u64_e32 v[26:27], v[22:23], v[6:7]
	s_wait_dscnt 0x0
	global_store_b32 v[26:27], v28, off offset:16
.LBB49_27:                              ;   in Loop: Header=BB49_10 Depth=1
	s_wait_xcnt 0x0
	s_or_b32 exec_lo, exec_lo, s23
	s_and_saveexec_b32 s23, s2
	s_cbranch_execz .LBB49_31
; %bb.28:                               ;   in Loop: Header=BB49_10 Depth=1
	s_and_not1_b32 vcc_lo, exec_lo, s4
	s_cbranch_vccnz .LBB49_36
; %bb.29:                               ;   in Loop: Header=BB49_10 Depth=1
	ds_load_b32 v6, v37 offset:32
	s_wait_dscnt 0x1
	v_lshl_add_u64 v[26:27], v[18:19], 2, v[24:25]
	s_wait_dscnt 0x0
	global_store_b32 v[26:27], v6, off
	s_cbranch_execnz .LBB49_31
.LBB49_30:                              ;   in Loop: Header=BB49_10 Depth=1
	ds_load_b32 v28, v37 offset:32
	s_wait_xcnt 0x0
	v_lshlrev_b32_e32 v6, 2, v0
	s_wait_dscnt 0x1
	s_delay_alu instid0(VALU_DEP_1)
	v_add_nc_u64_e32 v[26:27], v[22:23], v[6:7]
	s_wait_dscnt 0x0
	global_store_b32 v[26:27], v28, off offset:32
.LBB49_31:                              ;   in Loop: Header=BB49_10 Depth=1
	s_wait_xcnt 0x0
	s_or_b32 exec_lo, exec_lo, s23
	s_and_saveexec_b32 s23, s3
	s_cbranch_execz .LBB49_8
; %bb.32:                               ;   in Loop: Header=BB49_10 Depth=1
	s_and_not1_b32 vcc_lo, exec_lo, s4
	s_cbranch_vccnz .LBB49_37
; %bb.33:                               ;   in Loop: Header=BB49_10 Depth=1
	ds_load_b32 v6, v37 offset:48
	v_lshl_add_u64 v[24:25], v[20:21], 2, v[24:25]
	s_wait_dscnt 0x0
	global_store_b32 v[24:25], v6, off
	s_cbranch_execnz .LBB49_8
	s_branch .LBB49_38
.LBB49_34:                              ;   in Loop: Header=BB49_10 Depth=1
	s_branch .LBB49_22
.LBB49_35:                              ;   in Loop: Header=BB49_10 Depth=1
	s_branch .LBB49_26
.LBB49_36:                              ;   in Loop: Header=BB49_10 Depth=1
	s_branch .LBB49_30
.LBB49_37:                              ;   in Loop: Header=BB49_10 Depth=1
.LBB49_38:                              ;   in Loop: Header=BB49_10 Depth=1
	s_wait_xcnt 0x0
	ds_load_b32 v24, v37 offset:48
	v_lshlrev_b32_e32 v6, 2, v0
	s_delay_alu instid0(VALU_DEP_1)
	v_add_nc_u64_e32 v[22:23], v[22:23], v[6:7]
	s_wait_dscnt 0x0
	global_store_b32 v[22:23], v24, off offset:48
	s_branch .LBB49_8
.LBB49_39:
	s_endpgm
	.section	.rodata,"a",@progbits
	.p2align	6, 0x0
	.amdhsa_kernel _ZN9rocsparseL42csr2bsr_wavefront_per_row_multipass_kernelILj256ELj64ELj16EfliEEv20rocsparse_direction_T4_S2_S2_S2_S2_21rocsparse_index_base_PKT2_PKT3_PKS2_S3_PS4_PS7_PS2_
		.amdhsa_group_segment_fixed_size 4100
		.amdhsa_private_segment_fixed_size 0
		.amdhsa_kernarg_size 88
		.amdhsa_user_sgpr_count 2
		.amdhsa_user_sgpr_dispatch_ptr 0
		.amdhsa_user_sgpr_queue_ptr 0
		.amdhsa_user_sgpr_kernarg_segment_ptr 1
		.amdhsa_user_sgpr_dispatch_id 0
		.amdhsa_user_sgpr_kernarg_preload_length 0
		.amdhsa_user_sgpr_kernarg_preload_offset 0
		.amdhsa_user_sgpr_private_segment_size 0
		.amdhsa_wavefront_size32 1
		.amdhsa_uses_dynamic_stack 0
		.amdhsa_enable_private_segment 0
		.amdhsa_system_sgpr_workgroup_id_x 1
		.amdhsa_system_sgpr_workgroup_id_y 0
		.amdhsa_system_sgpr_workgroup_id_z 0
		.amdhsa_system_sgpr_workgroup_info 0
		.amdhsa_system_vgpr_workitem_id 0
		.amdhsa_next_free_vgpr 48
		.amdhsa_next_free_sgpr 26
		.amdhsa_named_barrier_count 0
		.amdhsa_reserve_vcc 1
		.amdhsa_float_round_mode_32 0
		.amdhsa_float_round_mode_16_64 0
		.amdhsa_float_denorm_mode_32 3
		.amdhsa_float_denorm_mode_16_64 3
		.amdhsa_fp16_overflow 0
		.amdhsa_memory_ordered 1
		.amdhsa_forward_progress 1
		.amdhsa_inst_pref_size 16
		.amdhsa_round_robin_scheduling 0
		.amdhsa_exception_fp_ieee_invalid_op 0
		.amdhsa_exception_fp_denorm_src 0
		.amdhsa_exception_fp_ieee_div_zero 0
		.amdhsa_exception_fp_ieee_overflow 0
		.amdhsa_exception_fp_ieee_underflow 0
		.amdhsa_exception_fp_ieee_inexact 0
		.amdhsa_exception_int_div_zero 0
	.end_amdhsa_kernel
	.section	.text._ZN9rocsparseL42csr2bsr_wavefront_per_row_multipass_kernelILj256ELj64ELj16EfliEEv20rocsparse_direction_T4_S2_S2_S2_S2_21rocsparse_index_base_PKT2_PKT3_PKS2_S3_PS4_PS7_PS2_,"axG",@progbits,_ZN9rocsparseL42csr2bsr_wavefront_per_row_multipass_kernelILj256ELj64ELj16EfliEEv20rocsparse_direction_T4_S2_S2_S2_S2_21rocsparse_index_base_PKT2_PKT3_PKS2_S3_PS4_PS7_PS2_,comdat
.Lfunc_end49:
	.size	_ZN9rocsparseL42csr2bsr_wavefront_per_row_multipass_kernelILj256ELj64ELj16EfliEEv20rocsparse_direction_T4_S2_S2_S2_S2_21rocsparse_index_base_PKT2_PKT3_PKS2_S3_PS4_PS7_PS2_, .Lfunc_end49-_ZN9rocsparseL42csr2bsr_wavefront_per_row_multipass_kernelILj256ELj64ELj16EfliEEv20rocsparse_direction_T4_S2_S2_S2_S2_21rocsparse_index_base_PKT2_PKT3_PKS2_S3_PS4_PS7_PS2_
                                        ; -- End function
	.set _ZN9rocsparseL42csr2bsr_wavefront_per_row_multipass_kernelILj256ELj64ELj16EfliEEv20rocsparse_direction_T4_S2_S2_S2_S2_21rocsparse_index_base_PKT2_PKT3_PKS2_S3_PS4_PS7_PS2_.num_vgpr, 48
	.set _ZN9rocsparseL42csr2bsr_wavefront_per_row_multipass_kernelILj256ELj64ELj16EfliEEv20rocsparse_direction_T4_S2_S2_S2_S2_21rocsparse_index_base_PKT2_PKT3_PKS2_S3_PS4_PS7_PS2_.num_agpr, 0
	.set _ZN9rocsparseL42csr2bsr_wavefront_per_row_multipass_kernelILj256ELj64ELj16EfliEEv20rocsparse_direction_T4_S2_S2_S2_S2_21rocsparse_index_base_PKT2_PKT3_PKS2_S3_PS4_PS7_PS2_.numbered_sgpr, 26
	.set _ZN9rocsparseL42csr2bsr_wavefront_per_row_multipass_kernelILj256ELj64ELj16EfliEEv20rocsparse_direction_T4_S2_S2_S2_S2_21rocsparse_index_base_PKT2_PKT3_PKS2_S3_PS4_PS7_PS2_.num_named_barrier, 0
	.set _ZN9rocsparseL42csr2bsr_wavefront_per_row_multipass_kernelILj256ELj64ELj16EfliEEv20rocsparse_direction_T4_S2_S2_S2_S2_21rocsparse_index_base_PKT2_PKT3_PKS2_S3_PS4_PS7_PS2_.private_seg_size, 0
	.set _ZN9rocsparseL42csr2bsr_wavefront_per_row_multipass_kernelILj256ELj64ELj16EfliEEv20rocsparse_direction_T4_S2_S2_S2_S2_21rocsparse_index_base_PKT2_PKT3_PKS2_S3_PS4_PS7_PS2_.uses_vcc, 1
	.set _ZN9rocsparseL42csr2bsr_wavefront_per_row_multipass_kernelILj256ELj64ELj16EfliEEv20rocsparse_direction_T4_S2_S2_S2_S2_21rocsparse_index_base_PKT2_PKT3_PKS2_S3_PS4_PS7_PS2_.uses_flat_scratch, 0
	.set _ZN9rocsparseL42csr2bsr_wavefront_per_row_multipass_kernelILj256ELj64ELj16EfliEEv20rocsparse_direction_T4_S2_S2_S2_S2_21rocsparse_index_base_PKT2_PKT3_PKS2_S3_PS4_PS7_PS2_.has_dyn_sized_stack, 0
	.set _ZN9rocsparseL42csr2bsr_wavefront_per_row_multipass_kernelILj256ELj64ELj16EfliEEv20rocsparse_direction_T4_S2_S2_S2_S2_21rocsparse_index_base_PKT2_PKT3_PKS2_S3_PS4_PS7_PS2_.has_recursion, 0
	.set _ZN9rocsparseL42csr2bsr_wavefront_per_row_multipass_kernelILj256ELj64ELj16EfliEEv20rocsparse_direction_T4_S2_S2_S2_S2_21rocsparse_index_base_PKT2_PKT3_PKS2_S3_PS4_PS7_PS2_.has_indirect_call, 0
	.section	.AMDGPU.csdata,"",@progbits
; Kernel info:
; codeLenInByte = 1928
; TotalNumSgprs: 28
; NumVgprs: 48
; ScratchSize: 0
; MemoryBound: 0
; FloatMode: 240
; IeeeMode: 1
; LDSByteSize: 4100 bytes/workgroup (compile time only)
; SGPRBlocks: 0
; VGPRBlocks: 2
; NumSGPRsForWavesPerEU: 28
; NumVGPRsForWavesPerEU: 48
; NamedBarCnt: 0
; Occupancy: 16
; WaveLimiterHint : 0
; COMPUTE_PGM_RSRC2:SCRATCH_EN: 0
; COMPUTE_PGM_RSRC2:USER_SGPR: 2
; COMPUTE_PGM_RSRC2:TRAP_HANDLER: 0
; COMPUTE_PGM_RSRC2:TGID_X_EN: 1
; COMPUTE_PGM_RSRC2:TGID_Y_EN: 0
; COMPUTE_PGM_RSRC2:TGID_Z_EN: 0
; COMPUTE_PGM_RSRC2:TIDIG_COMP_CNT: 0
	.section	.text._ZN9rocsparseL42csr2bsr_wavefront_per_row_multipass_kernelILj256ELj32ELj16EfliEEv20rocsparse_direction_T4_S2_S2_S2_S2_21rocsparse_index_base_PKT2_PKT3_PKS2_S3_PS4_PS7_PS2_,"axG",@progbits,_ZN9rocsparseL42csr2bsr_wavefront_per_row_multipass_kernelILj256ELj32ELj16EfliEEv20rocsparse_direction_T4_S2_S2_S2_S2_21rocsparse_index_base_PKT2_PKT3_PKS2_S3_PS4_PS7_PS2_,comdat
	.globl	_ZN9rocsparseL42csr2bsr_wavefront_per_row_multipass_kernelILj256ELj32ELj16EfliEEv20rocsparse_direction_T4_S2_S2_S2_S2_21rocsparse_index_base_PKT2_PKT3_PKS2_S3_PS4_PS7_PS2_ ; -- Begin function _ZN9rocsparseL42csr2bsr_wavefront_per_row_multipass_kernelILj256ELj32ELj16EfliEEv20rocsparse_direction_T4_S2_S2_S2_S2_21rocsparse_index_base_PKT2_PKT3_PKS2_S3_PS4_PS7_PS2_
	.p2align	8
	.type	_ZN9rocsparseL42csr2bsr_wavefront_per_row_multipass_kernelILj256ELj32ELj16EfliEEv20rocsparse_direction_T4_S2_S2_S2_S2_21rocsparse_index_base_PKT2_PKT3_PKS2_S3_PS4_PS7_PS2_,@function
_ZN9rocsparseL42csr2bsr_wavefront_per_row_multipass_kernelILj256ELj32ELj16EfliEEv20rocsparse_direction_T4_S2_S2_S2_S2_21rocsparse_index_base_PKT2_PKT3_PKS2_S3_PS4_PS7_PS2_: ; @_ZN9rocsparseL42csr2bsr_wavefront_per_row_multipass_kernelILj256ELj32ELj16EfliEEv20rocsparse_direction_T4_S2_S2_S2_S2_21rocsparse_index_base_PKT2_PKT3_PKS2_S3_PS4_PS7_PS2_
; %bb.0:
	s_clause 0x1
	s_load_b128 s[8:11], s[0:1], 0xc
	s_load_b64 s[4:5], s[0:1], 0x0
	s_bfe_u32 s2, ttmp6, 0x4000c
	s_and_b32 s3, ttmp6, 15
	s_add_co_i32 s2, s2, 1
	s_getreg_b32 s6, hwreg(HW_REG_IB_STS2, 6, 4)
	s_mul_i32 s2, ttmp9, s2
	v_lshrrev_b32_e32 v42, 5, v0
	s_add_co_i32 s3, s3, s2
	s_cmp_eq_u32 s6, 0
	v_bfe_u32 v10, v0, 1, 4
	s_cselect_b32 s2, ttmp9, s3
	s_load_b64 s[6:7], s[0:1], 0x28
	v_lshl_or_b32 v1, s2, 3, v42
	v_mov_b64_e32 v[2:3], 0
	v_mov_b64_e32 v[18:19], 0
	s_mov_b32 s3, 0
	s_wait_kmcnt 0x0
	v_mad_u32 v4, v1, s10, v10
	v_cmp_gt_i32_e32 vcc_lo, s10, v10
	s_delay_alu instid0(VALU_DEP_2) | instskip(SKIP_1) | instid1(SALU_CYCLE_1)
	v_cmp_gt_i32_e64 s2, s5, v4
	s_and_b32 s5, vcc_lo, s2
	s_and_saveexec_b32 s12, s5
	s_cbranch_execz .LBB50_2
; %bb.1:
	global_load_b64 v[6:7], v4, s[6:7] scale_offset
	s_mov_b32 s2, s11
	s_wait_loadcnt 0x0
	v_sub_nc_u64_e64 v[18:19], v[6:7], s[2:3]
.LBB50_2:
	s_or_b32 exec_lo, exec_lo, s12
	s_and_saveexec_b32 s2, s5
	s_cbranch_execz .LBB50_4
; %bb.3:
	global_load_b64 v[2:3], v4, s[6:7] offset:8 scale_offset
	s_wait_xcnt 0x0
	s_mov_b32 s7, 0
	s_mov_b32 s6, s11
	s_wait_loadcnt 0x0
	v_sub_nc_u64_e64 v[2:3], v[2:3], s[6:7]
.LBB50_4:
	s_or_b32 exec_lo, exec_lo, s2
	s_load_b32 s12, s[0:1], 0x38
	v_mov_b64_e32 v[4:5], 0
	s_mov_b32 s3, exec_lo
	v_cmpx_gt_i32_e64 s8, v1
	s_cbranch_execz .LBB50_6
; %bb.5:
	s_load_b64 s[6:7], s[0:1], 0x48
	s_mov_b32 s13, 0
	s_wait_kmcnt 0x0
	global_load_b64 v[4:5], v1, s[6:7] scale_offset
	s_wait_loadcnt 0x0
	v_sub_nc_u64_e64 v[4:5], v[4:5], s[12:13]
.LBB50_6:
	s_or_b32 exec_lo, exec_lo, s3
	s_cmp_lt_i32 s9, 1
	s_cbranch_scc1 .LBB50_59
; %bb.7:
	v_mbcnt_lo_u32_b32 v11, -1, 0
	v_lshlrev_b32_e32 v1, 6, v10
	s_load_b64 s[6:7], s[0:1], 0x40
	v_dual_mov_b32 v7, 0 :: v_dual_bitop2_b32 v0, 1, v0 bitop3:0x40
	s_delay_alu instid0(VALU_DEP_3) | instskip(NEXT) | instid1(VALU_DEP_3)
	v_xor_b32_e32 v6, 1, v11
	v_lshl_or_b32 v43, v42, 10, v1
	s_clause 0x2
	s_load_b64 s[14:15], s[0:1], 0x50
	s_load_b64 s[16:17], s[0:1], 0x20
	;; [unrolled: 1-line block ×3, first 2 shown]
	s_mov_b32 s21, 0
	s_cmp_lg_u32 s4, 0
	v_cmp_gt_i32_e64 s2, 32, v6
	s_mov_b32 s20, s10
	s_cselect_b32 s8, -1, 0
	s_mul_u64 s[22:23], s[20:21], s[20:21]
	s_lshl_b32 s20, s10, 1
	v_dual_cndmask_b32 v6, v11, v6, s2 :: v_dual_bitop2_b32 v12, 16, v11 bitop3:0x14
	v_mov_b32_e32 v1, v7
	v_lshl_or_b32 v46, v11, 2, 4
	v_dual_mov_b32 v21, v7 :: v_dual_bitop2_b32 v23, 8, v0 bitop3:0x54
	s_delay_alu instid0(VALU_DEP_4)
	v_lshlrev_b32_e32 v45, 2, v6
	v_lshlrev_b32_e32 v6, 2, v10
	s_wait_xcnt 0x0
	v_cmp_gt_i32_e64 s0, 32, v12
	s_abs_i32 s13, s10
	v_cmp_gt_u32_e64 s4, s10, v23
	v_dual_mov_b32 v27, v7 :: v_dual_bitop2_b32 v28, 14, v0 bitop3:0x54
	s_wait_kmcnt 0x0
	v_add_nc_u64_e32 v[8:9], s[6:7], v[6:7]
	v_mul_lo_u32 v6, s10, v10
	v_dual_cndmask_b32 v14, v11, v12, s0 :: v_dual_bitop2_b32 v10, 8, v11 bitop3:0x14
	v_xor_b32_e32 v12, 4, v11
	v_mov_b64_e32 v[30:31], 0
	v_lshl_or_b32 v44, v0, 2, v43
	s_delay_alu instid0(VALU_DEP_4)
	v_cmp_gt_i32_e64 s0, 32, v10
	v_xor_b32_e32 v13, 2, v11
	s_and_b32 s4, vcc_lo, s4
	s_ashr_i32 s25, s10, 31
	s_mov_b32 s26, s21
	v_cndmask_b32_e64 v15, v11, v10, s0
	v_mul_lo_u32 v10, v0, s10
	v_cmp_gt_i32_e64 s0, 32, v12
	v_lshlrev_b32_e32 v47, 2, v14
	s_delay_alu instid0(VALU_DEP_4) | instskip(SKIP_1) | instid1(VALU_DEP_4)
	v_dual_mov_b32 v51, 0x7c :: v_dual_lshlrev_b32 v48, 2, v15
	v_mov_b32_e32 v15, v7
	v_cndmask_b32_e64 v16, v11, v12, s0
	v_cmp_gt_i32_e64 s0, 32, v13
	v_dual_mov_b32 v23, v7 :: v_dual_mov_b32 v25, v7
	v_dual_mov_b32 v52, 1 :: v_dual_add_nc_u32 v14, s20, v10
	s_delay_alu instid0(VALU_DEP_3) | instskip(SKIP_2) | instid1(VALU_DEP_4)
	v_dual_cndmask_b32 v11, v11, v13, s0 :: v_dual_lshlrev_b32 v49, 2, v16
	v_or_b32_e32 v17, 4, v0
	v_lshl_add_u64 v[12:13], v[6:7], 2, s[6:7]
	v_dual_add_nc_u32 v16, s20, v14 :: v_dual_bitop2_b32 v6, 2, v0 bitop3:0x54
	s_delay_alu instid0(VALU_DEP_4) | instskip(NEXT) | instid1(VALU_DEP_4)
	v_dual_mov_b32 v11, v7 :: v_dual_lshlrev_b32 v50, 2, v11
	v_cmp_gt_u32_e64 s2, s10, v17
	s_delay_alu instid0(VALU_DEP_3) | instskip(NEXT) | instid1(VALU_DEP_4)
	v_dual_mov_b32 v17, v7 :: v_dual_add_nc_u32 v20, s20, v16
	v_cmp_gt_u32_e64 s1, s10, v6
	v_or_b32_e32 v6, 6, v0
	s_cvt_f32_u32 s6, s13
	v_add_nc_u32_e32 v22, s20, v20
	v_cmp_gt_u32_e64 s0, s10, v0
	v_cmp_gt_u32_e64 s7, s10, v28
	;; [unrolled: 1-line block ×3, first 2 shown]
	s_delay_alu instid0(VALU_DEP_4) | instskip(SKIP_3) | instid1(VALU_DEP_1)
	v_dual_add_nc_u32 v24, s20, v22 :: v_dual_bitop2_b32 v6, 10, v0 bitop3:0x54
	v_rcp_iflag_f32_e32 v29, s6
	s_and_b32 s24, s0, vcc_lo
	s_and_b32 s1, vcc_lo, s1
	v_cmp_gt_u32_e64 s5, s10, v6
	v_add_nc_u32_e32 v26, s20, v24
	v_or_b32_e32 v6, 12, v0
	s_and_b32 s2, vcc_lo, s2
	s_and_b32 s3, vcc_lo, s3
	;; [unrolled: 1-line block ×3, first 2 shown]
	v_add_nc_u32_e32 v28, s20, v26
	v_readfirstlane_b32 s20, v29
	v_cmp_gt_u32_e64 s6, s10, v6
	v_mov_b32_e32 v29, v7
	s_and_b32 s7, vcc_lo, s7
	s_mul_f32 s0, s20, 0x4f7ffffe
	s_sub_co_i32 s20, 0, s13
	s_and_b32 s6, vcc_lo, s6
	s_delay_alu instid0(SALU_CYCLE_1) | instskip(NEXT) | instid1(SALU_CYCLE_3)
	s_cvt_u32_f32 s0, s0
	s_mul_i32 s20, s20, s0
	s_delay_alu instid0(SALU_CYCLE_1) | instskip(NEXT) | instid1(SALU_CYCLE_1)
	s_mul_hi_u32 s20, s0, s20
	s_add_co_i32 s20, s0, s20
	s_branch .LBB50_10
.LBB50_8:                               ;   in Loop: Header=BB50_10 Depth=1
	s_wait_xcnt 0x0
	s_or_b32 exec_lo, exec_lo, s27
	v_mov_b64_e32 v[32:33], 1
.LBB50_9:                               ;   in Loop: Header=BB50_10 Depth=1
	s_or_b32 exec_lo, exec_lo, s0
	ds_bpermute_b32 v6, v47, v53
	v_add_nc_u64_e32 v[4:5], v[32:33], v[4:5]
	s_wait_storecnt_dscnt 0x0
	v_min_i32_e32 v6, v6, v53
	ds_bpermute_b32 v30, v48, v6
	s_wait_dscnt 0x0
	v_min_i32_e32 v6, v30, v6
	ds_bpermute_b32 v30, v49, v6
	s_wait_dscnt 0x0
	;; [unrolled: 3-line block ×5, first 2 shown]
	v_cmp_le_i32_e32 vcc_lo, s9, v30
	v_ashrrev_i32_e32 v31, 31, v30
	s_or_b32 s26, vcc_lo, s26
	s_delay_alu instid0(SALU_CYCLE_1)
	s_and_not1_b32 exec_lo, exec_lo, s26
	s_cbranch_execz .LBB50_59
.LBB50_10:                              ; =>This Loop Header: Depth=1
                                        ;     Child Loop BB50_13 Depth 2
	v_add_nc_u64_e32 v[18:19], v[18:19], v[0:1]
	v_mov_b64_e32 v[36:37], v[2:3]
	v_mov_b32_e32 v53, s9
	s_mov_b32 s27, exec_lo
	ds_store_b8 v42, v7 offset:8192
	ds_store_2addr_b32 v44, v7, v7 offset1:2
	ds_store_2addr_b32 v44, v7, v7 offset0:4 offset1:6
	ds_store_2addr_b32 v44, v7, v7 offset0:8 offset1:10
	;; [unrolled: 1-line block ×3, first 2 shown]
	s_wait_dscnt 0x0
	v_cmpx_lt_i64_e64 v[18:19], v[2:3]
	s_cbranch_execz .LBB50_18
; %bb.11:                               ;   in Loop: Header=BB50_10 Depth=1
	v_lshlrev_b64_e32 v[34:35], 2, v[18:19]
	v_mov_b64_e32 v[36:37], v[2:3]
	v_mov_b32_e32 v53, s9
	s_mov_b32 s28, 0
	s_delay_alu instid0(VALU_DEP_3)
	v_add_nc_u64_e32 v[32:33], s[16:17], v[34:35]
	v_add_nc_u64_e32 v[34:35], s[18:19], v[34:35]
	s_branch .LBB50_13
.LBB50_12:                              ;   in Loop: Header=BB50_13 Depth=2
	s_wait_xcnt 0x0
	s_or_b32 exec_lo, exec_lo, s0
	v_add_nc_u64_e32 v[18:19], 2, v[18:19]
	s_xor_b32 s29, vcc_lo, -1
	v_add_nc_u64_e32 v[32:33], 8, v[32:33]
	v_add_nc_u64_e32 v[34:35], 8, v[34:35]
	s_delay_alu instid0(VALU_DEP_3) | instskip(SKIP_1) | instid1(SALU_CYCLE_1)
	v_cmp_ge_i64_e64 s0, v[18:19], v[2:3]
	s_or_b32 s0, s29, s0
	s_and_b32 s0, exec_lo, s0
	s_delay_alu instid0(SALU_CYCLE_1) | instskip(NEXT) | instid1(SALU_CYCLE_1)
	s_or_b32 s28, s0, s28
	s_and_not1_b32 exec_lo, exec_lo, s28
	s_cbranch_execz .LBB50_17
.LBB50_13:                              ;   Parent Loop BB50_10 Depth=1
                                        ; =>  This Inner Loop Header: Depth=2
	global_load_b32 v6, v[34:35], off
	s_wait_loadcnt 0x0
	v_subrev_nc_u32_e32 v54, s11, v6
	s_delay_alu instid0(VALU_DEP_1) | instskip(NEXT) | instid1(VALU_DEP_1)
	v_sub_nc_u32_e32 v6, 0, v54
	v_max_i32_e32 v6, v54, v6
	s_delay_alu instid0(VALU_DEP_1) | instskip(NEXT) | instid1(VALU_DEP_1)
	v_mul_u64_e32 v[38:39], s[20:21], v[6:7]
	v_mul_lo_u32 v38, v39, s13
	s_delay_alu instid0(VALU_DEP_1) | instskip(NEXT) | instid1(VALU_DEP_1)
	v_dual_sub_nc_u32 v6, v6, v38 :: v_dual_add_nc_u32 v38, 1, v39
	v_cmp_le_u32_e32 vcc_lo, s13, v6
	s_delay_alu instid0(VALU_DEP_2) | instskip(SKIP_1) | instid1(VALU_DEP_1)
	v_cndmask_b32_e32 v38, v39, v38, vcc_lo
	v_subrev_nc_u32_e32 v40, s13, v6
	v_dual_cndmask_b32 v6, v6, v40 :: v_dual_ashrrev_i32 v39, 31, v54
	s_delay_alu instid0(VALU_DEP_1) | instskip(NEXT) | instid1(VALU_DEP_2)
	v_dual_add_nc_u32 v40, 1, v38 :: v_dual_bitop2_b32 v39, s25, v39 bitop3:0x14
	v_cmp_le_u32_e32 vcc_lo, s13, v6
	s_delay_alu instid0(VALU_DEP_2) | instskip(SKIP_1) | instid1(VALU_DEP_2)
	v_cndmask_b32_e32 v6, v38, v40, vcc_lo
	v_mov_b64_e32 v[40:41], v[36:37]
	v_xor_b32_e32 v6, v6, v39
	s_delay_alu instid0(VALU_DEP_1) | instskip(NEXT) | instid1(VALU_DEP_1)
	v_sub_nc_u32_e32 v38, v6, v39
	v_ashrrev_i32_e32 v39, 31, v38
	s_delay_alu instid0(VALU_DEP_1) | instskip(SKIP_3) | instid1(SALU_CYCLE_1)
	v_cmp_ne_u64_e64 s0, v[30:31], v[38:39]
	v_cmp_eq_u64_e32 vcc_lo, v[30:31], v[38:39]
	s_wait_xcnt 0x0
	s_and_saveexec_b32 s29, s0
	s_xor_b32 s0, exec_lo, s29
; %bb.14:                               ;   in Loop: Header=BB50_13 Depth=2
	v_min_i32_e32 v53, v38, v53
                                        ; implicit-def: $vgpr38
                                        ; implicit-def: $vgpr54
                                        ; implicit-def: $vgpr40_vgpr41
; %bb.15:                               ;   in Loop: Header=BB50_13 Depth=2
	s_or_saveexec_b32 s0, s0
	v_mov_b64_e32 v[36:37], v[18:19]
	s_xor_b32 exec_lo, exec_lo, s0
	s_cbranch_execz .LBB50_12
; %bb.16:                               ;   in Loop: Header=BB50_13 Depth=2
	global_load_b32 v6, v[32:33], off
	v_mul_lo_u32 v36, v38, s10
	s_delay_alu instid0(VALU_DEP_1) | instskip(NEXT) | instid1(VALU_DEP_1)
	v_sub_nc_u32_e32 v36, v54, v36
	v_lshl_add_u32 v38, v36, 2, v43
	v_mov_b64_e32 v[36:37], v[40:41]
	ds_store_b8 v42, v52 offset:8192
	s_wait_loadcnt 0x0
	ds_store_b32 v38, v6
	s_branch .LBB50_12
.LBB50_17:                              ;   in Loop: Header=BB50_10 Depth=1
	s_or_b32 exec_lo, exec_lo, s28
.LBB50_18:                              ;   in Loop: Header=BB50_10 Depth=1
	s_delay_alu instid0(SALU_CYCLE_1)
	s_or_b32 exec_lo, exec_lo, s27
	ds_bpermute_b32 v18, v45, v36
	ds_bpermute_b32 v19, v45, v37
	s_wait_dscnt 0x0
	ds_load_u8 v6, v42 offset:8192
	v_mov_b64_e32 v[32:33], 0
	s_mov_b32 s0, exec_lo
	v_min_i64 v[18:19], v[18:19], v[36:37]
	s_wait_dscnt 0x0
	v_and_b32_e32 v6, 1, v6
	ds_bpermute_b32 v18, v46, v18
	ds_bpermute_b32 v19, v46, v19
	v_cmpx_eq_u32_e32 1, v6
	s_cbranch_execz .LBB50_9
; %bb.19:                               ;   in Loop: Header=BB50_10 Depth=1
	v_mul_u64_e32 v[32:33], s[22:23], v[4:5]
	v_add_nc_u32_e32 v6, s12, v30
	s_delay_alu instid0(VALU_DEP_2) | instskip(NEXT) | instid1(VALU_DEP_1)
	v_lshlrev_b64_e32 v[34:35], 2, v[32:33]
	v_add_nc_u64_e32 v[32:33], v[8:9], v[34:35]
	v_add_nc_u64_e32 v[30:31], v[12:13], v[34:35]
	v_lshl_add_u64 v[34:35], v[4:5], 2, s[14:15]
	global_store_b32 v[34:35], v6, off
	s_wait_xcnt 0x0
	s_and_saveexec_b32 s27, s24
	s_cbranch_execz .LBB50_23
; %bb.20:                               ;   in Loop: Header=BB50_10 Depth=1
	ds_load_b32 v34, v44
	s_and_b32 vcc_lo, exec_lo, s8
	s_cbranch_vccz .LBB50_50
; %bb.21:                               ;   in Loop: Header=BB50_10 Depth=1
	v_lshl_add_u64 v[36:37], v[10:11], 2, v[32:33]
	s_wait_dscnt 0x0
	global_store_b32 v[36:37], v34, off
	s_cbranch_execnz .LBB50_23
.LBB50_22:                              ;   in Loop: Header=BB50_10 Depth=1
	v_lshlrev_b32_e32 v6, 2, v0
	s_wait_xcnt 0x0
	s_delay_alu instid0(VALU_DEP_1)
	v_add_nc_u64_e32 v[36:37], v[30:31], v[6:7]
	s_wait_dscnt 0x0
	global_store_b32 v[36:37], v34, off
.LBB50_23:                              ;   in Loop: Header=BB50_10 Depth=1
	s_wait_xcnt 0x0
	s_or_b32 exec_lo, exec_lo, s27
	s_and_saveexec_b32 s27, s1
	s_cbranch_execz .LBB50_27
; %bb.24:                               ;   in Loop: Header=BB50_10 Depth=1
	s_and_not1_b32 vcc_lo, exec_lo, s8
	s_cbranch_vccnz .LBB50_51
; %bb.25:                               ;   in Loop: Header=BB50_10 Depth=1
	ds_load_b32 v6, v44 offset:8
	s_wait_dscnt 0x1
	v_lshl_add_u64 v[34:35], v[14:15], 2, v[32:33]
	s_wait_dscnt 0x0
	global_store_b32 v[34:35], v6, off
	s_cbranch_execnz .LBB50_27
.LBB50_26:                              ;   in Loop: Header=BB50_10 Depth=1
	ds_load_b32 v36, v44 offset:8
	s_wait_xcnt 0x0
	v_lshlrev_b32_e32 v6, 2, v0
	s_wait_dscnt 0x1
	s_delay_alu instid0(VALU_DEP_1)
	v_add_nc_u64_e32 v[34:35], v[30:31], v[6:7]
	s_wait_dscnt 0x0
	global_store_b32 v[34:35], v36, off offset:8
.LBB50_27:                              ;   in Loop: Header=BB50_10 Depth=1
	s_wait_xcnt 0x0
	s_or_b32 exec_lo, exec_lo, s27
	s_and_saveexec_b32 s27, s2
	s_cbranch_execz .LBB50_31
; %bb.28:                               ;   in Loop: Header=BB50_10 Depth=1
	s_and_not1_b32 vcc_lo, exec_lo, s8
	s_cbranch_vccnz .LBB50_52
; %bb.29:                               ;   in Loop: Header=BB50_10 Depth=1
	ds_load_b32 v6, v44 offset:16
	s_wait_dscnt 0x1
	v_lshl_add_u64 v[34:35], v[16:17], 2, v[32:33]
	s_wait_dscnt 0x0
	global_store_b32 v[34:35], v6, off
	s_cbranch_execnz .LBB50_31
.LBB50_30:                              ;   in Loop: Header=BB50_10 Depth=1
	ds_load_b32 v36, v44 offset:16
	s_wait_xcnt 0x0
	v_lshlrev_b32_e32 v6, 2, v0
	s_wait_dscnt 0x1
	s_delay_alu instid0(VALU_DEP_1)
	v_add_nc_u64_e32 v[34:35], v[30:31], v[6:7]
	s_wait_dscnt 0x0
	global_store_b32 v[34:35], v36, off offset:16
.LBB50_31:                              ;   in Loop: Header=BB50_10 Depth=1
	s_wait_xcnt 0x0
	s_or_b32 exec_lo, exec_lo, s27
	s_and_saveexec_b32 s27, s3
	s_cbranch_execz .LBB50_35
; %bb.32:                               ;   in Loop: Header=BB50_10 Depth=1
	s_and_not1_b32 vcc_lo, exec_lo, s8
	s_cbranch_vccnz .LBB50_53
; %bb.33:                               ;   in Loop: Header=BB50_10 Depth=1
	ds_load_b32 v6, v44 offset:24
	s_wait_dscnt 0x1
	v_lshl_add_u64 v[34:35], v[20:21], 2, v[32:33]
	s_wait_dscnt 0x0
	global_store_b32 v[34:35], v6, off
	s_cbranch_execnz .LBB50_35
.LBB50_34:                              ;   in Loop: Header=BB50_10 Depth=1
	ds_load_b32 v36, v44 offset:24
	s_wait_xcnt 0x0
	v_lshlrev_b32_e32 v6, 2, v0
	s_wait_dscnt 0x1
	s_delay_alu instid0(VALU_DEP_1)
	v_add_nc_u64_e32 v[34:35], v[30:31], v[6:7]
	s_wait_dscnt 0x0
	global_store_b32 v[34:35], v36, off offset:24
.LBB50_35:                              ;   in Loop: Header=BB50_10 Depth=1
	s_wait_xcnt 0x0
	s_or_b32 exec_lo, exec_lo, s27
	s_and_saveexec_b32 s27, s4
	s_cbranch_execz .LBB50_39
; %bb.36:                               ;   in Loop: Header=BB50_10 Depth=1
	s_and_not1_b32 vcc_lo, exec_lo, s8
	s_cbranch_vccnz .LBB50_54
; %bb.37:                               ;   in Loop: Header=BB50_10 Depth=1
	ds_load_b32 v6, v44 offset:32
	s_wait_dscnt 0x1
	v_lshl_add_u64 v[34:35], v[22:23], 2, v[32:33]
	s_wait_dscnt 0x0
	global_store_b32 v[34:35], v6, off
	s_cbranch_execnz .LBB50_39
.LBB50_38:                              ;   in Loop: Header=BB50_10 Depth=1
	ds_load_b32 v36, v44 offset:32
	s_wait_xcnt 0x0
	v_lshlrev_b32_e32 v6, 2, v0
	s_wait_dscnt 0x1
	s_delay_alu instid0(VALU_DEP_1)
	v_add_nc_u64_e32 v[34:35], v[30:31], v[6:7]
	s_wait_dscnt 0x0
	global_store_b32 v[34:35], v36, off offset:32
.LBB50_39:                              ;   in Loop: Header=BB50_10 Depth=1
	s_wait_xcnt 0x0
	s_or_b32 exec_lo, exec_lo, s27
	s_and_saveexec_b32 s27, s5
	s_cbranch_execz .LBB50_43
; %bb.40:                               ;   in Loop: Header=BB50_10 Depth=1
	s_and_not1_b32 vcc_lo, exec_lo, s8
	s_cbranch_vccnz .LBB50_55
; %bb.41:                               ;   in Loop: Header=BB50_10 Depth=1
	ds_load_b32 v6, v44 offset:40
	s_wait_dscnt 0x1
	v_lshl_add_u64 v[34:35], v[24:25], 2, v[32:33]
	s_wait_dscnt 0x0
	global_store_b32 v[34:35], v6, off
	s_cbranch_execnz .LBB50_43
.LBB50_42:                              ;   in Loop: Header=BB50_10 Depth=1
	ds_load_b32 v36, v44 offset:40
	s_wait_xcnt 0x0
	v_lshlrev_b32_e32 v6, 2, v0
	s_wait_dscnt 0x1
	s_delay_alu instid0(VALU_DEP_1)
	v_add_nc_u64_e32 v[34:35], v[30:31], v[6:7]
	s_wait_dscnt 0x0
	global_store_b32 v[34:35], v36, off offset:40
.LBB50_43:                              ;   in Loop: Header=BB50_10 Depth=1
	s_wait_xcnt 0x0
	s_or_b32 exec_lo, exec_lo, s27
	s_and_saveexec_b32 s27, s6
	s_cbranch_execz .LBB50_47
; %bb.44:                               ;   in Loop: Header=BB50_10 Depth=1
	s_and_not1_b32 vcc_lo, exec_lo, s8
	s_cbranch_vccnz .LBB50_56
; %bb.45:                               ;   in Loop: Header=BB50_10 Depth=1
	ds_load_b32 v6, v44 offset:48
	s_wait_dscnt 0x1
	v_lshl_add_u64 v[34:35], v[26:27], 2, v[32:33]
	s_wait_dscnt 0x0
	global_store_b32 v[34:35], v6, off
	s_cbranch_execnz .LBB50_47
.LBB50_46:                              ;   in Loop: Header=BB50_10 Depth=1
	ds_load_b32 v36, v44 offset:48
	s_wait_xcnt 0x0
	v_lshlrev_b32_e32 v6, 2, v0
	s_wait_dscnt 0x1
	s_delay_alu instid0(VALU_DEP_1)
	v_add_nc_u64_e32 v[34:35], v[30:31], v[6:7]
	s_wait_dscnt 0x0
	global_store_b32 v[34:35], v36, off offset:48
.LBB50_47:                              ;   in Loop: Header=BB50_10 Depth=1
	s_wait_xcnt 0x0
	s_or_b32 exec_lo, exec_lo, s27
	s_and_saveexec_b32 s27, s7
	s_cbranch_execz .LBB50_8
; %bb.48:                               ;   in Loop: Header=BB50_10 Depth=1
	s_and_not1_b32 vcc_lo, exec_lo, s8
	s_cbranch_vccnz .LBB50_57
; %bb.49:                               ;   in Loop: Header=BB50_10 Depth=1
	ds_load_b32 v6, v44 offset:56
	v_lshl_add_u64 v[32:33], v[28:29], 2, v[32:33]
	s_wait_dscnt 0x0
	global_store_b32 v[32:33], v6, off
	s_cbranch_execnz .LBB50_8
	s_branch .LBB50_58
.LBB50_50:                              ;   in Loop: Header=BB50_10 Depth=1
	s_branch .LBB50_22
.LBB50_51:                              ;   in Loop: Header=BB50_10 Depth=1
	s_branch .LBB50_26
.LBB50_52:                              ;   in Loop: Header=BB50_10 Depth=1
	s_branch .LBB50_30
.LBB50_53:                              ;   in Loop: Header=BB50_10 Depth=1
	s_branch .LBB50_34
.LBB50_54:                              ;   in Loop: Header=BB50_10 Depth=1
	s_branch .LBB50_38
.LBB50_55:                              ;   in Loop: Header=BB50_10 Depth=1
	s_branch .LBB50_42
.LBB50_56:                              ;   in Loop: Header=BB50_10 Depth=1
	s_branch .LBB50_46
.LBB50_57:                              ;   in Loop: Header=BB50_10 Depth=1
.LBB50_58:                              ;   in Loop: Header=BB50_10 Depth=1
	s_wait_xcnt 0x0
	ds_load_b32 v32, v44 offset:56
	v_lshlrev_b32_e32 v6, 2, v0
	s_delay_alu instid0(VALU_DEP_1)
	v_add_nc_u64_e32 v[30:31], v[30:31], v[6:7]
	s_wait_dscnt 0x0
	global_store_b32 v[30:31], v32, off offset:56
	s_branch .LBB50_8
.LBB50_59:
	s_endpgm
	.section	.rodata,"a",@progbits
	.p2align	6, 0x0
	.amdhsa_kernel _ZN9rocsparseL42csr2bsr_wavefront_per_row_multipass_kernelILj256ELj32ELj16EfliEEv20rocsparse_direction_T4_S2_S2_S2_S2_21rocsparse_index_base_PKT2_PKT3_PKS2_S3_PS4_PS7_PS2_
		.amdhsa_group_segment_fixed_size 8200
		.amdhsa_private_segment_fixed_size 0
		.amdhsa_kernarg_size 88
		.amdhsa_user_sgpr_count 2
		.amdhsa_user_sgpr_dispatch_ptr 0
		.amdhsa_user_sgpr_queue_ptr 0
		.amdhsa_user_sgpr_kernarg_segment_ptr 1
		.amdhsa_user_sgpr_dispatch_id 0
		.amdhsa_user_sgpr_kernarg_preload_length 0
		.amdhsa_user_sgpr_kernarg_preload_offset 0
		.amdhsa_user_sgpr_private_segment_size 0
		.amdhsa_wavefront_size32 1
		.amdhsa_uses_dynamic_stack 0
		.amdhsa_enable_private_segment 0
		.amdhsa_system_sgpr_workgroup_id_x 1
		.amdhsa_system_sgpr_workgroup_id_y 0
		.amdhsa_system_sgpr_workgroup_id_z 0
		.amdhsa_system_sgpr_workgroup_info 0
		.amdhsa_system_vgpr_workitem_id 0
		.amdhsa_next_free_vgpr 55
		.amdhsa_next_free_sgpr 30
		.amdhsa_named_barrier_count 0
		.amdhsa_reserve_vcc 1
		.amdhsa_float_round_mode_32 0
		.amdhsa_float_round_mode_16_64 0
		.amdhsa_float_denorm_mode_32 3
		.amdhsa_float_denorm_mode_16_64 3
		.amdhsa_fp16_overflow 0
		.amdhsa_memory_ordered 1
		.amdhsa_forward_progress 1
		.amdhsa_inst_pref_size 20
		.amdhsa_round_robin_scheduling 0
		.amdhsa_exception_fp_ieee_invalid_op 0
		.amdhsa_exception_fp_denorm_src 0
		.amdhsa_exception_fp_ieee_div_zero 0
		.amdhsa_exception_fp_ieee_overflow 0
		.amdhsa_exception_fp_ieee_underflow 0
		.amdhsa_exception_fp_ieee_inexact 0
		.amdhsa_exception_int_div_zero 0
	.end_amdhsa_kernel
	.section	.text._ZN9rocsparseL42csr2bsr_wavefront_per_row_multipass_kernelILj256ELj32ELj16EfliEEv20rocsparse_direction_T4_S2_S2_S2_S2_21rocsparse_index_base_PKT2_PKT3_PKS2_S3_PS4_PS7_PS2_,"axG",@progbits,_ZN9rocsparseL42csr2bsr_wavefront_per_row_multipass_kernelILj256ELj32ELj16EfliEEv20rocsparse_direction_T4_S2_S2_S2_S2_21rocsparse_index_base_PKT2_PKT3_PKS2_S3_PS4_PS7_PS2_,comdat
.Lfunc_end50:
	.size	_ZN9rocsparseL42csr2bsr_wavefront_per_row_multipass_kernelILj256ELj32ELj16EfliEEv20rocsparse_direction_T4_S2_S2_S2_S2_21rocsparse_index_base_PKT2_PKT3_PKS2_S3_PS4_PS7_PS2_, .Lfunc_end50-_ZN9rocsparseL42csr2bsr_wavefront_per_row_multipass_kernelILj256ELj32ELj16EfliEEv20rocsparse_direction_T4_S2_S2_S2_S2_21rocsparse_index_base_PKT2_PKT3_PKS2_S3_PS4_PS7_PS2_
                                        ; -- End function
	.set _ZN9rocsparseL42csr2bsr_wavefront_per_row_multipass_kernelILj256ELj32ELj16EfliEEv20rocsparse_direction_T4_S2_S2_S2_S2_21rocsparse_index_base_PKT2_PKT3_PKS2_S3_PS4_PS7_PS2_.num_vgpr, 55
	.set _ZN9rocsparseL42csr2bsr_wavefront_per_row_multipass_kernelILj256ELj32ELj16EfliEEv20rocsparse_direction_T4_S2_S2_S2_S2_21rocsparse_index_base_PKT2_PKT3_PKS2_S3_PS4_PS7_PS2_.num_agpr, 0
	.set _ZN9rocsparseL42csr2bsr_wavefront_per_row_multipass_kernelILj256ELj32ELj16EfliEEv20rocsparse_direction_T4_S2_S2_S2_S2_21rocsparse_index_base_PKT2_PKT3_PKS2_S3_PS4_PS7_PS2_.numbered_sgpr, 30
	.set _ZN9rocsparseL42csr2bsr_wavefront_per_row_multipass_kernelILj256ELj32ELj16EfliEEv20rocsparse_direction_T4_S2_S2_S2_S2_21rocsparse_index_base_PKT2_PKT3_PKS2_S3_PS4_PS7_PS2_.num_named_barrier, 0
	.set _ZN9rocsparseL42csr2bsr_wavefront_per_row_multipass_kernelILj256ELj32ELj16EfliEEv20rocsparse_direction_T4_S2_S2_S2_S2_21rocsparse_index_base_PKT2_PKT3_PKS2_S3_PS4_PS7_PS2_.private_seg_size, 0
	.set _ZN9rocsparseL42csr2bsr_wavefront_per_row_multipass_kernelILj256ELj32ELj16EfliEEv20rocsparse_direction_T4_S2_S2_S2_S2_21rocsparse_index_base_PKT2_PKT3_PKS2_S3_PS4_PS7_PS2_.uses_vcc, 1
	.set _ZN9rocsparseL42csr2bsr_wavefront_per_row_multipass_kernelILj256ELj32ELj16EfliEEv20rocsparse_direction_T4_S2_S2_S2_S2_21rocsparse_index_base_PKT2_PKT3_PKS2_S3_PS4_PS7_PS2_.uses_flat_scratch, 0
	.set _ZN9rocsparseL42csr2bsr_wavefront_per_row_multipass_kernelILj256ELj32ELj16EfliEEv20rocsparse_direction_T4_S2_S2_S2_S2_21rocsparse_index_base_PKT2_PKT3_PKS2_S3_PS4_PS7_PS2_.has_dyn_sized_stack, 0
	.set _ZN9rocsparseL42csr2bsr_wavefront_per_row_multipass_kernelILj256ELj32ELj16EfliEEv20rocsparse_direction_T4_S2_S2_S2_S2_21rocsparse_index_base_PKT2_PKT3_PKS2_S3_PS4_PS7_PS2_.has_recursion, 0
	.set _ZN9rocsparseL42csr2bsr_wavefront_per_row_multipass_kernelILj256ELj32ELj16EfliEEv20rocsparse_direction_T4_S2_S2_S2_S2_21rocsparse_index_base_PKT2_PKT3_PKS2_S3_PS4_PS7_PS2_.has_indirect_call, 0
	.section	.AMDGPU.csdata,"",@progbits
; Kernel info:
; codeLenInByte = 2444
; TotalNumSgprs: 32
; NumVgprs: 55
; ScratchSize: 0
; MemoryBound: 0
; FloatMode: 240
; IeeeMode: 1
; LDSByteSize: 8200 bytes/workgroup (compile time only)
; SGPRBlocks: 0
; VGPRBlocks: 3
; NumSGPRsForWavesPerEU: 32
; NumVGPRsForWavesPerEU: 55
; NamedBarCnt: 0
; Occupancy: 16
; WaveLimiterHint : 0
; COMPUTE_PGM_RSRC2:SCRATCH_EN: 0
; COMPUTE_PGM_RSRC2:USER_SGPR: 2
; COMPUTE_PGM_RSRC2:TRAP_HANDLER: 0
; COMPUTE_PGM_RSRC2:TGID_X_EN: 1
; COMPUTE_PGM_RSRC2:TGID_Y_EN: 0
; COMPUTE_PGM_RSRC2:TGID_Z_EN: 0
; COMPUTE_PGM_RSRC2:TIDIG_COMP_CNT: 0
	.section	.text._ZN9rocsparseL38csr2bsr_block_per_row_multipass_kernelILj256ELj32EfliEEv20rocsparse_direction_T3_S2_S2_S2_S2_21rocsparse_index_base_PKT1_PKT2_PKS2_S3_PS4_PS7_PS2_,"axG",@progbits,_ZN9rocsparseL38csr2bsr_block_per_row_multipass_kernelILj256ELj32EfliEEv20rocsparse_direction_T3_S2_S2_S2_S2_21rocsparse_index_base_PKT1_PKT2_PKS2_S3_PS4_PS7_PS2_,comdat
	.globl	_ZN9rocsparseL38csr2bsr_block_per_row_multipass_kernelILj256ELj32EfliEEv20rocsparse_direction_T3_S2_S2_S2_S2_21rocsparse_index_base_PKT1_PKT2_PKS2_S3_PS4_PS7_PS2_ ; -- Begin function _ZN9rocsparseL38csr2bsr_block_per_row_multipass_kernelILj256ELj32EfliEEv20rocsparse_direction_T3_S2_S2_S2_S2_21rocsparse_index_base_PKT1_PKT2_PKS2_S3_PS4_PS7_PS2_
	.p2align	8
	.type	_ZN9rocsparseL38csr2bsr_block_per_row_multipass_kernelILj256ELj32EfliEEv20rocsparse_direction_T3_S2_S2_S2_S2_21rocsparse_index_base_PKT1_PKT2_PKS2_S3_PS4_PS7_PS2_,@function
_ZN9rocsparseL38csr2bsr_block_per_row_multipass_kernelILj256ELj32EfliEEv20rocsparse_direction_T3_S2_S2_S2_S2_21rocsparse_index_base_PKT1_PKT2_PKS2_S3_PS4_PS7_PS2_: ; @_ZN9rocsparseL38csr2bsr_block_per_row_multipass_kernelILj256ELj32EfliEEv20rocsparse_direction_T3_S2_S2_S2_S2_21rocsparse_index_base_PKT1_PKT2_PKS2_S3_PS4_PS7_PS2_
; %bb.0:
	s_clause 0x1
	s_load_b96 s[12:14], s[0:1], 0x10
	s_load_b64 s[4:5], s[0:1], 0x0
	s_bfe_u32 s2, ttmp6, 0x4000c
	s_and_b32 s3, ttmp6, 15
	s_add_co_i32 s2, s2, 1
	s_getreg_b32 s6, hwreg(HW_REG_IB_STS2, 6, 4)
	s_mul_i32 s2, ttmp9, s2
	v_lshrrev_b32_e32 v1, 3, v0
	s_add_co_i32 s3, s3, s2
	s_cmp_eq_u32 s6, 0
	s_load_b64 s[8:9], s[0:1], 0x28
	s_cselect_b32 s6, ttmp9, s3
	v_mov_b64_e32 v[2:3], 0
	v_mov_b64_e32 v[18:19], 0
	s_mov_b32 s3, 0
	s_wait_kmcnt 0x0
	v_mad_u32 v4, s13, s6, v1
	v_cmp_gt_i32_e32 vcc_lo, s13, v1
	s_delay_alu instid0(VALU_DEP_2) | instskip(SKIP_1) | instid1(SALU_CYCLE_1)
	v_cmp_gt_i32_e64 s2, s5, v4
	s_and_b32 s5, vcc_lo, s2
	s_and_saveexec_b32 s7, s5
	s_cbranch_execnz .LBB51_3
; %bb.1:
	s_or_b32 exec_lo, exec_lo, s7
	s_and_saveexec_b32 s2, s5
	s_cbranch_execnz .LBB51_4
.LBB51_2:
	s_or_b32 exec_lo, exec_lo, s2
	s_cmp_lt_i32 s12, 1
	s_cbranch_scc0 .LBB51_5
	s_branch .LBB51_53
.LBB51_3:
	global_load_b64 v[6:7], v4, s[8:9] scale_offset
	s_mov_b32 s2, s14
	s_wait_loadcnt 0x0
	v_sub_nc_u64_e64 v[18:19], v[6:7], s[2:3]
	s_or_b32 exec_lo, exec_lo, s7
	s_and_saveexec_b32 s2, s5
	s_cbranch_execz .LBB51_2
.LBB51_4:
	global_load_b64 v[2:3], v4, s[8:9] offset:8 scale_offset
	s_wait_xcnt 0x0
	s_mov_b32 s9, 0
	s_mov_b32 s8, s14
	s_wait_loadcnt 0x0
	v_sub_nc_u64_e64 v[2:3], v[2:3], s[8:9]
	s_or_b32 exec_lo, exec_lo, s2
	s_cmp_lt_i32 s12, 1
	s_cbranch_scc1 .LBB51_53
.LBB51_5:
	s_clause 0x3
	s_load_b128 s[8:11], s[0:1], 0x40
	s_load_b64 s[20:21], s[0:1], 0x50
	s_load_b64 s[22:23], s[0:1], 0x20
	s_load_b96 s[16:18], s[0:1], 0x30
	s_ashr_i32 s7, s6, 31
	v_dual_lshlrev_b32 v32, 7, v1 :: v_dual_bitop2_b32 v4, 7, v0 bitop3:0x40
	v_mbcnt_lo_u32_b32 v10, -1, 0
	s_lshl_b64 s[6:7], s[6:7], 3
	s_cmp_lg_u32 s4, 0
	s_delay_alu instid0(VALU_DEP_2) | instskip(NEXT) | instid1(VALU_DEP_2)
	v_dual_mov_b32 v7, 0 :: v_dual_lshlrev_b32 v22, 2, v4
	v_dual_lshlrev_b32 v6, 2, v1 :: v_dual_bitop2_b32 v11, 4, v10 bitop3:0x14
	s_mov_b32 s25, 0
	s_cselect_b32 s15, -1, 0
	s_abs_i32 s19, s13
	v_lshl_or_b32 v34, v10, 2, 28
	v_dual_mov_b32 v17, v7 :: v_dual_bitop2_b32 v14, 24, v4 bitop3:0x54
	s_wait_kmcnt 0x0
	s_add_nc_u64 s[4:5], s[10:11], s[6:7]
	v_add_nc_u64_e32 v[8:9], s[8:9], v[6:7]
	s_load_b64 s[6:7], s[4:5], 0x0
	s_wait_xcnt 0x0
	v_cmp_gt_i32_e64 s4, 32, v11
	v_xor_b32_e32 v12, 2, v10
	v_mul_lo_u32 v6, s13, v1
	s_mov_b32 s24, s18
	v_dual_lshlrev_b32 v33, 2, v0 :: v_dual_mov_b32 v5, v7
	v_cndmask_b32_e64 v1, v10, v11, s4
	v_cmp_gt_i32_e64 s4, 32, v12
	v_dual_mov_b32 v15, v7 :: v_dual_bitop2_b32 v13, 1, v10 bitop3:0x14
	v_cmp_gt_u32_e64 s0, 0x80, v0
	v_cmp_gt_u32_e64 s1, 64, v0
	s_delay_alu instid0(VALU_DEP_4) | instskip(NEXT) | instid1(VALU_DEP_4)
	v_cndmask_b32_e64 v11, v10, v12, s4
	v_cmp_gt_i32_e64 s4, 32, v13
	v_dual_mov_b32 v23, v7 :: v_dual_lshlrev_b32 v35, 2, v1
	s_delay_alu instid0(VALU_DEP_3) | instskip(NEXT) | instid1(VALU_DEP_3)
	v_dual_lshlrev_b32 v36, 2, v11 :: v_dual_bitop2_b32 v1, 8, v4 bitop3:0x54
	v_cndmask_b32_e64 v12, v10, v13, s4
	s_wait_kmcnt 0x0
	s_sub_nc_u64 s[10:11], s[6:7], s[24:25]
	s_mov_b32 s24, s13
	v_lshl_add_u64 v[10:11], v[6:7], 2, s[8:9]
	s_mul_u64 s[26:27], s[24:25], s[24:25]
	s_cvt_f32_u32 s24, s19
	v_dual_lshlrev_b32 v37, 2, v12 :: v_dual_mov_b32 v13, v7
	v_mul_lo_u32 v12, v4, s13
	v_cmp_gt_u32_e64 s9, s13, v1
	v_rcp_iflag_f32_e32 v1, s24
	v_cmp_gt_u32_e64 s8, s13, v4
	v_or_b32_e32 v6, 16, v4
	s_lshl_b32 s24, s13, 3
	v_cmp_gt_u32_e64 s2, 32, v0
	v_cmp_gt_u32_e64 s3, 16, v0
	;; [unrolled: 1-line block ×3, first 2 shown]
	v_readfirstlane_b32 s30, v1
	v_cmp_gt_u32_e64 s5, 4, v0
	v_cmp_gt_u32_e64 s6, 2, v0
	v_cmp_eq_u32_e64 s7, 0, v0
	s_and_b32 s28, vcc_lo, s8
	v_dual_mov_b32 v1, v7 :: v_dual_add_nc_u32 v0, s24, v12
	v_cmp_gt_u32_e64 s8, s13, v6
	s_mul_f32 s33, s30, 0x4f7ffffe
	s_and_b32 s29, vcc_lo, s9
	v_cmp_gt_u32_e64 s9, s13, v14
	v_dual_mov_b32 v39, 1 :: v_dual_add_nc_u32 v14, s24, v0
	s_and_b32 s30, vcc_lo, s8
	s_cvt_u32_f32 s8, s33
	s_and_b32 s31, vcc_lo, s9
	s_sub_co_i32 s9, 0, s19
	v_add_nc_u64_e32 v[10:11], v[10:11], v[22:23]
	v_mov_b64_e32 v[20:21], 0
	s_mul_i32 s9, s9, s8
	v_dual_add_nc_u32 v16, s24, v14 :: v_dual_add_nc_u32 v38, v22, v32
	s_mul_hi_u32 s9, s8, s9
	s_ashr_i32 s33, s13, 31
	s_add_co_i32 s24, s8, s9
	s_branch .LBB51_7
.LBB51_6:                               ;   in Loop: Header=BB51_7 Depth=1
	s_or_b32 exec_lo, exec_lo, s34
	s_wait_dscnt 0x0
	s_barrier_signal -1
	s_barrier_wait -1
	ds_load_b32 v20, v7
	s_add_nc_u64 s[10:11], s[8:9], s[10:11]
	s_wait_dscnt 0x0
	s_barrier_signal -1
	s_barrier_wait -1
	v_cmp_gt_i32_e32 vcc_lo, s12, v20
	v_ashrrev_i32_e32 v21, 31, v20
	s_cbranch_vccz .LBB51_53
.LBB51_7:                               ; =>This Loop Header: Depth=1
                                        ;     Child Loop BB51_10 Depth 2
	v_add_nc_u64_e32 v[18:19], v[18:19], v[4:5]
	v_mov_b64_e32 v[26:27], v[2:3]
	v_mov_b32_e32 v40, s12
	s_mov_b32 s9, exec_lo
	ds_store_b8 v7, v7 offset:4096
	ds_store_2addr_b32 v38, v7, v7 offset1:8
	ds_store_2addr_b32 v38, v7, v7 offset0:16 offset1:24
	s_wait_dscnt 0x0
	s_barrier_signal -1
	s_barrier_wait -1
	v_cmpx_lt_i64_e64 v[18:19], v[2:3]
	s_cbranch_execz .LBB51_15
; %bb.8:                                ;   in Loop: Header=BB51_7 Depth=1
	v_lshlrev_b64_e32 v[24:25], 2, v[18:19]
	v_mov_b64_e32 v[26:27], v[2:3]
	v_mov_b32_e32 v40, s12
	s_mov_b32 s34, 0
	s_delay_alu instid0(VALU_DEP_3)
	v_add_nc_u64_e32 v[22:23], s[22:23], v[24:25]
	v_add_nc_u64_e32 v[24:25], s[16:17], v[24:25]
	s_branch .LBB51_10
.LBB51_9:                               ;   in Loop: Header=BB51_10 Depth=2
	s_wait_xcnt 0x0
	s_or_b32 exec_lo, exec_lo, s8
	v_add_nc_u64_e32 v[18:19], 8, v[18:19]
	s_xor_b32 s35, vcc_lo, -1
	v_add_nc_u64_e32 v[22:23], 32, v[22:23]
	v_add_nc_u64_e32 v[24:25], 32, v[24:25]
	s_delay_alu instid0(VALU_DEP_3) | instskip(SKIP_1) | instid1(SALU_CYCLE_1)
	v_cmp_ge_i64_e64 s8, v[18:19], v[2:3]
	s_or_b32 s8, s35, s8
	s_and_b32 s8, exec_lo, s8
	s_delay_alu instid0(SALU_CYCLE_1) | instskip(NEXT) | instid1(SALU_CYCLE_1)
	s_or_b32 s34, s8, s34
	s_and_not1_b32 exec_lo, exec_lo, s34
	s_cbranch_execz .LBB51_14
.LBB51_10:                              ;   Parent Loop BB51_7 Depth=1
                                        ; =>  This Inner Loop Header: Depth=2
	global_load_b32 v6, v[24:25], off
	s_wait_loadcnt 0x0
	v_subrev_nc_u32_e32 v41, s14, v6
	s_delay_alu instid0(VALU_DEP_1) | instskip(NEXT) | instid1(VALU_DEP_1)
	v_sub_nc_u32_e32 v6, 0, v41
	v_max_i32_e32 v6, v41, v6
	s_delay_alu instid0(VALU_DEP_1) | instskip(NEXT) | instid1(VALU_DEP_1)
	v_mul_u64_e32 v[28:29], s[24:25], v[6:7]
	v_mul_lo_u32 v28, v29, s19
	s_delay_alu instid0(VALU_DEP_1) | instskip(NEXT) | instid1(VALU_DEP_1)
	v_dual_sub_nc_u32 v6, v6, v28 :: v_dual_add_nc_u32 v28, 1, v29
	v_cmp_le_u32_e32 vcc_lo, s19, v6
	s_delay_alu instid0(VALU_DEP_2) | instskip(SKIP_1) | instid1(VALU_DEP_1)
	v_dual_cndmask_b32 v28, v29, v28 :: v_dual_ashrrev_i32 v29, 31, v41
	v_subrev_nc_u32_e32 v30, s19, v6
	v_dual_cndmask_b32 v6, v6, v30, vcc_lo :: v_dual_add_nc_u32 v30, 1, v28
	s_delay_alu instid0(VALU_DEP_1) | instskip(NEXT) | instid1(VALU_DEP_2)
	v_cmp_le_u32_e32 vcc_lo, s19, v6
	v_dual_cndmask_b32 v6, v28, v30, vcc_lo :: v_dual_bitop2_b32 v29, s33, v29 bitop3:0x14
	v_mov_b64_e32 v[30:31], v[26:27]
	s_delay_alu instid0(VALU_DEP_2) | instskip(NEXT) | instid1(VALU_DEP_1)
	v_xor_b32_e32 v6, v6, v29
	v_sub_nc_u32_e32 v28, v6, v29
	s_delay_alu instid0(VALU_DEP_1) | instskip(NEXT) | instid1(VALU_DEP_1)
	v_ashrrev_i32_e32 v29, 31, v28
	v_cmp_ne_u64_e64 s8, v[20:21], v[28:29]
	v_cmp_eq_u64_e32 vcc_lo, v[20:21], v[28:29]
	s_wait_xcnt 0x0
	s_and_saveexec_b32 s35, s8
	s_delay_alu instid0(SALU_CYCLE_1)
	s_xor_b32 s8, exec_lo, s35
; %bb.11:                               ;   in Loop: Header=BB51_10 Depth=2
	v_min_i32_e32 v40, v28, v40
                                        ; implicit-def: $vgpr28
                                        ; implicit-def: $vgpr41
                                        ; implicit-def: $vgpr30_vgpr31
; %bb.12:                               ;   in Loop: Header=BB51_10 Depth=2
	s_or_saveexec_b32 s8, s8
	v_mov_b64_e32 v[26:27], v[18:19]
	s_xor_b32 exec_lo, exec_lo, s8
	s_cbranch_execz .LBB51_9
; %bb.13:                               ;   in Loop: Header=BB51_10 Depth=2
	global_load_b32 v6, v[22:23], off
	v_mul_lo_u32 v26, v28, s13
	s_delay_alu instid0(VALU_DEP_1) | instskip(NEXT) | instid1(VALU_DEP_1)
	v_sub_nc_u32_e32 v26, v41, v26
	v_lshl_add_u32 v28, v26, 2, v32
	v_mov_b64_e32 v[26:27], v[30:31]
	ds_store_b8 v7, v39 offset:4096
	s_wait_loadcnt 0x0
	ds_store_b32 v28, v6
	s_branch .LBB51_9
.LBB51_14:                              ;   in Loop: Header=BB51_7 Depth=1
	s_or_b32 exec_lo, exec_lo, s34
.LBB51_15:                              ;   in Loop: Header=BB51_7 Depth=1
	s_delay_alu instid0(SALU_CYCLE_1)
	s_or_b32 exec_lo, exec_lo, s9
	ds_bpermute_b32 v18, v35, v26
	ds_bpermute_b32 v19, v35, v27
	s_wait_dscnt 0x0
	s_barrier_signal -1
	s_barrier_wait -1
	ds_load_u8 v6, v7 offset:4096
	s_mov_b64 s[8:9], 0
	v_min_i64 v[18:19], v[18:19], v[26:27]
	s_wait_dscnt 0x0
	v_and_b32_e32 v6, 1, v6
	s_delay_alu instid0(VALU_DEP_1)
	v_cmp_eq_u32_e32 vcc_lo, 0, v6
	s_and_b32 vcc_lo, exec_lo, vcc_lo
	ds_bpermute_b32 v22, v36, v18
	ds_bpermute_b32 v23, v36, v19
	s_wait_dscnt 0x0
	v_min_i64 v[18:19], v[22:23], v[18:19]
	ds_bpermute_b32 v22, v37, v18
	ds_bpermute_b32 v23, v37, v19
	s_wait_dscnt 0x0
	v_min_i64 v[18:19], v[22:23], v[18:19]
	ds_bpermute_b32 v18, v34, v18
	ds_bpermute_b32 v19, v34, v19
	s_cbranch_vccnz .LBB51_33
; %bb.16:                               ;   in Loop: Header=BB51_7 Depth=1
	s_mul_u64 s[8:9], s[26:27], s[10:11]
	v_add_nc_u32_e32 v6, s18, v20
	s_lshl_b64 s[8:9], s[8:9], 2
	s_delay_alu instid0(SALU_CYCLE_1) | instskip(SKIP_2) | instid1(SALU_CYCLE_1)
	v_add_nc_u64_e32 v[24:25], s[8:9], v[8:9]
	v_add_nc_u64_e32 v[22:23], s[8:9], v[10:11]
	s_lshl_b64 s[8:9], s[10:11], 2
	s_add_nc_u64 s[8:9], s[20:21], s[8:9]
	global_store_b32 v7, v6, s[8:9]
	s_wait_xcnt 0x0
	s_and_saveexec_b32 s8, s28
	s_cbranch_execz .LBB51_20
; %bb.17:                               ;   in Loop: Header=BB51_7 Depth=1
	ds_load_b32 v6, v38
	s_and_b32 vcc_lo, exec_lo, s15
	s_cbranch_vccz .LBB51_49
; %bb.18:                               ;   in Loop: Header=BB51_7 Depth=1
	v_lshl_add_u64 v[20:21], v[12:13], 2, v[24:25]
	s_wait_dscnt 0x0
	global_store_b32 v[20:21], v6, off
	s_cbranch_execnz .LBB51_20
.LBB51_19:                              ;   in Loop: Header=BB51_7 Depth=1
	s_wait_dscnt 0x0
	global_store_b32 v[22:23], v6, off
.LBB51_20:                              ;   in Loop: Header=BB51_7 Depth=1
	s_wait_xcnt 0x0
	s_or_b32 exec_lo, exec_lo, s8
	s_and_saveexec_b32 s8, s29
	s_cbranch_execz .LBB51_24
; %bb.21:                               ;   in Loop: Header=BB51_7 Depth=1
	s_wait_dscnt 0x0
	ds_load_b32 v6, v38 offset:32
	s_and_not1_b32 vcc_lo, exec_lo, s15
	s_cbranch_vccnz .LBB51_50
; %bb.22:                               ;   in Loop: Header=BB51_7 Depth=1
	v_lshl_add_u64 v[20:21], v[0:1], 2, v[24:25]
	s_wait_dscnt 0x0
	global_store_b32 v[20:21], v6, off
	s_cbranch_execnz .LBB51_24
.LBB51_23:                              ;   in Loop: Header=BB51_7 Depth=1
	s_wait_dscnt 0x0
	global_store_b32 v[22:23], v6, off offset:32
.LBB51_24:                              ;   in Loop: Header=BB51_7 Depth=1
	s_wait_xcnt 0x0
	s_or_b32 exec_lo, exec_lo, s8
	s_and_saveexec_b32 s8, s30
	s_cbranch_execz .LBB51_28
; %bb.25:                               ;   in Loop: Header=BB51_7 Depth=1
	s_wait_dscnt 0x0
	ds_load_b32 v6, v38 offset:64
	s_and_not1_b32 vcc_lo, exec_lo, s15
	s_cbranch_vccnz .LBB51_51
; %bb.26:                               ;   in Loop: Header=BB51_7 Depth=1
	v_lshl_add_u64 v[20:21], v[14:15], 2, v[24:25]
	s_wait_dscnt 0x0
	global_store_b32 v[20:21], v6, off
	s_cbranch_execnz .LBB51_28
.LBB51_27:                              ;   in Loop: Header=BB51_7 Depth=1
	s_wait_dscnt 0x0
	global_store_b32 v[22:23], v6, off offset:64
.LBB51_28:                              ;   in Loop: Header=BB51_7 Depth=1
	s_wait_xcnt 0x0
	s_or_b32 exec_lo, exec_lo, s8
	s_and_saveexec_b32 s8, s31
	s_cbranch_execz .LBB51_32
; %bb.29:                               ;   in Loop: Header=BB51_7 Depth=1
	s_wait_dscnt 0x0
	ds_load_b32 v6, v38 offset:96
	s_and_not1_b32 vcc_lo, exec_lo, s15
	s_cbranch_vccnz .LBB51_52
; %bb.30:                               ;   in Loop: Header=BB51_7 Depth=1
	v_lshl_add_u64 v[20:21], v[16:17], 2, v[24:25]
	s_wait_dscnt 0x0
	global_store_b32 v[20:21], v6, off
	s_cbranch_execnz .LBB51_32
.LBB51_31:                              ;   in Loop: Header=BB51_7 Depth=1
	s_wait_dscnt 0x0
	global_store_b32 v[22:23], v6, off offset:96
.LBB51_32:                              ;   in Loop: Header=BB51_7 Depth=1
	s_wait_xcnt 0x0
	s_or_b32 exec_lo, exec_lo, s8
	s_mov_b64 s[8:9], 1
.LBB51_33:                              ;   in Loop: Header=BB51_7 Depth=1
	s_wait_storecnt_dscnt 0x0
	s_barrier_signal -1
	s_barrier_wait -1
	ds_store_b32 v33, v40
	s_wait_dscnt 0x0
	s_barrier_signal -1
	s_barrier_wait -1
	s_and_saveexec_b32 s34, s0
	s_cbranch_execz .LBB51_35
; %bb.34:                               ;   in Loop: Header=BB51_7 Depth=1
	ds_load_2addr_stride64_b32 v[20:21], v33 offset1:2
	s_wait_dscnt 0x0
	v_min_i32_e32 v6, v21, v20
	ds_store_b32 v33, v6
.LBB51_35:                              ;   in Loop: Header=BB51_7 Depth=1
	s_or_b32 exec_lo, exec_lo, s34
	s_wait_dscnt 0x0
	s_barrier_signal -1
	s_barrier_wait -1
	s_and_saveexec_b32 s34, s1
	s_cbranch_execz .LBB51_37
; %bb.36:                               ;   in Loop: Header=BB51_7 Depth=1
	ds_load_2addr_stride64_b32 v[20:21], v33 offset1:1
	s_wait_dscnt 0x0
	v_min_i32_e32 v6, v21, v20
	ds_store_b32 v33, v6
.LBB51_37:                              ;   in Loop: Header=BB51_7 Depth=1
	s_or_b32 exec_lo, exec_lo, s34
	s_wait_dscnt 0x0
	s_barrier_signal -1
	s_barrier_wait -1
	s_and_saveexec_b32 s34, s2
	s_cbranch_execz .LBB51_39
; %bb.38:                               ;   in Loop: Header=BB51_7 Depth=1
	ds_load_2addr_b32 v[20:21], v33 offset1:32
	s_wait_dscnt 0x0
	v_min_i32_e32 v6, v21, v20
	ds_store_b32 v33, v6
.LBB51_39:                              ;   in Loop: Header=BB51_7 Depth=1
	s_or_b32 exec_lo, exec_lo, s34
	s_wait_dscnt 0x0
	s_barrier_signal -1
	s_barrier_wait -1
	s_and_saveexec_b32 s34, s3
	s_cbranch_execz .LBB51_41
; %bb.40:                               ;   in Loop: Header=BB51_7 Depth=1
	ds_load_2addr_b32 v[20:21], v33 offset1:16
	s_wait_dscnt 0x0
	v_min_i32_e32 v6, v21, v20
	ds_store_b32 v33, v6
.LBB51_41:                              ;   in Loop: Header=BB51_7 Depth=1
	;; [unrolled: 12-line block ×5, first 2 shown]
	s_or_b32 exec_lo, exec_lo, s34
	s_wait_dscnt 0x0
	s_barrier_signal -1
	s_barrier_wait -1
	s_and_saveexec_b32 s34, s7
	s_cbranch_execz .LBB51_6
; %bb.48:                               ;   in Loop: Header=BB51_7 Depth=1
	ds_load_b64 v[20:21], v7
	s_wait_dscnt 0x0
	v_min_i32_e32 v6, v21, v20
	ds_store_b32 v7, v6
	s_branch .LBB51_6
.LBB51_49:                              ;   in Loop: Header=BB51_7 Depth=1
	s_branch .LBB51_19
.LBB51_50:                              ;   in Loop: Header=BB51_7 Depth=1
	s_branch .LBB51_23
.LBB51_51:                              ;   in Loop: Header=BB51_7 Depth=1
	s_branch .LBB51_27
.LBB51_52:                              ;   in Loop: Header=BB51_7 Depth=1
	s_branch .LBB51_31
.LBB51_53:
	s_endpgm
	.section	.rodata,"a",@progbits
	.p2align	6, 0x0
	.amdhsa_kernel _ZN9rocsparseL38csr2bsr_block_per_row_multipass_kernelILj256ELj32EfliEEv20rocsparse_direction_T3_S2_S2_S2_S2_21rocsparse_index_base_PKT1_PKT2_PKS2_S3_PS4_PS7_PS2_
		.amdhsa_group_segment_fixed_size 4100
		.amdhsa_private_segment_fixed_size 0
		.amdhsa_kernarg_size 88
		.amdhsa_user_sgpr_count 2
		.amdhsa_user_sgpr_dispatch_ptr 0
		.amdhsa_user_sgpr_queue_ptr 0
		.amdhsa_user_sgpr_kernarg_segment_ptr 1
		.amdhsa_user_sgpr_dispatch_id 0
		.amdhsa_user_sgpr_kernarg_preload_length 0
		.amdhsa_user_sgpr_kernarg_preload_offset 0
		.amdhsa_user_sgpr_private_segment_size 0
		.amdhsa_wavefront_size32 1
		.amdhsa_uses_dynamic_stack 0
		.amdhsa_enable_private_segment 0
		.amdhsa_system_sgpr_workgroup_id_x 1
		.amdhsa_system_sgpr_workgroup_id_y 0
		.amdhsa_system_sgpr_workgroup_id_z 0
		.amdhsa_system_sgpr_workgroup_info 0
		.amdhsa_system_vgpr_workitem_id 0
		.amdhsa_next_free_vgpr 42
		.amdhsa_next_free_sgpr 36
		.amdhsa_named_barrier_count 0
		.amdhsa_reserve_vcc 1
		.amdhsa_float_round_mode_32 0
		.amdhsa_float_round_mode_16_64 0
		.amdhsa_float_denorm_mode_32 3
		.amdhsa_float_denorm_mode_16_64 3
		.amdhsa_fp16_overflow 0
		.amdhsa_memory_ordered 1
		.amdhsa_forward_progress 1
		.amdhsa_inst_pref_size 17
		.amdhsa_round_robin_scheduling 0
		.amdhsa_exception_fp_ieee_invalid_op 0
		.amdhsa_exception_fp_denorm_src 0
		.amdhsa_exception_fp_ieee_div_zero 0
		.amdhsa_exception_fp_ieee_overflow 0
		.amdhsa_exception_fp_ieee_underflow 0
		.amdhsa_exception_fp_ieee_inexact 0
		.amdhsa_exception_int_div_zero 0
	.end_amdhsa_kernel
	.section	.text._ZN9rocsparseL38csr2bsr_block_per_row_multipass_kernelILj256ELj32EfliEEv20rocsparse_direction_T3_S2_S2_S2_S2_21rocsparse_index_base_PKT1_PKT2_PKS2_S3_PS4_PS7_PS2_,"axG",@progbits,_ZN9rocsparseL38csr2bsr_block_per_row_multipass_kernelILj256ELj32EfliEEv20rocsparse_direction_T3_S2_S2_S2_S2_21rocsparse_index_base_PKT1_PKT2_PKS2_S3_PS4_PS7_PS2_,comdat
.Lfunc_end51:
	.size	_ZN9rocsparseL38csr2bsr_block_per_row_multipass_kernelILj256ELj32EfliEEv20rocsparse_direction_T3_S2_S2_S2_S2_21rocsparse_index_base_PKT1_PKT2_PKS2_S3_PS4_PS7_PS2_, .Lfunc_end51-_ZN9rocsparseL38csr2bsr_block_per_row_multipass_kernelILj256ELj32EfliEEv20rocsparse_direction_T3_S2_S2_S2_S2_21rocsparse_index_base_PKT1_PKT2_PKS2_S3_PS4_PS7_PS2_
                                        ; -- End function
	.set _ZN9rocsparseL38csr2bsr_block_per_row_multipass_kernelILj256ELj32EfliEEv20rocsparse_direction_T3_S2_S2_S2_S2_21rocsparse_index_base_PKT1_PKT2_PKS2_S3_PS4_PS7_PS2_.num_vgpr, 42
	.set _ZN9rocsparseL38csr2bsr_block_per_row_multipass_kernelILj256ELj32EfliEEv20rocsparse_direction_T3_S2_S2_S2_S2_21rocsparse_index_base_PKT1_PKT2_PKS2_S3_PS4_PS7_PS2_.num_agpr, 0
	.set _ZN9rocsparseL38csr2bsr_block_per_row_multipass_kernelILj256ELj32EfliEEv20rocsparse_direction_T3_S2_S2_S2_S2_21rocsparse_index_base_PKT1_PKT2_PKS2_S3_PS4_PS7_PS2_.numbered_sgpr, 36
	.set _ZN9rocsparseL38csr2bsr_block_per_row_multipass_kernelILj256ELj32EfliEEv20rocsparse_direction_T3_S2_S2_S2_S2_21rocsparse_index_base_PKT1_PKT2_PKS2_S3_PS4_PS7_PS2_.num_named_barrier, 0
	.set _ZN9rocsparseL38csr2bsr_block_per_row_multipass_kernelILj256ELj32EfliEEv20rocsparse_direction_T3_S2_S2_S2_S2_21rocsparse_index_base_PKT1_PKT2_PKS2_S3_PS4_PS7_PS2_.private_seg_size, 0
	.set _ZN9rocsparseL38csr2bsr_block_per_row_multipass_kernelILj256ELj32EfliEEv20rocsparse_direction_T3_S2_S2_S2_S2_21rocsparse_index_base_PKT1_PKT2_PKS2_S3_PS4_PS7_PS2_.uses_vcc, 1
	.set _ZN9rocsparseL38csr2bsr_block_per_row_multipass_kernelILj256ELj32EfliEEv20rocsparse_direction_T3_S2_S2_S2_S2_21rocsparse_index_base_PKT1_PKT2_PKS2_S3_PS4_PS7_PS2_.uses_flat_scratch, 0
	.set _ZN9rocsparseL38csr2bsr_block_per_row_multipass_kernelILj256ELj32EfliEEv20rocsparse_direction_T3_S2_S2_S2_S2_21rocsparse_index_base_PKT1_PKT2_PKS2_S3_PS4_PS7_PS2_.has_dyn_sized_stack, 0
	.set _ZN9rocsparseL38csr2bsr_block_per_row_multipass_kernelILj256ELj32EfliEEv20rocsparse_direction_T3_S2_S2_S2_S2_21rocsparse_index_base_PKT1_PKT2_PKS2_S3_PS4_PS7_PS2_.has_recursion, 0
	.set _ZN9rocsparseL38csr2bsr_block_per_row_multipass_kernelILj256ELj32EfliEEv20rocsparse_direction_T3_S2_S2_S2_S2_21rocsparse_index_base_PKT1_PKT2_PKS2_S3_PS4_PS7_PS2_.has_indirect_call, 0
	.section	.AMDGPU.csdata,"",@progbits
; Kernel info:
; codeLenInByte = 2164
; TotalNumSgprs: 38
; NumVgprs: 42
; ScratchSize: 0
; MemoryBound: 0
; FloatMode: 240
; IeeeMode: 1
; LDSByteSize: 4100 bytes/workgroup (compile time only)
; SGPRBlocks: 0
; VGPRBlocks: 2
; NumSGPRsForWavesPerEU: 38
; NumVGPRsForWavesPerEU: 42
; NamedBarCnt: 0
; Occupancy: 16
; WaveLimiterHint : 0
; COMPUTE_PGM_RSRC2:SCRATCH_EN: 0
; COMPUTE_PGM_RSRC2:USER_SGPR: 2
; COMPUTE_PGM_RSRC2:TRAP_HANDLER: 0
; COMPUTE_PGM_RSRC2:TGID_X_EN: 1
; COMPUTE_PGM_RSRC2:TGID_Y_EN: 0
; COMPUTE_PGM_RSRC2:TGID_Z_EN: 0
; COMPUTE_PGM_RSRC2:TIDIG_COMP_CNT: 0
	.section	.text._ZN9rocsparseL38csr2bsr_block_per_row_multipass_kernelILj256ELj64EfliEEv20rocsparse_direction_T3_S2_S2_S2_S2_21rocsparse_index_base_PKT1_PKT2_PKS2_S3_PS4_PS7_PS2_,"axG",@progbits,_ZN9rocsparseL38csr2bsr_block_per_row_multipass_kernelILj256ELj64EfliEEv20rocsparse_direction_T3_S2_S2_S2_S2_21rocsparse_index_base_PKT1_PKT2_PKS2_S3_PS4_PS7_PS2_,comdat
	.globl	_ZN9rocsparseL38csr2bsr_block_per_row_multipass_kernelILj256ELj64EfliEEv20rocsparse_direction_T3_S2_S2_S2_S2_21rocsparse_index_base_PKT1_PKT2_PKS2_S3_PS4_PS7_PS2_ ; -- Begin function _ZN9rocsparseL38csr2bsr_block_per_row_multipass_kernelILj256ELj64EfliEEv20rocsparse_direction_T3_S2_S2_S2_S2_21rocsparse_index_base_PKT1_PKT2_PKS2_S3_PS4_PS7_PS2_
	.p2align	8
	.type	_ZN9rocsparseL38csr2bsr_block_per_row_multipass_kernelILj256ELj64EfliEEv20rocsparse_direction_T3_S2_S2_S2_S2_21rocsparse_index_base_PKT1_PKT2_PKS2_S3_PS4_PS7_PS2_,@function
_ZN9rocsparseL38csr2bsr_block_per_row_multipass_kernelILj256ELj64EfliEEv20rocsparse_direction_T3_S2_S2_S2_S2_21rocsparse_index_base_PKT1_PKT2_PKS2_S3_PS4_PS7_PS2_: ; @_ZN9rocsparseL38csr2bsr_block_per_row_multipass_kernelILj256ELj64EfliEEv20rocsparse_direction_T3_S2_S2_S2_S2_21rocsparse_index_base_PKT1_PKT2_PKS2_S3_PS4_PS7_PS2_
; %bb.0:
	s_clause 0x1
	s_load_b96 s[16:18], s[0:1], 0x10
	s_load_b64 s[6:7], s[0:1], 0x0
	s_bfe_u32 s2, ttmp6, 0x4000c
	s_and_b32 s3, ttmp6, 15
	s_add_co_i32 s2, s2, 1
	s_getreg_b32 s4, hwreg(HW_REG_IB_STS2, 6, 4)
	s_mul_i32 s2, ttmp9, s2
	v_lshrrev_b32_e32 v1, 2, v0
	s_add_co_i32 s3, s3, s2
	s_cmp_eq_u32 s4, 0
	s_load_b64 s[4:5], s[0:1], 0x28
	s_cselect_b32 s8, ttmp9, s3
	v_mov_b64_e32 v[2:3], 0
	v_mov_b64_e32 v[20:21], 0
	s_mov_b32 s3, 0
	s_wait_kmcnt 0x0
	v_mad_u32 v4, s17, s8, v1
	v_cmp_gt_i32_e32 vcc_lo, s17, v1
	s_delay_alu instid0(VALU_DEP_2) | instskip(SKIP_1) | instid1(SALU_CYCLE_1)
	v_cmp_gt_i32_e64 s2, s7, v4
	s_and_b32 s7, vcc_lo, s2
	s_and_saveexec_b32 s9, s7
	s_cbranch_execnz .LBB52_3
; %bb.1:
	s_or_b32 exec_lo, exec_lo, s9
	s_and_saveexec_b32 s2, s7
	s_cbranch_execnz .LBB52_4
.LBB52_2:
	s_or_b32 exec_lo, exec_lo, s2
	s_cmp_lt_i32 s16, 1
	s_cbranch_scc0 .LBB52_5
	s_branch .LBB52_113
.LBB52_3:
	global_load_b64 v[6:7], v4, s[4:5] scale_offset
	s_mov_b32 s2, s18
	s_wait_loadcnt 0x0
	v_sub_nc_u64_e64 v[20:21], v[6:7], s[2:3]
	s_or_b32 exec_lo, exec_lo, s9
	s_and_saveexec_b32 s2, s7
	s_cbranch_execz .LBB52_2
.LBB52_4:
	global_load_b64 v[2:3], v4, s[4:5] offset:8 scale_offset
	s_wait_xcnt 0x0
	s_mov_b32 s5, 0
	s_mov_b32 s4, s18
	s_wait_loadcnt 0x0
	v_sub_nc_u64_e64 v[2:3], v[2:3], s[4:5]
	s_or_b32 exec_lo, exec_lo, s2
	s_cmp_lt_i32 s16, 1
	s_cbranch_scc1 .LBB52_113
.LBB52_5:
	s_clause 0x3
	s_load_b128 s[12:15], s[0:1], 0x40
	s_load_b64 s[10:11], s[0:1], 0x50
	s_load_b64 s[24:25], s[0:1], 0x20
	s_load_b96 s[20:22], s[0:1], 0x30
	v_dual_lshlrev_b32 v56, 8, v1 :: v_dual_bitop2_b32 v4, 3, v0 bitop3:0x40
	v_mbcnt_lo_u32_b32 v10, -1, 0
	s_ashr_i32 s9, s8, 31
	v_dual_mov_b32 v7, 0 :: v_dual_lshlrev_b32 v6, 2, v1
	s_lshl_b64 s[8:9], s[8:9], 3
	s_delay_alu instid0(VALU_DEP_2) | instskip(SKIP_1) | instid1(VALU_DEP_2)
	v_dual_lshlrev_b32 v44, 2, v4 :: v_dual_bitop2_b32 v11, 2, v10 bitop3:0x14
	s_cmp_lg_u32 s6, 0
	v_dual_mov_b32 v45, v7 :: v_dual_bitop2_b32 v12, 1, v10 bitop3:0x14
	v_lshl_or_b32 v58, v10, 2, 12
	s_delay_alu instid0(VALU_DEP_3)
	v_cmp_gt_i32_e64 s6, 32, v11
	s_mov_b32 s27, 0
	v_dual_lshlrev_b32 v57, 2, v0 :: v_dual_mov_b32 v5, v7
	s_wait_kmcnt 0x0
	s_add_nc_u64 s[8:9], s[14:15], s[8:9]
	v_add_nc_u64_e32 v[8:9], s[12:13], v[6:7]
	s_load_b64 s[14:15], s[8:9], 0x0
	v_mul_lo_u32 v6, s17, v1
	v_cndmask_b32_e64 v1, v10, v11, s6
	v_cmp_gt_i32_e64 s6, 32, v12
	s_mov_b32 s26, s22
	v_cmp_gt_u32_e64 s0, 0x80, v0
	v_cmp_gt_u32_e64 s1, 64, v0
	;; [unrolled: 1-line block ×3, first 2 shown]
	v_cndmask_b32_e64 v11, v10, v12, s6
	v_mul_lo_u32 v10, v4, s17
	v_cmp_gt_u32_e64 s3, 16, v0
	v_cmp_gt_u32_e64 s4, 8, v0
	;; [unrolled: 1-line block ×3, first 2 shown]
	s_wait_xcnt 0x0
	v_cmp_gt_u32_e64 s8, s17, v4
	v_dual_lshlrev_b32 v59, 2, v1 :: v_dual_lshlrev_b32 v60, 2, v11
	v_dual_mov_b32 v11, v7 :: v_dual_bitop2_b32 v1, 4, v4 bitop3:0x54
	v_cmp_gt_u32_e64 s6, 2, v0
	v_cmp_eq_u32_e64 s7, 0, v0
	v_or_b32_e32 v0, 8, v4
	v_lshl_add_u64 v[12:13], v[6:7], 2, s[12:13]
	s_wait_kmcnt 0x0
	s_sub_nc_u64 s[12:13], s[14:15], s[26:27]
	s_mov_b32 s26, s17
	s_cselect_b32 s19, -1, 0
	s_mul_u64 s[14:15], s[26:27], s[26:27]
	s_lshl_b32 s26, s17, 2
	s_and_b32 s23, vcc_lo, s8
	v_cmp_gt_u32_e64 s8, s17, v1
	v_dual_mov_b32 v1, v7 :: v_dual_bitop2_b32 v6, 12, v4 bitop3:0x54
	v_cmp_gt_u32_e64 s9, s17, v0
	v_add_nc_u32_e32 v0, s26, v10
	s_and_b32 s28, vcc_lo, s8
	v_cmp_gt_u32_e64 s8, s17, v6
	v_dual_mov_b32 v15, v7 :: v_dual_bitop2_b32 v6, 16, v4 bitop3:0x54
	s_delay_alu instid0(VALU_DEP_3) | instskip(SKIP_3) | instid1(VALU_DEP_2)
	v_dual_mov_b32 v17, v7 :: v_dual_add_nc_u32 v14, s26, v0
	v_or_b32_e32 v18, 20, v4
	s_and_b32 s29, vcc_lo, s9
	s_and_b32 s30, vcc_lo, s8
	v_add_nc_u32_e32 v16, s26, v14
	v_cmp_gt_u32_e64 s8, s17, v6
	v_cmp_gt_u32_e64 s9, s17, v18
	v_dual_mov_b32 v19, v7 :: v_dual_bitop2_b32 v6, 24, v4 bitop3:0x54
	s_delay_alu instid0(VALU_DEP_4) | instskip(SKIP_1) | instid1(VALU_DEP_2)
	v_dual_mov_b32 v23, v7 :: v_dual_add_nc_u32 v18, s26, v16
	s_and_b32 s31, vcc_lo, s8
	v_cmp_gt_u32_e64 s8, s17, v6
	s_delay_alu instid0(VALU_DEP_2) | instskip(SKIP_3) | instid1(VALU_DEP_2)
	v_dual_add_nc_u32 v22, s26, v18 :: v_dual_bitop2_b32 v6, 28, v4 bitop3:0x54
	v_or_b32_e32 v26, 32, v4
	s_and_b32 s33, vcc_lo, s9
	s_and_b32 s34, vcc_lo, s8
	v_cmp_gt_u32_e64 s8, s17, v6
	v_dual_mov_b32 v25, v7 :: v_dual_add_nc_u32 v24, s26, v22
	v_or_b32_e32 v6, 36, v4
	v_cmp_gt_u32_e64 s9, s17, v26
	s_and_b32 s35, vcc_lo, s8
	v_dual_mov_b32 v27, v7 :: v_dual_add_nc_u32 v26, s26, v24
	v_cmp_gt_u32_e64 s8, s17, v6
	v_dual_mov_b32 v29, v7 :: v_dual_bitop2_b32 v6, 40, v4 bitop3:0x54
	s_delay_alu instid0(VALU_DEP_3) | instskip(SKIP_1) | instid1(VALU_DEP_2)
	v_dual_add_nc_u32 v28, s26, v26 :: v_dual_bitop2_b32 v32, 44, v4 bitop3:0x54
	s_and_b32 s37, vcc_lo, s8
	v_cmp_gt_u32_e64 s8, s17, v6
	v_mov_b32_e32 v31, v7
	s_and_b32 s36, vcc_lo, s9
	v_add_nc_u32_e32 v30, s26, v28
	v_or_b32_e32 v6, 48, v4
	v_cmp_gt_u32_e64 s9, s17, v32
	s_abs_i32 s40, s17
	s_and_b32 s38, vcc_lo, s8
	v_dual_mov_b32 v33, v7 :: v_dual_add_nc_u32 v32, s26, v30
	v_cmp_gt_u32_e64 s8, s17, v6
	v_or_b32_e32 v6, 52, v4
	s_and_b32 s39, vcc_lo, s9
	v_dual_mov_b32 v35, v7 :: v_dual_add_nc_u32 v34, s26, v32
	s_cvt_f32_u32 s9, s40
	s_and_b32 s41, vcc_lo, s8
	v_cmp_gt_u32_e64 s8, s17, v6
	s_delay_alu instid0(VALU_DEP_2) | instskip(SKIP_2) | instid1(VALU_DEP_2)
	v_dual_mov_b32 v37, v7 :: v_dual_add_nc_u32 v36, s26, v34
	v_rcp_iflag_f32_e32 v6, s9
	v_dual_mov_b32 v41, v7 :: v_dual_bitop2_b32 v40, 60, v4 bitop3:0x54
	v_add_nc_u32_e32 v38, s26, v36
	v_or_b32_e32 v39, 56, v4
	s_and_b32 s42, vcc_lo, s8
	s_delay_alu instid0(VALU_DEP_3) | instskip(NEXT) | instid1(TRANS32_DEP_1)
	v_cmp_gt_u32_e64 s9, s17, v40
	v_readfirstlane_b32 s43, v6
	v_add_nc_u32_e32 v40, s26, v38
	v_cmp_gt_u32_e64 s8, s17, v39
	v_add_nc_u64_e32 v[12:13], v[12:13], v[44:45]
	s_and_b32 s44, vcc_lo, s9
	s_mul_f32 s45, s43, 0x4f7ffffe
	s_sub_co_i32 s9, 0, s40
	s_and_b32 s43, vcc_lo, s8
	v_mov_b64_e32 v[48:49], 0
	s_cvt_u32_f32 s8, s45
	v_dual_mov_b32 v39, v7 :: v_dual_add_nc_u32 v42, s26, v40
	v_mov_b32_e32 v43, v7
	s_delay_alu instid0(SALU_CYCLE_1)
	s_mul_i32 s9, s9, s8
	v_dual_mov_b32 v62, 1 :: v_dual_add_nc_u32 v61, v44, v56
	s_mul_hi_u32 s9, s8, s9
	s_ashr_i32 s45, s17, 31
	s_add_co_i32 s26, s8, s9
	s_branch .LBB52_7
.LBB52_6:                               ;   in Loop: Header=BB52_7 Depth=1
	s_or_b32 exec_lo, exec_lo, s46
	s_wait_dscnt 0x0
	s_barrier_signal -1
	s_barrier_wait -1
	ds_load_b32 v48, v7
	s_add_nc_u64 s[12:13], s[8:9], s[12:13]
	s_wait_dscnt 0x0
	s_barrier_signal -1
	s_barrier_wait -1
	v_cmp_gt_i32_e32 vcc_lo, s16, v48
	v_ashrrev_i32_e32 v49, 31, v48
	s_cbranch_vccz .LBB52_113
.LBB52_7:                               ; =>This Loop Header: Depth=1
                                        ;     Child Loop BB52_10 Depth 2
	v_add_nc_u64_e32 v[20:21], v[20:21], v[4:5]
	v_mov_b64_e32 v[50:51], v[2:3]
	v_mov_b32_e32 v63, s16
	s_mov_b32 s9, exec_lo
	ds_store_b8 v7, v7 offset:16384
	ds_store_2addr_b32 v61, v7, v7 offset1:4
	ds_store_2addr_b32 v61, v7, v7 offset0:8 offset1:12
	ds_store_2addr_b32 v61, v7, v7 offset0:16 offset1:20
	;; [unrolled: 1-line block ×7, first 2 shown]
	s_wait_dscnt 0x0
	s_barrier_signal -1
	s_barrier_wait -1
	v_cmpx_lt_i64_e64 v[20:21], v[2:3]
	s_cbranch_execz .LBB52_15
; %bb.8:                                ;   in Loop: Header=BB52_7 Depth=1
	v_lshlrev_b64_e32 v[46:47], 2, v[20:21]
	v_mov_b64_e32 v[50:51], v[2:3]
	v_mov_b32_e32 v63, s16
	s_mov_b32 s46, 0
	s_delay_alu instid0(VALU_DEP_3)
	v_add_nc_u64_e32 v[44:45], s[24:25], v[46:47]
	v_add_nc_u64_e32 v[46:47], s[20:21], v[46:47]
	s_branch .LBB52_10
.LBB52_9:                               ;   in Loop: Header=BB52_10 Depth=2
	s_wait_xcnt 0x0
	s_or_b32 exec_lo, exec_lo, s8
	v_add_nc_u64_e32 v[20:21], 4, v[20:21]
	s_xor_b32 s47, vcc_lo, -1
	v_add_nc_u64_e32 v[44:45], 16, v[44:45]
	v_add_nc_u64_e32 v[46:47], 16, v[46:47]
	s_delay_alu instid0(VALU_DEP_3) | instskip(SKIP_1) | instid1(SALU_CYCLE_1)
	v_cmp_ge_i64_e64 s8, v[20:21], v[2:3]
	s_or_b32 s8, s47, s8
	s_and_b32 s8, exec_lo, s8
	s_delay_alu instid0(SALU_CYCLE_1) | instskip(NEXT) | instid1(SALU_CYCLE_1)
	s_or_b32 s46, s8, s46
	s_and_not1_b32 exec_lo, exec_lo, s46
	s_cbranch_execz .LBB52_14
.LBB52_10:                              ;   Parent Loop BB52_7 Depth=1
                                        ; =>  This Inner Loop Header: Depth=2
	global_load_b32 v6, v[46:47], off
	s_wait_loadcnt 0x0
	v_subrev_nc_u32_e32 v64, s18, v6
	s_delay_alu instid0(VALU_DEP_1) | instskip(NEXT) | instid1(VALU_DEP_1)
	v_sub_nc_u32_e32 v6, 0, v64
	v_max_i32_e32 v6, v64, v6
	s_delay_alu instid0(VALU_DEP_1) | instskip(NEXT) | instid1(VALU_DEP_1)
	v_mul_u64_e32 v[52:53], s[26:27], v[6:7]
	v_mul_lo_u32 v52, v53, s40
	s_delay_alu instid0(VALU_DEP_1) | instskip(NEXT) | instid1(VALU_DEP_1)
	v_dual_sub_nc_u32 v6, v6, v52 :: v_dual_add_nc_u32 v52, 1, v53
	v_subrev_nc_u32_e32 v54, s40, v6
	v_cmp_le_u32_e32 vcc_lo, s40, v6
	s_delay_alu instid0(VALU_DEP_3) | instskip(NEXT) | instid1(VALU_DEP_3)
	v_cndmask_b32_e32 v52, v53, v52, vcc_lo
	v_dual_cndmask_b32 v6, v6, v54 :: v_dual_ashrrev_i32 v53, 31, v64
	s_delay_alu instid0(VALU_DEP_2) | instskip(NEXT) | instid1(VALU_DEP_2)
	v_add_nc_u32_e32 v54, 1, v52
	v_cmp_le_u32_e32 vcc_lo, s40, v6
	s_delay_alu instid0(VALU_DEP_2) | instskip(SKIP_1) | instid1(VALU_DEP_2)
	v_dual_cndmask_b32 v6, v52, v54, vcc_lo :: v_dual_bitop2_b32 v53, s45, v53 bitop3:0x14
	v_mov_b64_e32 v[54:55], v[50:51]
	v_xor_b32_e32 v6, v6, v53
	s_delay_alu instid0(VALU_DEP_1) | instskip(NEXT) | instid1(VALU_DEP_1)
	v_sub_nc_u32_e32 v52, v6, v53
	v_ashrrev_i32_e32 v53, 31, v52
	s_delay_alu instid0(VALU_DEP_1) | instskip(SKIP_3) | instid1(SALU_CYCLE_1)
	v_cmp_ne_u64_e64 s8, v[48:49], v[52:53]
	v_cmp_eq_u64_e32 vcc_lo, v[48:49], v[52:53]
	s_wait_xcnt 0x0
	s_and_saveexec_b32 s47, s8
	s_xor_b32 s8, exec_lo, s47
; %bb.11:                               ;   in Loop: Header=BB52_10 Depth=2
	v_min_i32_e32 v63, v52, v63
                                        ; implicit-def: $vgpr52
                                        ; implicit-def: $vgpr64
                                        ; implicit-def: $vgpr54_vgpr55
; %bb.12:                               ;   in Loop: Header=BB52_10 Depth=2
	s_or_saveexec_b32 s8, s8
	v_mov_b64_e32 v[50:51], v[20:21]
	s_xor_b32 exec_lo, exec_lo, s8
	s_cbranch_execz .LBB52_9
; %bb.13:                               ;   in Loop: Header=BB52_10 Depth=2
	global_load_b32 v6, v[44:45], off
	v_mul_lo_u32 v50, v52, s17
	s_delay_alu instid0(VALU_DEP_1) | instskip(NEXT) | instid1(VALU_DEP_1)
	v_sub_nc_u32_e32 v50, v64, v50
	v_lshl_add_u32 v52, v50, 2, v56
	v_mov_b64_e32 v[50:51], v[54:55]
	ds_store_b8 v7, v62 offset:16384
	s_wait_loadcnt 0x0
	ds_store_b32 v52, v6
	s_branch .LBB52_9
.LBB52_14:                              ;   in Loop: Header=BB52_7 Depth=1
	s_or_b32 exec_lo, exec_lo, s46
.LBB52_15:                              ;   in Loop: Header=BB52_7 Depth=1
	s_delay_alu instid0(SALU_CYCLE_1)
	s_or_b32 exec_lo, exec_lo, s9
	ds_bpermute_b32 v20, v59, v50
	ds_bpermute_b32 v21, v59, v51
	s_wait_dscnt 0x0
	s_barrier_signal -1
	s_barrier_wait -1
	ds_load_u8 v6, v7 offset:16384
	s_mov_b64 s[8:9], 0
	v_min_i64 v[20:21], v[20:21], v[50:51]
	s_wait_dscnt 0x0
	v_and_b32_e32 v6, 1, v6
	s_delay_alu instid0(VALU_DEP_1)
	v_cmp_eq_u32_e32 vcc_lo, 0, v6
	s_and_b32 vcc_lo, exec_lo, vcc_lo
	ds_bpermute_b32 v44, v60, v20
	ds_bpermute_b32 v45, v60, v21
	s_wait_dscnt 0x0
	v_min_i64 v[20:21], v[44:45], v[20:21]
	ds_bpermute_b32 v20, v58, v20
	ds_bpermute_b32 v21, v58, v21
	s_cbranch_vccnz .LBB52_81
; %bb.16:                               ;   in Loop: Header=BB52_7 Depth=1
	s_mul_u64 s[8:9], s[14:15], s[12:13]
	v_add_nc_u32_e32 v6, s22, v48
	s_lshl_b64 s[8:9], s[8:9], 2
	s_delay_alu instid0(SALU_CYCLE_1) | instskip(SKIP_2) | instid1(SALU_CYCLE_1)
	v_add_nc_u64_e32 v[46:47], s[8:9], v[8:9]
	v_add_nc_u64_e32 v[44:45], s[8:9], v[12:13]
	s_lshl_b64 s[8:9], s[12:13], 2
	s_add_nc_u64 s[8:9], s[10:11], s[8:9]
	global_store_b32 v7, v6, s[8:9]
	s_wait_xcnt 0x0
	s_and_saveexec_b32 s8, s23
	s_cbranch_execz .LBB52_20
; %bb.17:                               ;   in Loop: Header=BB52_7 Depth=1
	ds_load_b32 v6, v61
	s_and_b32 vcc_lo, exec_lo, s19
	s_cbranch_vccz .LBB52_97
; %bb.18:                               ;   in Loop: Header=BB52_7 Depth=1
	v_lshl_add_u64 v[48:49], v[10:11], 2, v[46:47]
	s_wait_dscnt 0x0
	global_store_b32 v[48:49], v6, off
	s_cbranch_execnz .LBB52_20
.LBB52_19:                              ;   in Loop: Header=BB52_7 Depth=1
	s_wait_dscnt 0x0
	global_store_b32 v[44:45], v6, off
.LBB52_20:                              ;   in Loop: Header=BB52_7 Depth=1
	s_wait_xcnt 0x0
	s_or_b32 exec_lo, exec_lo, s8
	s_and_saveexec_b32 s8, s28
	s_cbranch_execz .LBB52_24
; %bb.21:                               ;   in Loop: Header=BB52_7 Depth=1
	s_wait_dscnt 0x0
	ds_load_b32 v6, v61 offset:16
	s_and_not1_b32 vcc_lo, exec_lo, s19
	s_cbranch_vccnz .LBB52_98
; %bb.22:                               ;   in Loop: Header=BB52_7 Depth=1
	v_lshl_add_u64 v[48:49], v[0:1], 2, v[46:47]
	s_wait_dscnt 0x0
	global_store_b32 v[48:49], v6, off
	s_cbranch_execnz .LBB52_24
.LBB52_23:                              ;   in Loop: Header=BB52_7 Depth=1
	s_wait_dscnt 0x0
	global_store_b32 v[44:45], v6, off offset:16
.LBB52_24:                              ;   in Loop: Header=BB52_7 Depth=1
	s_wait_xcnt 0x0
	s_or_b32 exec_lo, exec_lo, s8
	s_and_saveexec_b32 s8, s29
	s_cbranch_execz .LBB52_28
; %bb.25:                               ;   in Loop: Header=BB52_7 Depth=1
	s_wait_dscnt 0x0
	ds_load_b32 v6, v61 offset:32
	s_and_not1_b32 vcc_lo, exec_lo, s19
	s_cbranch_vccnz .LBB52_99
; %bb.26:                               ;   in Loop: Header=BB52_7 Depth=1
	v_lshl_add_u64 v[48:49], v[14:15], 2, v[46:47]
	s_wait_dscnt 0x0
	global_store_b32 v[48:49], v6, off
	s_cbranch_execnz .LBB52_28
.LBB52_27:                              ;   in Loop: Header=BB52_7 Depth=1
	s_wait_dscnt 0x0
	global_store_b32 v[44:45], v6, off offset:32
.LBB52_28:                              ;   in Loop: Header=BB52_7 Depth=1
	s_wait_xcnt 0x0
	s_or_b32 exec_lo, exec_lo, s8
	s_and_saveexec_b32 s8, s30
	s_cbranch_execz .LBB52_32
; %bb.29:                               ;   in Loop: Header=BB52_7 Depth=1
	s_wait_dscnt 0x0
	ds_load_b32 v6, v61 offset:48
	s_and_not1_b32 vcc_lo, exec_lo, s19
	s_cbranch_vccnz .LBB52_100
; %bb.30:                               ;   in Loop: Header=BB52_7 Depth=1
	v_lshl_add_u64 v[48:49], v[16:17], 2, v[46:47]
	s_wait_dscnt 0x0
	global_store_b32 v[48:49], v6, off
	s_cbranch_execnz .LBB52_32
.LBB52_31:                              ;   in Loop: Header=BB52_7 Depth=1
	s_wait_dscnt 0x0
	global_store_b32 v[44:45], v6, off offset:48
.LBB52_32:                              ;   in Loop: Header=BB52_7 Depth=1
	s_wait_xcnt 0x0
	s_or_b32 exec_lo, exec_lo, s8
	s_and_saveexec_b32 s8, s31
	s_cbranch_execz .LBB52_36
; %bb.33:                               ;   in Loop: Header=BB52_7 Depth=1
	s_wait_dscnt 0x0
	ds_load_b32 v6, v61 offset:64
	s_and_not1_b32 vcc_lo, exec_lo, s19
	s_cbranch_vccnz .LBB52_101
; %bb.34:                               ;   in Loop: Header=BB52_7 Depth=1
	v_lshl_add_u64 v[48:49], v[18:19], 2, v[46:47]
	s_wait_dscnt 0x0
	global_store_b32 v[48:49], v6, off
	s_cbranch_execnz .LBB52_36
.LBB52_35:                              ;   in Loop: Header=BB52_7 Depth=1
	s_wait_dscnt 0x0
	global_store_b32 v[44:45], v6, off offset:64
.LBB52_36:                              ;   in Loop: Header=BB52_7 Depth=1
	s_wait_xcnt 0x0
	s_or_b32 exec_lo, exec_lo, s8
	s_and_saveexec_b32 s8, s33
	s_cbranch_execz .LBB52_40
; %bb.37:                               ;   in Loop: Header=BB52_7 Depth=1
	s_wait_dscnt 0x0
	ds_load_b32 v6, v61 offset:80
	s_and_not1_b32 vcc_lo, exec_lo, s19
	s_cbranch_vccnz .LBB52_102
; %bb.38:                               ;   in Loop: Header=BB52_7 Depth=1
	v_lshl_add_u64 v[48:49], v[22:23], 2, v[46:47]
	s_wait_dscnt 0x0
	global_store_b32 v[48:49], v6, off
	s_cbranch_execnz .LBB52_40
.LBB52_39:                              ;   in Loop: Header=BB52_7 Depth=1
	s_wait_dscnt 0x0
	global_store_b32 v[44:45], v6, off offset:80
.LBB52_40:                              ;   in Loop: Header=BB52_7 Depth=1
	s_wait_xcnt 0x0
	s_or_b32 exec_lo, exec_lo, s8
	s_and_saveexec_b32 s8, s34
	s_cbranch_execz .LBB52_44
; %bb.41:                               ;   in Loop: Header=BB52_7 Depth=1
	s_wait_dscnt 0x0
	ds_load_b32 v6, v61 offset:96
	s_and_not1_b32 vcc_lo, exec_lo, s19
	s_cbranch_vccnz .LBB52_103
; %bb.42:                               ;   in Loop: Header=BB52_7 Depth=1
	v_lshl_add_u64 v[48:49], v[24:25], 2, v[46:47]
	s_wait_dscnt 0x0
	global_store_b32 v[48:49], v6, off
	s_cbranch_execnz .LBB52_44
.LBB52_43:                              ;   in Loop: Header=BB52_7 Depth=1
	s_wait_dscnt 0x0
	global_store_b32 v[44:45], v6, off offset:96
.LBB52_44:                              ;   in Loop: Header=BB52_7 Depth=1
	s_wait_xcnt 0x0
	s_or_b32 exec_lo, exec_lo, s8
	s_and_saveexec_b32 s8, s35
	s_cbranch_execz .LBB52_48
; %bb.45:                               ;   in Loop: Header=BB52_7 Depth=1
	s_wait_dscnt 0x0
	ds_load_b32 v6, v61 offset:112
	s_and_not1_b32 vcc_lo, exec_lo, s19
	s_cbranch_vccnz .LBB52_104
; %bb.46:                               ;   in Loop: Header=BB52_7 Depth=1
	v_lshl_add_u64 v[48:49], v[26:27], 2, v[46:47]
	s_wait_dscnt 0x0
	global_store_b32 v[48:49], v6, off
	s_cbranch_execnz .LBB52_48
.LBB52_47:                              ;   in Loop: Header=BB52_7 Depth=1
	s_wait_dscnt 0x0
	global_store_b32 v[44:45], v6, off offset:112
.LBB52_48:                              ;   in Loop: Header=BB52_7 Depth=1
	s_wait_xcnt 0x0
	s_or_b32 exec_lo, exec_lo, s8
	s_and_saveexec_b32 s8, s36
	s_cbranch_execz .LBB52_52
; %bb.49:                               ;   in Loop: Header=BB52_7 Depth=1
	s_wait_dscnt 0x0
	ds_load_b32 v6, v61 offset:128
	s_and_not1_b32 vcc_lo, exec_lo, s19
	s_cbranch_vccnz .LBB52_105
; %bb.50:                               ;   in Loop: Header=BB52_7 Depth=1
	v_lshl_add_u64 v[48:49], v[28:29], 2, v[46:47]
	s_wait_dscnt 0x0
	global_store_b32 v[48:49], v6, off
	s_cbranch_execnz .LBB52_52
.LBB52_51:                              ;   in Loop: Header=BB52_7 Depth=1
	s_wait_dscnt 0x0
	global_store_b32 v[44:45], v6, off offset:128
.LBB52_52:                              ;   in Loop: Header=BB52_7 Depth=1
	s_wait_xcnt 0x0
	s_or_b32 exec_lo, exec_lo, s8
	s_and_saveexec_b32 s8, s37
	s_cbranch_execz .LBB52_56
; %bb.53:                               ;   in Loop: Header=BB52_7 Depth=1
	s_wait_dscnt 0x0
	ds_load_b32 v6, v61 offset:144
	s_and_not1_b32 vcc_lo, exec_lo, s19
	s_cbranch_vccnz .LBB52_106
; %bb.54:                               ;   in Loop: Header=BB52_7 Depth=1
	v_lshl_add_u64 v[48:49], v[30:31], 2, v[46:47]
	s_wait_dscnt 0x0
	global_store_b32 v[48:49], v6, off
	s_cbranch_execnz .LBB52_56
.LBB52_55:                              ;   in Loop: Header=BB52_7 Depth=1
	s_wait_dscnt 0x0
	global_store_b32 v[44:45], v6, off offset:144
.LBB52_56:                              ;   in Loop: Header=BB52_7 Depth=1
	s_wait_xcnt 0x0
	s_or_b32 exec_lo, exec_lo, s8
	s_and_saveexec_b32 s8, s38
	s_cbranch_execz .LBB52_60
; %bb.57:                               ;   in Loop: Header=BB52_7 Depth=1
	s_wait_dscnt 0x0
	ds_load_b32 v6, v61 offset:160
	s_and_not1_b32 vcc_lo, exec_lo, s19
	s_cbranch_vccnz .LBB52_107
; %bb.58:                               ;   in Loop: Header=BB52_7 Depth=1
	v_lshl_add_u64 v[48:49], v[32:33], 2, v[46:47]
	s_wait_dscnt 0x0
	global_store_b32 v[48:49], v6, off
	s_cbranch_execnz .LBB52_60
.LBB52_59:                              ;   in Loop: Header=BB52_7 Depth=1
	s_wait_dscnt 0x0
	global_store_b32 v[44:45], v6, off offset:160
.LBB52_60:                              ;   in Loop: Header=BB52_7 Depth=1
	s_wait_xcnt 0x0
	s_or_b32 exec_lo, exec_lo, s8
	s_and_saveexec_b32 s8, s39
	s_cbranch_execz .LBB52_64
; %bb.61:                               ;   in Loop: Header=BB52_7 Depth=1
	s_wait_dscnt 0x0
	ds_load_b32 v6, v61 offset:176
	s_and_not1_b32 vcc_lo, exec_lo, s19
	s_cbranch_vccnz .LBB52_108
; %bb.62:                               ;   in Loop: Header=BB52_7 Depth=1
	v_lshl_add_u64 v[48:49], v[34:35], 2, v[46:47]
	s_wait_dscnt 0x0
	global_store_b32 v[48:49], v6, off
	s_cbranch_execnz .LBB52_64
.LBB52_63:                              ;   in Loop: Header=BB52_7 Depth=1
	s_wait_dscnt 0x0
	global_store_b32 v[44:45], v6, off offset:176
.LBB52_64:                              ;   in Loop: Header=BB52_7 Depth=1
	s_wait_xcnt 0x0
	s_or_b32 exec_lo, exec_lo, s8
	s_and_saveexec_b32 s8, s41
	s_cbranch_execz .LBB52_68
; %bb.65:                               ;   in Loop: Header=BB52_7 Depth=1
	s_wait_dscnt 0x0
	ds_load_b32 v6, v61 offset:192
	s_and_not1_b32 vcc_lo, exec_lo, s19
	s_cbranch_vccnz .LBB52_109
; %bb.66:                               ;   in Loop: Header=BB52_7 Depth=1
	v_lshl_add_u64 v[48:49], v[36:37], 2, v[46:47]
	s_wait_dscnt 0x0
	global_store_b32 v[48:49], v6, off
	s_cbranch_execnz .LBB52_68
.LBB52_67:                              ;   in Loop: Header=BB52_7 Depth=1
	s_wait_dscnt 0x0
	global_store_b32 v[44:45], v6, off offset:192
.LBB52_68:                              ;   in Loop: Header=BB52_7 Depth=1
	s_wait_xcnt 0x0
	s_or_b32 exec_lo, exec_lo, s8
	s_and_saveexec_b32 s8, s42
	s_cbranch_execz .LBB52_72
; %bb.69:                               ;   in Loop: Header=BB52_7 Depth=1
	s_wait_dscnt 0x0
	ds_load_b32 v6, v61 offset:208
	s_and_not1_b32 vcc_lo, exec_lo, s19
	s_cbranch_vccnz .LBB52_110
; %bb.70:                               ;   in Loop: Header=BB52_7 Depth=1
	v_lshl_add_u64 v[48:49], v[38:39], 2, v[46:47]
	s_wait_dscnt 0x0
	global_store_b32 v[48:49], v6, off
	s_cbranch_execnz .LBB52_72
.LBB52_71:                              ;   in Loop: Header=BB52_7 Depth=1
	s_wait_dscnt 0x0
	global_store_b32 v[44:45], v6, off offset:208
.LBB52_72:                              ;   in Loop: Header=BB52_7 Depth=1
	s_wait_xcnt 0x0
	s_or_b32 exec_lo, exec_lo, s8
	s_and_saveexec_b32 s8, s43
	s_cbranch_execz .LBB52_76
; %bb.73:                               ;   in Loop: Header=BB52_7 Depth=1
	s_wait_dscnt 0x0
	ds_load_b32 v6, v61 offset:224
	s_and_not1_b32 vcc_lo, exec_lo, s19
	s_cbranch_vccnz .LBB52_111
; %bb.74:                               ;   in Loop: Header=BB52_7 Depth=1
	v_lshl_add_u64 v[48:49], v[40:41], 2, v[46:47]
	s_wait_dscnt 0x0
	global_store_b32 v[48:49], v6, off
	s_cbranch_execnz .LBB52_76
.LBB52_75:                              ;   in Loop: Header=BB52_7 Depth=1
	s_wait_dscnt 0x0
	global_store_b32 v[44:45], v6, off offset:224
.LBB52_76:                              ;   in Loop: Header=BB52_7 Depth=1
	s_wait_xcnt 0x0
	s_or_b32 exec_lo, exec_lo, s8
	s_and_saveexec_b32 s8, s44
	s_cbranch_execz .LBB52_80
; %bb.77:                               ;   in Loop: Header=BB52_7 Depth=1
	s_wait_dscnt 0x0
	ds_load_b32 v6, v61 offset:240
	s_and_not1_b32 vcc_lo, exec_lo, s19
	s_cbranch_vccnz .LBB52_112
; %bb.78:                               ;   in Loop: Header=BB52_7 Depth=1
	v_lshl_add_u64 v[46:47], v[42:43], 2, v[46:47]
	s_wait_dscnt 0x0
	global_store_b32 v[46:47], v6, off
	s_cbranch_execnz .LBB52_80
.LBB52_79:                              ;   in Loop: Header=BB52_7 Depth=1
	s_wait_dscnt 0x0
	global_store_b32 v[44:45], v6, off offset:240
.LBB52_80:                              ;   in Loop: Header=BB52_7 Depth=1
	s_wait_xcnt 0x0
	s_or_b32 exec_lo, exec_lo, s8
	s_mov_b64 s[8:9], 1
.LBB52_81:                              ;   in Loop: Header=BB52_7 Depth=1
	s_wait_storecnt_dscnt 0x0
	s_barrier_signal -1
	s_barrier_wait -1
	ds_store_b32 v57, v63
	s_wait_dscnt 0x0
	s_barrier_signal -1
	s_barrier_wait -1
	s_and_saveexec_b32 s46, s0
	s_cbranch_execz .LBB52_83
; %bb.82:                               ;   in Loop: Header=BB52_7 Depth=1
	ds_load_2addr_stride64_b32 v[44:45], v57 offset1:2
	s_wait_dscnt 0x0
	v_min_i32_e32 v6, v45, v44
	ds_store_b32 v57, v6
.LBB52_83:                              ;   in Loop: Header=BB52_7 Depth=1
	s_or_b32 exec_lo, exec_lo, s46
	s_wait_dscnt 0x0
	s_barrier_signal -1
	s_barrier_wait -1
	s_and_saveexec_b32 s46, s1
	s_cbranch_execz .LBB52_85
; %bb.84:                               ;   in Loop: Header=BB52_7 Depth=1
	ds_load_2addr_stride64_b32 v[44:45], v57 offset1:1
	s_wait_dscnt 0x0
	v_min_i32_e32 v6, v45, v44
	ds_store_b32 v57, v6
.LBB52_85:                              ;   in Loop: Header=BB52_7 Depth=1
	s_or_b32 exec_lo, exec_lo, s46
	s_wait_dscnt 0x0
	s_barrier_signal -1
	s_barrier_wait -1
	s_and_saveexec_b32 s46, s2
	s_cbranch_execz .LBB52_87
; %bb.86:                               ;   in Loop: Header=BB52_7 Depth=1
	ds_load_2addr_b32 v[44:45], v57 offset1:32
	s_wait_dscnt 0x0
	v_min_i32_e32 v6, v45, v44
	ds_store_b32 v57, v6
.LBB52_87:                              ;   in Loop: Header=BB52_7 Depth=1
	s_or_b32 exec_lo, exec_lo, s46
	s_wait_dscnt 0x0
	s_barrier_signal -1
	s_barrier_wait -1
	s_and_saveexec_b32 s46, s3
	s_cbranch_execz .LBB52_89
; %bb.88:                               ;   in Loop: Header=BB52_7 Depth=1
	ds_load_2addr_b32 v[44:45], v57 offset1:16
	s_wait_dscnt 0x0
	v_min_i32_e32 v6, v45, v44
	ds_store_b32 v57, v6
.LBB52_89:                              ;   in Loop: Header=BB52_7 Depth=1
	;; [unrolled: 12-line block ×5, first 2 shown]
	s_or_b32 exec_lo, exec_lo, s46
	s_wait_dscnt 0x0
	s_barrier_signal -1
	s_barrier_wait -1
	s_and_saveexec_b32 s46, s7
	s_cbranch_execz .LBB52_6
; %bb.96:                               ;   in Loop: Header=BB52_7 Depth=1
	ds_load_b64 v[44:45], v7
	s_wait_dscnt 0x0
	v_min_i32_e32 v6, v45, v44
	ds_store_b32 v7, v6
	s_branch .LBB52_6
.LBB52_97:                              ;   in Loop: Header=BB52_7 Depth=1
	s_branch .LBB52_19
.LBB52_98:                              ;   in Loop: Header=BB52_7 Depth=1
	s_branch .LBB52_23
.LBB52_99:                              ;   in Loop: Header=BB52_7 Depth=1
	s_branch .LBB52_27
.LBB52_100:                             ;   in Loop: Header=BB52_7 Depth=1
	s_branch .LBB52_31
.LBB52_101:                             ;   in Loop: Header=BB52_7 Depth=1
	s_branch .LBB52_35
.LBB52_102:                             ;   in Loop: Header=BB52_7 Depth=1
	s_branch .LBB52_39
.LBB52_103:                             ;   in Loop: Header=BB52_7 Depth=1
	s_branch .LBB52_43
.LBB52_104:                             ;   in Loop: Header=BB52_7 Depth=1
	s_branch .LBB52_47
.LBB52_105:                             ;   in Loop: Header=BB52_7 Depth=1
	s_branch .LBB52_51
.LBB52_106:                             ;   in Loop: Header=BB52_7 Depth=1
	s_branch .LBB52_55
.LBB52_107:                             ;   in Loop: Header=BB52_7 Depth=1
	s_branch .LBB52_59
.LBB52_108:                             ;   in Loop: Header=BB52_7 Depth=1
	s_branch .LBB52_63
.LBB52_109:                             ;   in Loop: Header=BB52_7 Depth=1
	s_branch .LBB52_67
.LBB52_110:                             ;   in Loop: Header=BB52_7 Depth=1
	s_branch .LBB52_71
.LBB52_111:                             ;   in Loop: Header=BB52_7 Depth=1
	s_branch .LBB52_75
.LBB52_112:                             ;   in Loop: Header=BB52_7 Depth=1
	s_branch .LBB52_79
.LBB52_113:
	s_endpgm
	.section	.rodata,"a",@progbits
	.p2align	6, 0x0
	.amdhsa_kernel _ZN9rocsparseL38csr2bsr_block_per_row_multipass_kernelILj256ELj64EfliEEv20rocsparse_direction_T3_S2_S2_S2_S2_21rocsparse_index_base_PKT1_PKT2_PKS2_S3_PS4_PS7_PS2_
		.amdhsa_group_segment_fixed_size 16388
		.amdhsa_private_segment_fixed_size 0
		.amdhsa_kernarg_size 88
		.amdhsa_user_sgpr_count 2
		.amdhsa_user_sgpr_dispatch_ptr 0
		.amdhsa_user_sgpr_queue_ptr 0
		.amdhsa_user_sgpr_kernarg_segment_ptr 1
		.amdhsa_user_sgpr_dispatch_id 0
		.amdhsa_user_sgpr_kernarg_preload_length 0
		.amdhsa_user_sgpr_kernarg_preload_offset 0
		.amdhsa_user_sgpr_private_segment_size 0
		.amdhsa_wavefront_size32 1
		.amdhsa_uses_dynamic_stack 0
		.amdhsa_enable_private_segment 0
		.amdhsa_system_sgpr_workgroup_id_x 1
		.amdhsa_system_sgpr_workgroup_id_y 0
		.amdhsa_system_sgpr_workgroup_id_z 0
		.amdhsa_system_sgpr_workgroup_info 0
		.amdhsa_system_vgpr_workitem_id 0
		.amdhsa_next_free_vgpr 65
		.amdhsa_next_free_sgpr 48
		.amdhsa_named_barrier_count 0
		.amdhsa_reserve_vcc 1
		.amdhsa_float_round_mode_32 0
		.amdhsa_float_round_mode_16_64 0
		.amdhsa_float_denorm_mode_32 3
		.amdhsa_float_denorm_mode_16_64 3
		.amdhsa_fp16_overflow 0
		.amdhsa_memory_ordered 1
		.amdhsa_forward_progress 1
		.amdhsa_inst_pref_size 28
		.amdhsa_round_robin_scheduling 0
		.amdhsa_exception_fp_ieee_invalid_op 0
		.amdhsa_exception_fp_denorm_src 0
		.amdhsa_exception_fp_ieee_div_zero 0
		.amdhsa_exception_fp_ieee_overflow 0
		.amdhsa_exception_fp_ieee_underflow 0
		.amdhsa_exception_fp_ieee_inexact 0
		.amdhsa_exception_int_div_zero 0
	.end_amdhsa_kernel
	.section	.text._ZN9rocsparseL38csr2bsr_block_per_row_multipass_kernelILj256ELj64EfliEEv20rocsparse_direction_T3_S2_S2_S2_S2_21rocsparse_index_base_PKT1_PKT2_PKS2_S3_PS4_PS7_PS2_,"axG",@progbits,_ZN9rocsparseL38csr2bsr_block_per_row_multipass_kernelILj256ELj64EfliEEv20rocsparse_direction_T3_S2_S2_S2_S2_21rocsparse_index_base_PKT1_PKT2_PKS2_S3_PS4_PS7_PS2_,comdat
.Lfunc_end52:
	.size	_ZN9rocsparseL38csr2bsr_block_per_row_multipass_kernelILj256ELj64EfliEEv20rocsparse_direction_T3_S2_S2_S2_S2_21rocsparse_index_base_PKT1_PKT2_PKS2_S3_PS4_PS7_PS2_, .Lfunc_end52-_ZN9rocsparseL38csr2bsr_block_per_row_multipass_kernelILj256ELj64EfliEEv20rocsparse_direction_T3_S2_S2_S2_S2_21rocsparse_index_base_PKT1_PKT2_PKS2_S3_PS4_PS7_PS2_
                                        ; -- End function
	.set _ZN9rocsparseL38csr2bsr_block_per_row_multipass_kernelILj256ELj64EfliEEv20rocsparse_direction_T3_S2_S2_S2_S2_21rocsparse_index_base_PKT1_PKT2_PKS2_S3_PS4_PS7_PS2_.num_vgpr, 65
	.set _ZN9rocsparseL38csr2bsr_block_per_row_multipass_kernelILj256ELj64EfliEEv20rocsparse_direction_T3_S2_S2_S2_S2_21rocsparse_index_base_PKT1_PKT2_PKS2_S3_PS4_PS7_PS2_.num_agpr, 0
	.set _ZN9rocsparseL38csr2bsr_block_per_row_multipass_kernelILj256ELj64EfliEEv20rocsparse_direction_T3_S2_S2_S2_S2_21rocsparse_index_base_PKT1_PKT2_PKS2_S3_PS4_PS7_PS2_.numbered_sgpr, 48
	.set _ZN9rocsparseL38csr2bsr_block_per_row_multipass_kernelILj256ELj64EfliEEv20rocsparse_direction_T3_S2_S2_S2_S2_21rocsparse_index_base_PKT1_PKT2_PKS2_S3_PS4_PS7_PS2_.num_named_barrier, 0
	.set _ZN9rocsparseL38csr2bsr_block_per_row_multipass_kernelILj256ELj64EfliEEv20rocsparse_direction_T3_S2_S2_S2_S2_21rocsparse_index_base_PKT1_PKT2_PKS2_S3_PS4_PS7_PS2_.private_seg_size, 0
	.set _ZN9rocsparseL38csr2bsr_block_per_row_multipass_kernelILj256ELj64EfliEEv20rocsparse_direction_T3_S2_S2_S2_S2_21rocsparse_index_base_PKT1_PKT2_PKS2_S3_PS4_PS7_PS2_.uses_vcc, 1
	.set _ZN9rocsparseL38csr2bsr_block_per_row_multipass_kernelILj256ELj64EfliEEv20rocsparse_direction_T3_S2_S2_S2_S2_21rocsparse_index_base_PKT1_PKT2_PKS2_S3_PS4_PS7_PS2_.uses_flat_scratch, 0
	.set _ZN9rocsparseL38csr2bsr_block_per_row_multipass_kernelILj256ELj64EfliEEv20rocsparse_direction_T3_S2_S2_S2_S2_21rocsparse_index_base_PKT1_PKT2_PKS2_S3_PS4_PS7_PS2_.has_dyn_sized_stack, 0
	.set _ZN9rocsparseL38csr2bsr_block_per_row_multipass_kernelILj256ELj64EfliEEv20rocsparse_direction_T3_S2_S2_S2_S2_21rocsparse_index_base_PKT1_PKT2_PKS2_S3_PS4_PS7_PS2_.has_recursion, 0
	.set _ZN9rocsparseL38csr2bsr_block_per_row_multipass_kernelILj256ELj64EfliEEv20rocsparse_direction_T3_S2_S2_S2_S2_21rocsparse_index_base_PKT1_PKT2_PKS2_S3_PS4_PS7_PS2_.has_indirect_call, 0
	.section	.AMDGPU.csdata,"",@progbits
; Kernel info:
; codeLenInByte = 3492
; TotalNumSgprs: 50
; NumVgprs: 65
; ScratchSize: 0
; MemoryBound: 0
; FloatMode: 240
; IeeeMode: 1
; LDSByteSize: 16388 bytes/workgroup (compile time only)
; SGPRBlocks: 0
; VGPRBlocks: 4
; NumSGPRsForWavesPerEU: 50
; NumVGPRsForWavesPerEU: 65
; NamedBarCnt: 0
; Occupancy: 12
; WaveLimiterHint : 0
; COMPUTE_PGM_RSRC2:SCRATCH_EN: 0
; COMPUTE_PGM_RSRC2:USER_SGPR: 2
; COMPUTE_PGM_RSRC2:TRAP_HANDLER: 0
; COMPUTE_PGM_RSRC2:TGID_X_EN: 1
; COMPUTE_PGM_RSRC2:TGID_Y_EN: 0
; COMPUTE_PGM_RSRC2:TGID_Z_EN: 0
; COMPUTE_PGM_RSRC2:TIDIG_COMP_CNT: 0
	.section	.text._ZN9rocsparseL21csr2bsr_65_inf_kernelILj32EfliEEv20rocsparse_direction_T2_S2_S2_S2_S2_S2_21rocsparse_index_base_PKT0_PKT1_PKS2_S3_PS4_PS7_PS2_SD_SE_SC_,"axG",@progbits,_ZN9rocsparseL21csr2bsr_65_inf_kernelILj32EfliEEv20rocsparse_direction_T2_S2_S2_S2_S2_S2_21rocsparse_index_base_PKT0_PKT1_PKS2_S3_PS4_PS7_PS2_SD_SE_SC_,comdat
	.globl	_ZN9rocsparseL21csr2bsr_65_inf_kernelILj32EfliEEv20rocsparse_direction_T2_S2_S2_S2_S2_S2_21rocsparse_index_base_PKT0_PKT1_PKS2_S3_PS4_PS7_PS2_SD_SE_SC_ ; -- Begin function _ZN9rocsparseL21csr2bsr_65_inf_kernelILj32EfliEEv20rocsparse_direction_T2_S2_S2_S2_S2_S2_21rocsparse_index_base_PKT0_PKT1_PKS2_S3_PS4_PS7_PS2_SD_SE_SC_
	.p2align	8
	.type	_ZN9rocsparseL21csr2bsr_65_inf_kernelILj32EfliEEv20rocsparse_direction_T2_S2_S2_S2_S2_S2_21rocsparse_index_base_PKT0_PKT1_PKS2_S3_PS4_PS7_PS2_SD_SE_SC_,@function
_ZN9rocsparseL21csr2bsr_65_inf_kernelILj32EfliEEv20rocsparse_direction_T2_S2_S2_S2_S2_S2_21rocsparse_index_base_PKT0_PKT1_PKS2_S3_PS4_PS7_PS2_SD_SE_SC_: ; @_ZN9rocsparseL21csr2bsr_65_inf_kernelILj32EfliEEv20rocsparse_direction_T2_S2_S2_S2_S2_S2_21rocsparse_index_base_PKT0_PKT1_PKS2_S3_PS4_PS7_PS2_SD_SE_SC_
; %bb.0:
	s_clause 0x2
	s_load_b128 s[4:7], s[0:1], 0x0
	s_load_b64 s[2:3], s[0:1], 0x58
	s_load_b32 s15, s[0:1], 0x38
	s_bfe_u32 s8, ttmp6, 0x4000c
	s_and_b32 s9, ttmp6, 15
	s_add_co_i32 s8, s8, 1
	s_getreg_b32 s10, hwreg(HW_REG_IB_STS2, 6, 4)
	s_mul_i32 s8, ttmp9, s8
	s_mov_b32 s25, 0
	s_add_co_i32 s9, s9, s8
	s_cmp_eq_u32 s10, 0
	s_cselect_b32 s22, ttmp9, s9
	s_wait_kmcnt 0x0
	s_cmp_ge_i32 s22, s7
	s_mov_b32 s7, 0
	s_cbranch_scc1 .LBB53_2
; %bb.1:
	s_load_b64 s[8:9], s[0:1], 0x48
	s_ashr_i32 s23, s22, 31
	s_delay_alu instid0(SALU_CYCLE_1)
	s_lshl_b64 s[10:11], s[22:23], 3
	s_wait_kmcnt 0x0
	s_add_nc_u64 s[8:9], s[8:9], s[10:11]
	s_load_b32 s7, s[8:9], 0x0
	s_wait_kmcnt 0x0
	s_sub_co_i32 s7, s7, s15
.LBB53_2:
	s_load_b96 s[12:14], s[0:1], 0x14
	s_wait_kmcnt 0x0
	v_mul_lo_u32 v4, s13, v0
	s_mul_i32 s8, s22, s13
	s_delay_alu instid0(SALU_CYCLE_1) | instskip(NEXT) | instid1(SALU_CYCLE_1)
	s_lshl_b32 s24, s8, 6
	s_lshl_b64 s[8:9], s[24:25], 3
	s_lshl_b32 s24, s13, 5
	s_add_nc_u64 s[26:27], s[2:3], s[8:9]
	s_cmp_gt_i32 s13, 0
	s_cselect_b32 s28, -1, 0
	s_delay_alu instid0(VALU_DEP_1) | instskip(SKIP_1) | instid1(VALU_DEP_1)
	v_ashrrev_i32_e32 v5, 31, v4
	s_cmp_lt_i32 s13, 1
	v_lshl_add_u64 v[2:3], v[4:5], 3, s[26:27]
	s_cbranch_scc1 .LBB53_7
; %bb.3:
	s_load_b64 s[8:9], s[0:1], 0x28
	v_mov_b64_e32 v[6:7], 0
	s_delay_alu instid0(VALU_DEP_2)
	v_mov_b64_e32 v[8:9], v[2:3]
	v_mov_b32_e32 v1, v0
	s_mul_i32 s3, s12, s22
	s_mov_b32 s11, 0
	s_mov_b32 s10, s14
	s_lshl_b64 s[16:17], s[24:25], 3
	s_mov_b32 s18, s13
	s_branch .LBB53_5
.LBB53_4:                               ;   in Loop: Header=BB53_5 Depth=1
	s_wait_xcnt 0x0
	s_or_b32 exec_lo, exec_lo, s2
	v_add_nc_u64_e32 v[8:9], 8, v[8:9]
	v_add_nc_u32_e32 v1, 32, v1
	s_add_co_i32 s18, s18, -1
	s_delay_alu instid0(SALU_CYCLE_1)
	s_cmp_eq_u32 s18, 0
	s_cbranch_scc1 .LBB53_7
.LBB53_5:                               ; =>This Inner Loop Header: Depth=1
	s_delay_alu instid0(VALU_DEP_1) | instskip(NEXT) | instid1(VALU_DEP_3)
	v_add_nc_u32_e32 v12, s3, v1
	v_add_nc_u64_e32 v[10:11], s[16:17], v[8:9]
	v_cmp_gt_u32_e64 s2, s12, v1
	global_store_b64 v[8:9], v[6:7], off
	v_cmp_gt_i32_e32 vcc_lo, s5, v12
	global_store_b64 v[10:11], v[6:7], off
	s_and_b32 s19, s2, vcc_lo
	s_wait_xcnt 0x0
	s_and_saveexec_b32 s2, s19
	s_cbranch_execz .LBB53_4
; %bb.6:                                ;   in Loop: Header=BB53_5 Depth=1
	v_ashrrev_i32_e32 v13, 31, v12
	s_wait_kmcnt 0x0
	s_delay_alu instid0(VALU_DEP_1)
	v_lshl_add_u64 v[12:13], v[12:13], 3, s[8:9]
	global_load_b128 v[12:15], v[12:13], off
	s_wait_loadcnt 0x0
	v_sub_nc_u64_e64 v[12:13], v[12:13], s[10:11]
	v_sub_nc_u64_e64 v[14:15], v[14:15], s[10:11]
	s_clause 0x1
	global_store_b64 v[8:9], v[12:13], off
	global_store_b64 v[10:11], v[14:15], off
	s_branch .LBB53_4
.LBB53_7:
	s_cmp_lt_i32 s6, 1
	s_cbranch_scc1 .LBB53_37
; %bb.8:
	s_wait_kmcnt 0x0
	s_load_b128 s[8:11], s[0:1], 0x60
	v_mbcnt_lo_u32_b32 v10, -1, 0
	v_lshlrev_b64_e32 v[8:9], 2, v[4:5]
	s_clause 0x3
	s_load_b64 s[2:3], s[0:1], 0x50
	s_load_b64 s[16:17], s[0:1], 0x40
	;; [unrolled: 1-line block ×4, first 2 shown]
	s_wait_xcnt 0x0
	s_lshl_b64 s[0:1], s[24:25], 3
	s_mul_i32 s22, s24, s22
	v_xor_b32_e32 v11, 8, v10
	v_xor_b32_e32 v1, 16, v10
	s_mov_b32 s23, 0
	s_add_nc_u64 s[0:1], s[26:27], s[0:1]
	s_lshl_b64 s[24:25], s[22:23], 2
	s_cmp_lg_u32 s4, 0
	v_cmp_gt_i32_e32 vcc_lo, 32, v1
	v_lshl_add_u64 v[4:5], v[4:5], 3, s[0:1]
	v_mul_lo_u32 v31, v0, s12
	v_dual_mov_b32 v33, 0 :: v_dual_bitop2_b32 v12, 4, v10 bitop3:0x14
	v_cndmask_b32_e32 v1, v10, v1, vcc_lo
	s_mov_b32 s26, 0
	v_mov_b32_e32 v32, 0
	s_wait_kmcnt 0x0
	s_add_nc_u64 s[0:1], s[8:9], s[24:25]
	s_add_nc_u64 s[4:5], s[10:11], s[24:25]
	v_add_nc_u64_e32 v[6:7], s[0:1], v[8:9]
	s_cselect_b32 s1, -1, 0
	s_abs_i32 s24, s12
	v_lshlrev_b32_e32 v1, 2, v1
	s_cvt_f32_u32 s0, s24
	v_cmp_gt_i32_e32 vcc_lo, 32, v11
	v_add_nc_u64_e32 v[8:9], s[4:5], v[8:9]
	s_sub_co_i32 s8, 0, s24
	v_rcp_iflag_f32_e32 v15, s0
	s_ashr_i32 s5, s12, 31
	v_cndmask_b32_e32 v11, v10, v11, vcc_lo
	v_cmp_gt_i32_e32 vcc_lo, 32, v12
	v_xor_b32_e32 v13, 2, v10
	s_add_co_i32 s25, s7, -1
	v_mov_b32_e32 v30, 0x7c
	v_readfirstlane_b32 s0, v15
	v_cndmask_b32_e32 v12, v10, v12, vcc_lo
	v_cmp_gt_i32_e32 vcc_lo, 32, v13
	v_dual_lshlrev_b32 v26, 2, v11 :: v_dual_bitop2_b32 v14, 1, v10 bitop3:0x14
	s_mul_f32 s4, s0, 0x4f7ffffe
	v_cmp_eq_u32_e64 s0, 31, v0
	v_cndmask_b32_e32 v13, v10, v13, vcc_lo
	s_delay_alu instid0(VALU_DEP_3) | instskip(SKIP_2) | instid1(VALU_DEP_2)
	v_cmp_gt_i32_e32 vcc_lo, 32, v14
	s_cvt_u32_f32 s10, s4
	s_mov_b32 s4, s12
	v_dual_lshlrev_b32 v27, 2, v12 :: v_dual_lshlrev_b32 v28, 2, v13
	v_cndmask_b32_e32 v10, v10, v14, vcc_lo
	s_mul_i32 s11, s8, s10
	v_mov_b32_e32 v11, 0
	s_mul_u64 s[8:9], s[4:5], s[4:5]
	s_mul_hi_u32 s4, s10, s11
	v_dual_mov_b32 v10, 0 :: v_dual_lshlrev_b32 v29, 2, v10
	s_add_co_i32 s10, s10, s4
	s_mov_b32 s11, s23
	s_lshl_b32 s4, s12, 5
	s_branch .LBB53_10
.LBB53_9:                               ;   in Loop: Header=BB53_10 Depth=1
	s_wait_dscnt 0x1
	v_add_nc_u32_e32 v10, 1, v34
	s_delay_alu instid0(VALU_DEP_1) | instskip(SKIP_1) | instid1(SALU_CYCLE_1)
	v_cmp_le_i32_e32 vcc_lo, s6, v10
	s_or_b32 s26, vcc_lo, s26
	s_and_not1_b32 exec_lo, exec_lo, s26
	s_cbranch_execz .LBB53_37
.LBB53_10:                              ; =>This Loop Header: Depth=1
                                        ;     Child Loop BB53_14 Depth 2
                                        ;       Child Loop BB53_17 Depth 3
                                        ;     Child Loop BB53_31 Depth 2
	v_mov_b32_e32 v34, s6
	s_and_not1_b32 vcc_lo, exec_lo, s28
	s_cbranch_vccnz .LBB53_23
; %bb.11:                               ;   in Loop: Header=BB53_10 Depth=1
	v_mov_b32_e32 v34, s6
	s_mov_b32 s22, 0
	s_branch .LBB53_14
.LBB53_12:                              ;   in Loop: Header=BB53_14 Depth=2
	s_wait_xcnt 0x0
	s_or_b32 exec_lo, exec_lo, s29
.LBB53_13:                              ;   in Loop: Header=BB53_14 Depth=2
	s_delay_alu instid0(SALU_CYCLE_1) | instskip(SKIP_1) | instid1(SALU_CYCLE_1)
	s_or_b32 exec_lo, exec_lo, s27
	s_add_co_i32 s22, s22, 1
	s_cmp_eq_u32 s22, s13
	s_cbranch_scc1 .LBB53_23
.LBB53_14:                              ;   Parent Loop BB53_10 Depth=1
                                        ; =>  This Loop Header: Depth=2
                                        ;       Child Loop BB53_17 Depth 3
	s_lshl_b64 s[30:31], s[22:23], 3
	v_mov_b32_e32 v18, s6
	v_add_nc_u64_e32 v[12:13], s[30:31], v[2:3]
	v_add_nc_u64_e32 v[14:15], s[30:31], v[4:5]
	s_lshl_b64 s[30:31], s[22:23], 2
	s_mov_b32 s27, exec_lo
	v_add_nc_u64_e32 v[16:17], s[30:31], v[6:7]
	s_clause 0x1
	global_load_b64 v[22:23], v[12:13], off
	global_load_b64 v[20:21], v[14:15], off
	s_wait_xcnt 0x0
	v_add_nc_u64_e32 v[14:15], s[30:31], v[8:9]
	global_store_b32 v[14:15], v11, off
	global_store_b32 v[16:17], v18, off
	s_wait_loadcnt 0x0
	s_wait_xcnt 0x0
	v_cmpx_lt_i64_e64 v[22:23], v[20:21]
	s_cbranch_execz .LBB53_13
; %bb.15:                               ;   in Loop: Header=BB53_14 Depth=2
	v_lshl_add_u64 v[24:25], v[22:23], 2, s[20:21]
	s_mov_b32 s29, 0
                                        ; implicit-def: $sgpr30
                                        ; implicit-def: $sgpr33
                                        ; implicit-def: $sgpr31
	s_branch .LBB53_17
.LBB53_16:                              ;   in Loop: Header=BB53_17 Depth=3
	s_or_b32 exec_lo, exec_lo, s34
	s_delay_alu instid0(SALU_CYCLE_1) | instskip(NEXT) | instid1(SALU_CYCLE_1)
	s_and_b32 s34, exec_lo, s33
	s_or_b32 s29, s34, s29
	s_and_not1_b32 s30, s30, exec_lo
	s_and_b32 s34, s31, exec_lo
	s_delay_alu instid0(SALU_CYCLE_1)
	s_or_b32 s30, s30, s34
	s_and_not1_b32 exec_lo, exec_lo, s29
	s_cbranch_execz .LBB53_19
.LBB53_17:                              ;   Parent Loop BB53_10 Depth=1
                                        ;     Parent Loop BB53_14 Depth=2
                                        ; =>    This Inner Loop Header: Depth=3
	global_load_b32 v18, v[24:25], off
	s_or_b32 s31, s31, exec_lo
	s_or_b32 s33, s33, exec_lo
	s_mov_b32 s34, exec_lo
	s_wait_loadcnt 0x0
	v_subrev_nc_u32_e32 v35, s14, v18
	v_mov_b64_e32 v[18:19], v[22:23]
                                        ; implicit-def: $vgpr22_vgpr23
	s_wait_xcnt 0x0
	s_delay_alu instid0(VALU_DEP_2)
	v_cmpx_lt_i32_e64 v35, v10
	s_cbranch_execz .LBB53_16
; %bb.18:                               ;   in Loop: Header=BB53_17 Depth=3
	s_delay_alu instid0(VALU_DEP_2) | instskip(SKIP_3) | instid1(VALU_DEP_2)
	v_add_nc_u64_e32 v[22:23], 1, v[18:19]
	v_add_nc_u64_e32 v[24:25], 4, v[24:25]
	s_and_not1_b32 s33, s33, exec_lo
	s_and_not1_b32 s31, s31, exec_lo
	v_cmp_ge_i64_e32 vcc_lo, v[22:23], v[20:21]
	s_and_b32 s35, vcc_lo, exec_lo
	s_delay_alu instid0(SALU_CYCLE_1)
	s_or_b32 s33, s33, s35
	s_branch .LBB53_16
.LBB53_19:                              ;   in Loop: Header=BB53_14 Depth=2
	s_or_b32 exec_lo, exec_lo, s29
	v_lshl_add_u64 v[20:21], v[18:19], 2, s[18:19]
	s_xor_b32 s29, s30, -1
	s_delay_alu instid0(SALU_CYCLE_1) | instskip(NEXT) | instid1(SALU_CYCLE_1)
	s_and_saveexec_b32 s30, s29
	s_xor_b32 s29, exec_lo, s30
	s_cbranch_execz .LBB53_21
; %bb.20:                               ;   in Loop: Header=BB53_14 Depth=2
	global_load_b32 v12, v[20:21], off
                                        ; implicit-def: $vgpr20_vgpr21
	s_wait_loadcnt 0x0
	global_store_b32 v[14:15], v12, off
	global_store_b32 v[16:17], v35, off
                                        ; implicit-def: $vgpr14_vgpr15
                                        ; implicit-def: $vgpr16_vgpr17
                                        ; implicit-def: $vgpr12_vgpr13
.LBB53_21:                              ;   in Loop: Header=BB53_14 Depth=2
	s_wait_xcnt 0x0
	s_and_not1_saveexec_b32 s29, s29
	s_cbranch_execz .LBB53_12
; %bb.22:                               ;   in Loop: Header=BB53_14 Depth=2
	global_load_b32 v20, v[20:21], off
	v_min_i32_e32 v34, v35, v34
	global_store_b32 v[16:17], v35, off
	s_wait_loadcnt 0x0
	global_store_b32 v[14:15], v20, off
	global_store_b64 v[12:13], v[18:19], off
	s_branch .LBB53_12
.LBB53_23:                              ;   in Loop: Header=BB53_10 Depth=1
	ds_bpermute_b32 v10, v1, v34
	s_wait_dscnt 0x0
	v_min_i32_e32 v10, v10, v34
	ds_bpermute_b32 v12, v26, v10
	s_wait_dscnt 0x0
	v_min_i32_e32 v10, v12, v10
	;; [unrolled: 3-line block ×5, first 2 shown]
	s_delay_alu instid0(VALU_DEP_1) | instskip(SKIP_1) | instid1(SALU_CYCLE_1)
	v_cmp_gt_i32_e32 vcc_lo, s6, v12
	s_and_b32 s27, s0, vcc_lo
	s_and_saveexec_b32 s22, s27
	s_cbranch_execz .LBB53_27
; %bb.24:                               ;   in Loop: Header=BB53_10 Depth=1
	v_sub_nc_u32_e32 v10, 0, v12
	s_mov_b32 s27, exec_lo
	s_delay_alu instid0(VALU_DEP_1) | instskip(NEXT) | instid1(VALU_DEP_1)
	v_max_i32_e32 v10, v12, v10
	v_mul_u64_e32 v[14:15], s[10:11], v[10:11]
	s_delay_alu instid0(VALU_DEP_1) | instskip(NEXT) | instid1(VALU_DEP_1)
	v_mul_lo_u32 v13, v15, s24
	v_dual_sub_nc_u32 v10, v10, v13 :: v_dual_add_nc_u32 v13, 1, v15
	s_delay_alu instid0(VALU_DEP_1) | instskip(NEXT) | instid1(VALU_DEP_2)
	v_cmp_le_u32_e32 vcc_lo, s24, v10
	v_dual_cndmask_b32 v13, v15, v13, vcc_lo :: v_dual_ashrrev_i32 v15, 31, v12
	v_subrev_nc_u32_e32 v14, s24, v10
	s_delay_alu instid0(VALU_DEP_1) | instskip(NEXT) | instid1(VALU_DEP_1)
	v_dual_cndmask_b32 v10, v10, v14, vcc_lo :: v_dual_add_nc_u32 v14, 1, v13
	v_cmp_le_u32_e32 vcc_lo, s24, v10
	s_delay_alu instid0(VALU_DEP_2) | instskip(NEXT) | instid1(VALU_DEP_1)
	v_dual_cndmask_b32 v10, v13, v14, vcc_lo :: v_dual_bitop2_b32 v15, s5, v15 bitop3:0x14
	v_xor_b32_e32 v10, v10, v15
	s_delay_alu instid0(VALU_DEP_1) | instskip(NEXT) | instid1(VALU_DEP_1)
	v_sub_nc_u32_e32 v10, v10, v15
	v_cmpx_ge_i32_e64 v10, v32
	s_cbranch_execz .LBB53_26
; %bb.25:                               ;   in Loop: Header=BB53_10 Depth=1
	v_dual_add_nc_u32 v13, 1, v33 :: v_dual_add_nc_u32 v32, 1, v10
	v_dual_add_nc_u32 v14, s7, v33 :: v_dual_add_nc_u32 v10, s15, v10
	s_delay_alu instid0(VALU_DEP_2)
	v_mov_b32_e32 v33, v13
	global_store_b32 v14, v10, s[2:3] scale_offset
.LBB53_26:                              ;   in Loop: Header=BB53_10 Depth=1
	s_wait_xcnt 0x0
	s_or_b32 exec_lo, exec_lo, s27
.LBB53_27:                              ;   in Loop: Header=BB53_10 Depth=1
	s_delay_alu instid0(SALU_CYCLE_1)
	s_or_b32 exec_lo, exec_lo, s22
	ds_bpermute_b32 v34, v30, v12
	ds_bpermute_b32 v33, v30, v33
	s_and_not1_b32 vcc_lo, exec_lo, s28
	s_cbranch_vccnz .LBB53_9
; %bb.28:                               ;   in Loop: Header=BB53_10 Depth=1
	s_wait_dscnt 0x0
	v_dual_sub_nc_u32 v10, 0, v34 :: v_dual_add_nc_u32 v14, s25, v33
	s_mov_b32 s22, s13
	v_dual_mov_b32 v16, v0 :: v_dual_mov_b32 v20, v31
	s_delay_alu instid0(VALU_DEP_2) | instskip(NEXT) | instid1(VALU_DEP_1)
	v_max_i32_e32 v10, v34, v10
	v_mul_u64_e32 v[12:13], s[10:11], v[10:11]
	s_delay_alu instid0(VALU_DEP_1) | instskip(NEXT) | instid1(VALU_DEP_1)
	v_mul_lo_u32 v12, v13, s24
	v_dual_ashrrev_i32 v15, 31, v14 :: v_dual_sub_nc_u32 v10, v10, v12
	s_delay_alu instid0(VALU_DEP_1) | instskip(SKIP_1) | instid1(VALU_DEP_3)
	v_mul_u64_e32 v[18:19], s[8:9], v[14:15]
	v_add_nc_u32_e32 v12, 1, v13
	v_subrev_nc_u32_e32 v14, s24, v10
	v_cmp_le_u32_e32 vcc_lo, s24, v10
	s_delay_alu instid0(VALU_DEP_3) | instskip(NEXT) | instid1(VALU_DEP_1)
	v_dual_cndmask_b32 v12, v13, v12 :: v_dual_ashrrev_i32 v13, 31, v34
	v_dual_cndmask_b32 v10, v10, v14, vcc_lo :: v_dual_add_nc_u32 v14, 1, v12
	s_delay_alu instid0(VALU_DEP_1) | instskip(NEXT) | instid1(VALU_DEP_2)
	v_cmp_le_u32_e32 vcc_lo, s24, v10
	v_dual_cndmask_b32 v10, v12, v14, vcc_lo :: v_dual_bitop2_b32 v17, s5, v13 bitop3:0x14
	v_mov_b64_e32 v[12:13], v[8:9]
	v_mov_b64_e32 v[14:15], v[6:7]
	s_delay_alu instid0(VALU_DEP_3) | instskip(NEXT) | instid1(VALU_DEP_1)
	v_xor_b32_e32 v10, v10, v17
	v_sub_nc_u32_e32 v35, v10, v17
	v_lshl_add_u64 v[18:19], v[18:19], 2, s[16:17]
	s_branch .LBB53_31
.LBB53_29:                              ;   in Loop: Header=BB53_31 Depth=2
	s_delay_alu instid0(VALU_DEP_1) | instskip(NEXT) | instid1(VALU_DEP_1)
	v_lshl_add_u64 v[22:23], v[22:23], 2, v[18:19]
	v_lshl_add_u64 v[22:23], v[24:25], 2, v[22:23]
	s_wait_loadcnt 0x0
	global_store_b32 v[22:23], v37, off
.LBB53_30:                              ;   in Loop: Header=BB53_31 Depth=2
	s_wait_xcnt 0x0
	s_or_b32 exec_lo, exec_lo, s27
	v_add_nc_u64_e32 v[14:15], 4, v[14:15]
	v_add_nc_u64_e32 v[12:13], 4, v[12:13]
	v_add_nc_u32_e32 v20, s4, v20
	v_add_nc_u32_e32 v16, 32, v16
	s_add_co_i32 s22, s22, -1
	s_delay_alu instid0(SALU_CYCLE_1)
	s_cmp_eq_u32 s22, 0
	s_cbranch_scc1 .LBB53_9
.LBB53_31:                              ;   Parent Loop BB53_10 Depth=1
                                        ; =>  This Inner Loop Header: Depth=2
	global_load_b32 v17, v[14:15], off
	s_mov_b32 s27, exec_lo
	s_wait_loadcnt 0x0
	v_cmpx_gt_i32_e64 s6, v17
	s_cbranch_execz .LBB53_30
; %bb.32:                               ;   in Loop: Header=BB53_31 Depth=2
	v_dual_sub_nc_u32 v10, 0, v17 :: v_dual_ashrrev_i32 v36, 31, v17
	s_delay_alu instid0(VALU_DEP_1) | instskip(NEXT) | instid1(VALU_DEP_1)
	v_max_i32_e32 v10, v17, v10
	v_mul_u64_e32 v[22:23], s[10:11], v[10:11]
	s_delay_alu instid0(VALU_DEP_1) | instskip(NEXT) | instid1(VALU_DEP_1)
	v_mul_lo_u32 v21, v23, s24
	v_dual_add_nc_u32 v22, 1, v23 :: v_dual_sub_nc_u32 v21, v10, v21
	s_delay_alu instid0(VALU_DEP_1) | instskip(NEXT) | instid1(VALU_DEP_2)
	v_cmp_le_u32_e32 vcc_lo, s24, v21
	v_cndmask_b32_e32 v22, v23, v22, vcc_lo
	v_subrev_nc_u32_e32 v24, s24, v21
	s_delay_alu instid0(VALU_DEP_1) | instskip(NEXT) | instid1(VALU_DEP_1)
	v_dual_add_nc_u32 v23, 1, v22 :: v_dual_cndmask_b32 v21, v21, v24, vcc_lo
	v_cmp_le_u32_e32 vcc_lo, s24, v21
	s_delay_alu instid0(VALU_DEP_2) | instskip(NEXT) | instid1(VALU_DEP_1)
	v_dual_cndmask_b32 v21, v22, v23, vcc_lo :: v_dual_bitop2_b32 v24, s5, v36 bitop3:0x14
	v_xor_b32_e32 v21, v21, v24
	s_delay_alu instid0(VALU_DEP_1) | instskip(NEXT) | instid1(VALU_DEP_1)
	v_sub_nc_u32_e32 v21, v21, v24
	v_cmp_eq_u32_e32 vcc_lo, v21, v35
	s_and_b32 exec_lo, exec_lo, vcc_lo
	s_cbranch_execz .LBB53_30
; %bb.33:                               ;   in Loop: Header=BB53_31 Depth=2
	global_load_b32 v37, v[12:13], off
	s_and_b32 vcc_lo, exec_lo, s1
	s_cbranch_vccz .LBB53_35
; %bb.34:                               ;   in Loop: Header=BB53_31 Depth=2
	v_mul_lo_u32 v21, v35, s12
	s_delay_alu instid0(VALU_DEP_1) | instskip(NEXT) | instid1(VALU_DEP_1)
	v_sub_nc_u32_e32 v17, v17, v21
	v_mul_lo_u32 v22, v17, s12
	v_mov_b32_e32 v17, v11
	s_delay_alu instid0(VALU_DEP_1) | instskip(NEXT) | instid1(VALU_DEP_3)
	v_mov_b64_e32 v[24:25], v[16:17]
	v_ashrrev_i32_e32 v23, 31, v22
	s_cbranch_execnz .LBB53_29
	s_branch .LBB53_36
.LBB53_35:                              ;   in Loop: Header=BB53_31 Depth=2
	v_mov_b32_e32 v21, v11
                                        ; implicit-def: $vgpr24_vgpr25
	s_delay_alu instid0(VALU_DEP_1)
	v_mov_b64_e32 v[22:23], v[20:21]
.LBB53_36:                              ;   in Loop: Header=BB53_31 Depth=2
	v_mul_u64_e32 v[24:25], s[10:11], v[10:11]
	s_delay_alu instid0(VALU_DEP_1) | instskip(NEXT) | instid1(VALU_DEP_1)
	v_mul_lo_u32 v17, v25, s24
	v_sub_nc_u32_e32 v10, v10, v17
	s_delay_alu instid0(VALU_DEP_1) | instskip(SKIP_1) | instid1(VALU_DEP_2)
	v_subrev_nc_u32_e32 v17, s24, v10
	v_cmp_le_u32_e32 vcc_lo, s24, v10
	v_cndmask_b32_e32 v10, v10, v17, vcc_lo
	s_delay_alu instid0(VALU_DEP_1) | instskip(SKIP_1) | instid1(VALU_DEP_2)
	v_subrev_nc_u32_e32 v17, s24, v10
	v_cmp_le_u32_e32 vcc_lo, s24, v10
	v_cndmask_b32_e32 v10, v10, v17, vcc_lo
	s_delay_alu instid0(VALU_DEP_1) | instskip(NEXT) | instid1(VALU_DEP_1)
	v_xor_b32_e32 v10, v10, v36
	v_sub_nc_u32_e32 v24, v10, v36
	s_delay_alu instid0(VALU_DEP_1)
	v_ashrrev_i32_e32 v25, 31, v24
	s_branch .LBB53_29
.LBB53_37:
	s_endpgm
	.section	.rodata,"a",@progbits
	.p2align	6, 0x0
	.amdhsa_kernel _ZN9rocsparseL21csr2bsr_65_inf_kernelILj32EfliEEv20rocsparse_direction_T2_S2_S2_S2_S2_S2_21rocsparse_index_base_PKT0_PKT1_PKS2_S3_PS4_PS7_PS2_SD_SE_SC_
		.amdhsa_group_segment_fixed_size 0
		.amdhsa_private_segment_fixed_size 0
		.amdhsa_kernarg_size 112
		.amdhsa_user_sgpr_count 2
		.amdhsa_user_sgpr_dispatch_ptr 0
		.amdhsa_user_sgpr_queue_ptr 0
		.amdhsa_user_sgpr_kernarg_segment_ptr 1
		.amdhsa_user_sgpr_dispatch_id 0
		.amdhsa_user_sgpr_kernarg_preload_length 0
		.amdhsa_user_sgpr_kernarg_preload_offset 0
		.amdhsa_user_sgpr_private_segment_size 0
		.amdhsa_wavefront_size32 1
		.amdhsa_uses_dynamic_stack 0
		.amdhsa_enable_private_segment 0
		.amdhsa_system_sgpr_workgroup_id_x 1
		.amdhsa_system_sgpr_workgroup_id_y 0
		.amdhsa_system_sgpr_workgroup_id_z 0
		.amdhsa_system_sgpr_workgroup_info 0
		.amdhsa_system_vgpr_workitem_id 0
		.amdhsa_next_free_vgpr 38
		.amdhsa_next_free_sgpr 36
		.amdhsa_named_barrier_count 0
		.amdhsa_reserve_vcc 1
		.amdhsa_float_round_mode_32 0
		.amdhsa_float_round_mode_16_64 0
		.amdhsa_float_denorm_mode_32 3
		.amdhsa_float_denorm_mode_16_64 3
		.amdhsa_fp16_overflow 0
		.amdhsa_memory_ordered 1
		.amdhsa_forward_progress 1
		.amdhsa_inst_pref_size 17
		.amdhsa_round_robin_scheduling 0
		.amdhsa_exception_fp_ieee_invalid_op 0
		.amdhsa_exception_fp_denorm_src 0
		.amdhsa_exception_fp_ieee_div_zero 0
		.amdhsa_exception_fp_ieee_overflow 0
		.amdhsa_exception_fp_ieee_underflow 0
		.amdhsa_exception_fp_ieee_inexact 0
		.amdhsa_exception_int_div_zero 0
	.end_amdhsa_kernel
	.section	.text._ZN9rocsparseL21csr2bsr_65_inf_kernelILj32EfliEEv20rocsparse_direction_T2_S2_S2_S2_S2_S2_21rocsparse_index_base_PKT0_PKT1_PKS2_S3_PS4_PS7_PS2_SD_SE_SC_,"axG",@progbits,_ZN9rocsparseL21csr2bsr_65_inf_kernelILj32EfliEEv20rocsparse_direction_T2_S2_S2_S2_S2_S2_21rocsparse_index_base_PKT0_PKT1_PKS2_S3_PS4_PS7_PS2_SD_SE_SC_,comdat
.Lfunc_end53:
	.size	_ZN9rocsparseL21csr2bsr_65_inf_kernelILj32EfliEEv20rocsparse_direction_T2_S2_S2_S2_S2_S2_21rocsparse_index_base_PKT0_PKT1_PKS2_S3_PS4_PS7_PS2_SD_SE_SC_, .Lfunc_end53-_ZN9rocsparseL21csr2bsr_65_inf_kernelILj32EfliEEv20rocsparse_direction_T2_S2_S2_S2_S2_S2_21rocsparse_index_base_PKT0_PKT1_PKS2_S3_PS4_PS7_PS2_SD_SE_SC_
                                        ; -- End function
	.set _ZN9rocsparseL21csr2bsr_65_inf_kernelILj32EfliEEv20rocsparse_direction_T2_S2_S2_S2_S2_S2_21rocsparse_index_base_PKT0_PKT1_PKS2_S3_PS4_PS7_PS2_SD_SE_SC_.num_vgpr, 38
	.set _ZN9rocsparseL21csr2bsr_65_inf_kernelILj32EfliEEv20rocsparse_direction_T2_S2_S2_S2_S2_S2_21rocsparse_index_base_PKT0_PKT1_PKS2_S3_PS4_PS7_PS2_SD_SE_SC_.num_agpr, 0
	.set _ZN9rocsparseL21csr2bsr_65_inf_kernelILj32EfliEEv20rocsparse_direction_T2_S2_S2_S2_S2_S2_21rocsparse_index_base_PKT0_PKT1_PKS2_S3_PS4_PS7_PS2_SD_SE_SC_.numbered_sgpr, 36
	.set _ZN9rocsparseL21csr2bsr_65_inf_kernelILj32EfliEEv20rocsparse_direction_T2_S2_S2_S2_S2_S2_21rocsparse_index_base_PKT0_PKT1_PKS2_S3_PS4_PS7_PS2_SD_SE_SC_.num_named_barrier, 0
	.set _ZN9rocsparseL21csr2bsr_65_inf_kernelILj32EfliEEv20rocsparse_direction_T2_S2_S2_S2_S2_S2_21rocsparse_index_base_PKT0_PKT1_PKS2_S3_PS4_PS7_PS2_SD_SE_SC_.private_seg_size, 0
	.set _ZN9rocsparseL21csr2bsr_65_inf_kernelILj32EfliEEv20rocsparse_direction_T2_S2_S2_S2_S2_S2_21rocsparse_index_base_PKT0_PKT1_PKS2_S3_PS4_PS7_PS2_SD_SE_SC_.uses_vcc, 1
	.set _ZN9rocsparseL21csr2bsr_65_inf_kernelILj32EfliEEv20rocsparse_direction_T2_S2_S2_S2_S2_S2_21rocsparse_index_base_PKT0_PKT1_PKS2_S3_PS4_PS7_PS2_SD_SE_SC_.uses_flat_scratch, 0
	.set _ZN9rocsparseL21csr2bsr_65_inf_kernelILj32EfliEEv20rocsparse_direction_T2_S2_S2_S2_S2_S2_21rocsparse_index_base_PKT0_PKT1_PKS2_S3_PS4_PS7_PS2_SD_SE_SC_.has_dyn_sized_stack, 0
	.set _ZN9rocsparseL21csr2bsr_65_inf_kernelILj32EfliEEv20rocsparse_direction_T2_S2_S2_S2_S2_S2_21rocsparse_index_base_PKT0_PKT1_PKS2_S3_PS4_PS7_PS2_SD_SE_SC_.has_recursion, 0
	.set _ZN9rocsparseL21csr2bsr_65_inf_kernelILj32EfliEEv20rocsparse_direction_T2_S2_S2_S2_S2_S2_21rocsparse_index_base_PKT0_PKT1_PKS2_S3_PS4_PS7_PS2_SD_SE_SC_.has_indirect_call, 0
	.section	.AMDGPU.csdata,"",@progbits
; Kernel info:
; codeLenInByte = 2124
; TotalNumSgprs: 38
; NumVgprs: 38
; ScratchSize: 0
; MemoryBound: 0
; FloatMode: 240
; IeeeMode: 1
; LDSByteSize: 0 bytes/workgroup (compile time only)
; SGPRBlocks: 0
; VGPRBlocks: 2
; NumSGPRsForWavesPerEU: 38
; NumVGPRsForWavesPerEU: 38
; NamedBarCnt: 0
; Occupancy: 16
; WaveLimiterHint : 0
; COMPUTE_PGM_RSRC2:SCRATCH_EN: 0
; COMPUTE_PGM_RSRC2:USER_SGPR: 2
; COMPUTE_PGM_RSRC2:TRAP_HANDLER: 0
; COMPUTE_PGM_RSRC2:TGID_X_EN: 1
; COMPUTE_PGM_RSRC2:TGID_Y_EN: 0
; COMPUTE_PGM_RSRC2:TGID_Z_EN: 0
; COMPUTE_PGM_RSRC2:TIDIG_COMP_CNT: 0
	.section	.text._ZN9rocsparseL35csr2bsr_block_dim_equals_one_kernelILj256EfilEEvT2_S1_S1_S1_21rocsparse_index_base_PKT0_PKT1_PKS1_S2_PS3_PS6_PS1_,"axG",@progbits,_ZN9rocsparseL35csr2bsr_block_dim_equals_one_kernelILj256EfilEEvT2_S1_S1_S1_21rocsparse_index_base_PKT0_PKT1_PKS1_S2_PS3_PS6_PS1_,comdat
	.globl	_ZN9rocsparseL35csr2bsr_block_dim_equals_one_kernelILj256EfilEEvT2_S1_S1_S1_21rocsparse_index_base_PKT0_PKT1_PKS1_S2_PS3_PS6_PS1_ ; -- Begin function _ZN9rocsparseL35csr2bsr_block_dim_equals_one_kernelILj256EfilEEvT2_S1_S1_S1_21rocsparse_index_base_PKT0_PKT1_PKS1_S2_PS3_PS6_PS1_
	.p2align	8
	.type	_ZN9rocsparseL35csr2bsr_block_dim_equals_one_kernelILj256EfilEEvT2_S1_S1_S1_21rocsparse_index_base_PKT0_PKT1_PKS1_S2_PS3_PS6_PS1_,@function
_ZN9rocsparseL35csr2bsr_block_dim_equals_one_kernelILj256EfilEEvT2_S1_S1_S1_21rocsparse_index_base_PKT0_PKT1_PKS1_S2_PS3_PS6_PS1_: ; @_ZN9rocsparseL35csr2bsr_block_dim_equals_one_kernelILj256EfilEEvT2_S1_S1_S1_21rocsparse_index_base_PKT0_PKT1_PKS1_S2_PS3_PS6_PS1_
; %bb.0:
	s_clause 0x1
	s_load_b64 s[2:3], s[0:1], 0x0
	s_load_b128 s[4:7], s[0:1], 0x28
	s_bfe_u32 s8, ttmp6, 0x4000c
	s_and_b32 s9, ttmp6, 15
	s_add_co_i32 s8, s8, 1
	s_getreg_b32 s10, hwreg(HW_REG_IB_STS2, 6, 4)
	s_mul_i32 s8, ttmp9, s8
	s_delay_alu instid0(SALU_CYCLE_1) | instskip(SKIP_2) | instid1(SALU_CYCLE_1)
	s_add_co_i32 s9, s9, s8
	s_cmp_eq_u32 s10, 0
	s_cselect_b32 s8, ttmp9, s9
	v_lshl_or_b32 v0, s8, 8, v0
	s_wait_kmcnt 0x0
	s_lshl_b64 s[2:3], s[2:3], 2
	s_delay_alu instid0(SALU_CYCLE_1)
	s_add_nc_u64 s[2:3], s[6:7], s[2:3]
	s_clause 0x1
	s_load_b32 s9, s[2:3], 0x0
	s_load_b32 s10, s[6:7], 0x0
	s_wait_xcnt 0x0
	s_mov_b32 s3, 0
	s_mov_b32 s2, exec_lo
	s_wait_kmcnt 0x0
	s_sub_co_i32 s11, s9, s10
	s_delay_alu instid0(SALU_CYCLE_1)
	v_cmpx_gt_i32_e64 s11, v0
	s_cbranch_execz .LBB54_3
; %bb.1:
	s_clause 0x3
	s_load_b96 s[8:10], s[0:1], 0x38
	s_load_b64 s[6:7], s[0:1], 0x48
	s_load_b32 s2, s[0:1], 0x20
	s_load_b96 s[12:14], s[0:1], 0x58
	s_wait_xcnt 0x0
	s_mov_b32 s1, s3
	s_wait_kmcnt 0x0
	s_mov_b32 s0, s10
	s_delay_alu instid0(SALU_CYCLE_1)
	s_sub_nc_u64 s[0:1], s[0:1], s[2:3]
	s_lshl_b32 s2, s14, 8
.LBB54_2:                               ; =>This Inner Loop Header: Depth=1
	s_clause 0x1
	global_load_b64 v[2:3], v0, s[8:9] scale_offset
	global_load_b32 v1, v0, s[4:5] scale_offset
	s_wait_loadcnt 0x1
	v_add_nc_u64_e32 v[2:3], s[0:1], v[2:3]
	global_store_b64 v0, v[2:3], s[12:13] scale_offset
	s_wait_loadcnt 0x0
	global_store_b32 v0, v1, s[6:7] scale_offset
	s_wait_xcnt 0x0
	v_add_nc_u32_e32 v0, s2, v0
	s_delay_alu instid0(VALU_DEP_1) | instskip(SKIP_1) | instid1(SALU_CYCLE_1)
	v_cmp_le_i32_e32 vcc_lo, s11, v0
	s_or_b32 s3, vcc_lo, s3
	s_and_not1_b32 exec_lo, exec_lo, s3
	s_cbranch_execnz .LBB54_2
.LBB54_3:
	s_endpgm
	.section	.rodata,"a",@progbits
	.p2align	6, 0x0
	.amdhsa_kernel _ZN9rocsparseL35csr2bsr_block_dim_equals_one_kernelILj256EfilEEvT2_S1_S1_S1_21rocsparse_index_base_PKT0_PKT1_PKS1_S2_PS3_PS6_PS1_
		.amdhsa_group_segment_fixed_size 0
		.amdhsa_private_segment_fixed_size 0
		.amdhsa_kernarg_size 352
		.amdhsa_user_sgpr_count 2
		.amdhsa_user_sgpr_dispatch_ptr 0
		.amdhsa_user_sgpr_queue_ptr 0
		.amdhsa_user_sgpr_kernarg_segment_ptr 1
		.amdhsa_user_sgpr_dispatch_id 0
		.amdhsa_user_sgpr_kernarg_preload_length 0
		.amdhsa_user_sgpr_kernarg_preload_offset 0
		.amdhsa_user_sgpr_private_segment_size 0
		.amdhsa_wavefront_size32 1
		.amdhsa_uses_dynamic_stack 0
		.amdhsa_enable_private_segment 0
		.amdhsa_system_sgpr_workgroup_id_x 1
		.amdhsa_system_sgpr_workgroup_id_y 0
		.amdhsa_system_sgpr_workgroup_id_z 0
		.amdhsa_system_sgpr_workgroup_info 0
		.amdhsa_system_vgpr_workitem_id 0
		.amdhsa_next_free_vgpr 4
		.amdhsa_next_free_sgpr 15
		.amdhsa_named_barrier_count 0
		.amdhsa_reserve_vcc 1
		.amdhsa_float_round_mode_32 0
		.amdhsa_float_round_mode_16_64 0
		.amdhsa_float_denorm_mode_32 3
		.amdhsa_float_denorm_mode_16_64 3
		.amdhsa_fp16_overflow 0
		.amdhsa_memory_ordered 1
		.amdhsa_forward_progress 1
		.amdhsa_inst_pref_size 3
		.amdhsa_round_robin_scheduling 0
		.amdhsa_exception_fp_ieee_invalid_op 0
		.amdhsa_exception_fp_denorm_src 0
		.amdhsa_exception_fp_ieee_div_zero 0
		.amdhsa_exception_fp_ieee_overflow 0
		.amdhsa_exception_fp_ieee_underflow 0
		.amdhsa_exception_fp_ieee_inexact 0
		.amdhsa_exception_int_div_zero 0
	.end_amdhsa_kernel
	.section	.text._ZN9rocsparseL35csr2bsr_block_dim_equals_one_kernelILj256EfilEEvT2_S1_S1_S1_21rocsparse_index_base_PKT0_PKT1_PKS1_S2_PS3_PS6_PS1_,"axG",@progbits,_ZN9rocsparseL35csr2bsr_block_dim_equals_one_kernelILj256EfilEEvT2_S1_S1_S1_21rocsparse_index_base_PKT0_PKT1_PKS1_S2_PS3_PS6_PS1_,comdat
.Lfunc_end54:
	.size	_ZN9rocsparseL35csr2bsr_block_dim_equals_one_kernelILj256EfilEEvT2_S1_S1_S1_21rocsparse_index_base_PKT0_PKT1_PKS1_S2_PS3_PS6_PS1_, .Lfunc_end54-_ZN9rocsparseL35csr2bsr_block_dim_equals_one_kernelILj256EfilEEvT2_S1_S1_S1_21rocsparse_index_base_PKT0_PKT1_PKS1_S2_PS3_PS6_PS1_
                                        ; -- End function
	.set _ZN9rocsparseL35csr2bsr_block_dim_equals_one_kernelILj256EfilEEvT2_S1_S1_S1_21rocsparse_index_base_PKT0_PKT1_PKS1_S2_PS3_PS6_PS1_.num_vgpr, 4
	.set _ZN9rocsparseL35csr2bsr_block_dim_equals_one_kernelILj256EfilEEvT2_S1_S1_S1_21rocsparse_index_base_PKT0_PKT1_PKS1_S2_PS3_PS6_PS1_.num_agpr, 0
	.set _ZN9rocsparseL35csr2bsr_block_dim_equals_one_kernelILj256EfilEEvT2_S1_S1_S1_21rocsparse_index_base_PKT0_PKT1_PKS1_S2_PS3_PS6_PS1_.numbered_sgpr, 15
	.set _ZN9rocsparseL35csr2bsr_block_dim_equals_one_kernelILj256EfilEEvT2_S1_S1_S1_21rocsparse_index_base_PKT0_PKT1_PKS1_S2_PS3_PS6_PS1_.num_named_barrier, 0
	.set _ZN9rocsparseL35csr2bsr_block_dim_equals_one_kernelILj256EfilEEvT2_S1_S1_S1_21rocsparse_index_base_PKT0_PKT1_PKS1_S2_PS3_PS6_PS1_.private_seg_size, 0
	.set _ZN9rocsparseL35csr2bsr_block_dim_equals_one_kernelILj256EfilEEvT2_S1_S1_S1_21rocsparse_index_base_PKT0_PKT1_PKS1_S2_PS3_PS6_PS1_.uses_vcc, 1
	.set _ZN9rocsparseL35csr2bsr_block_dim_equals_one_kernelILj256EfilEEvT2_S1_S1_S1_21rocsparse_index_base_PKT0_PKT1_PKS1_S2_PS3_PS6_PS1_.uses_flat_scratch, 0
	.set _ZN9rocsparseL35csr2bsr_block_dim_equals_one_kernelILj256EfilEEvT2_S1_S1_S1_21rocsparse_index_base_PKT0_PKT1_PKS1_S2_PS3_PS6_PS1_.has_dyn_sized_stack, 0
	.set _ZN9rocsparseL35csr2bsr_block_dim_equals_one_kernelILj256EfilEEvT2_S1_S1_S1_21rocsparse_index_base_PKT0_PKT1_PKS1_S2_PS3_PS6_PS1_.has_recursion, 0
	.set _ZN9rocsparseL35csr2bsr_block_dim_equals_one_kernelILj256EfilEEvT2_S1_S1_S1_21rocsparse_index_base_PKT0_PKT1_PKS1_S2_PS3_PS6_PS1_.has_indirect_call, 0
	.section	.AMDGPU.csdata,"",@progbits
; Kernel info:
; codeLenInByte = 300
; TotalNumSgprs: 17
; NumVgprs: 4
; ScratchSize: 0
; MemoryBound: 0
; FloatMode: 240
; IeeeMode: 1
; LDSByteSize: 0 bytes/workgroup (compile time only)
; SGPRBlocks: 0
; VGPRBlocks: 0
; NumSGPRsForWavesPerEU: 17
; NumVGPRsForWavesPerEU: 4
; NamedBarCnt: 0
; Occupancy: 16
; WaveLimiterHint : 0
; COMPUTE_PGM_RSRC2:SCRATCH_EN: 0
; COMPUTE_PGM_RSRC2:USER_SGPR: 2
; COMPUTE_PGM_RSRC2:TRAP_HANDLER: 0
; COMPUTE_PGM_RSRC2:TGID_X_EN: 1
; COMPUTE_PGM_RSRC2:TGID_Y_EN: 0
; COMPUTE_PGM_RSRC2:TGID_Z_EN: 0
; COMPUTE_PGM_RSRC2:TIDIG_COMP_CNT: 0
	.section	.text._ZN9rocsparseL42csr2bsr_wavefront_per_row_multipass_kernelILj256ELj16ELj4EfilEEv20rocsparse_direction_T4_S2_S2_S2_S2_21rocsparse_index_base_PKT2_PKT3_PKS2_S3_PS4_PS7_PS2_,"axG",@progbits,_ZN9rocsparseL42csr2bsr_wavefront_per_row_multipass_kernelILj256ELj16ELj4EfilEEv20rocsparse_direction_T4_S2_S2_S2_S2_21rocsparse_index_base_PKT2_PKT3_PKS2_S3_PS4_PS7_PS2_,comdat
	.globl	_ZN9rocsparseL42csr2bsr_wavefront_per_row_multipass_kernelILj256ELj16ELj4EfilEEv20rocsparse_direction_T4_S2_S2_S2_S2_21rocsparse_index_base_PKT2_PKT3_PKS2_S3_PS4_PS7_PS2_ ; -- Begin function _ZN9rocsparseL42csr2bsr_wavefront_per_row_multipass_kernelILj256ELj16ELj4EfilEEv20rocsparse_direction_T4_S2_S2_S2_S2_21rocsparse_index_base_PKT2_PKT3_PKS2_S3_PS4_PS7_PS2_
	.p2align	8
	.type	_ZN9rocsparseL42csr2bsr_wavefront_per_row_multipass_kernelILj256ELj16ELj4EfilEEv20rocsparse_direction_T4_S2_S2_S2_S2_21rocsparse_index_base_PKT2_PKT3_PKS2_S3_PS4_PS7_PS2_,@function
_ZN9rocsparseL42csr2bsr_wavefront_per_row_multipass_kernelILj256ELj16ELj4EfilEEv20rocsparse_direction_T4_S2_S2_S2_S2_21rocsparse_index_base_PKT2_PKT3_PKS2_S3_PS4_PS7_PS2_: ; @_ZN9rocsparseL42csr2bsr_wavefront_per_row_multipass_kernelILj256ELj16ELj4EfilEEv20rocsparse_direction_T4_S2_S2_S2_S2_21rocsparse_index_base_PKT2_PKT3_PKS2_S3_PS4_PS7_PS2_
; %bb.0:
	s_bfe_u32 s2, ttmp6, 0x4000c
	s_clause 0x1
	s_load_b96 s[8:10], s[0:1], 0x28
	s_load_b64 s[14:15], s[0:1], 0x40
	s_add_co_i32 s2, s2, 1
	s_and_b32 s3, ttmp6, 15
	s_mul_i32 s2, ttmp9, s2
	s_getreg_b32 s4, hwreg(HW_REG_IB_STS2, 6, 4)
	s_add_co_i32 s3, s3, s2
	s_cmp_eq_u32 s4, 0
	v_dual_mov_b32 v23, 0 :: v_dual_lshrrev_b32 v22, 4, v0
	s_cselect_b32 s12, ttmp9, s3
	v_bfe_u32 v8, v0, 2, 2
	s_ashr_i32 s13, s12, 31
	v_mov_b32_e32 v14, 0
	s_lshl_b64 s[2:3], s[12:13], 4
	s_delay_alu instid0(SALU_CYCLE_1) | instskip(SKIP_2) | instid1(VALU_DEP_1)
	v_dual_mov_b32 v9, v23 :: v_dual_bitop2_b32 v1, s2, v22 bitop3:0x54
	s_load_b128 s[4:7], s[0:1], 0x18
	s_wait_kmcnt 0x0
	v_mad_nc_u64_u32 v[2:3], v1, s8, v[8:9]
	s_delay_alu instid0(VALU_DEP_1) | instskip(SKIP_1) | instid1(VALU_DEP_1)
	v_mad_u32 v3, s3, s8, v3
	s_load_b64 s[2:3], s[0:1], 0x8
	v_mad_u32 v3, v1, s9, v3
	s_wait_kmcnt 0x0
	s_delay_alu instid0(VALU_DEP_1) | instskip(SKIP_2) | instid1(SALU_CYCLE_1)
	v_cmp_gt_i64_e32 vcc_lo, s[2:3], v[2:3]
	v_cmp_gt_i64_e64 s2, s[8:9], v[8:9]
	s_and_b32 s3, s2, vcc_lo
	s_and_saveexec_b32 s11, s3
	s_cbranch_execz .LBB55_2
; %bb.1:
	v_lshl_add_u64 v[4:5], v[2:3], 2, s[14:15]
	global_load_b32 v1, v[4:5], off
	s_wait_loadcnt 0x0
	v_subrev_nc_u32_e32 v14, s10, v1
.LBB55_2:
	s_or_b32 exec_lo, exec_lo, s11
	s_and_saveexec_b32 s11, s3
	s_cbranch_execz .LBB55_4
; %bb.3:
	v_lshl_add_u64 v[2:3], v[2:3], 2, s[14:15]
	global_load_b32 v1, v[2:3], off offset:4
	s_wait_loadcnt 0x0
	v_subrev_nc_u32_e32 v23, s10, v1
.LBB55_4:
	s_or_b32 exec_lo, exec_lo, s11
	s_load_b32 s22, s[0:1], 0x50
	v_mov_b32_e32 v5, 0
	v_lshl_or_b32 v4, s12, 4, v22
	s_mov_b32 s3, exec_lo
	s_delay_alu instid0(VALU_DEP_2) | instskip(NEXT) | instid1(VALU_DEP_2)
	v_mov_b32_e32 v2, v5
	v_cmpx_gt_i64_e64 s[4:5], v[4:5]
	s_cbranch_execz .LBB55_6
; %bb.5:
	s_load_b64 s[4:5], s[0:1], 0x60
	s_wait_kmcnt 0x0
	v_lshl_add_u64 v[2:3], v[4:5], 2, s[4:5]
	global_load_b32 v1, v[2:3], off
	s_wait_loadcnt 0x0
	v_subrev_nc_u32_e32 v2, s22, v1
.LBB55_6:
	s_or_b32 exec_lo, exec_lo, s3
	v_cmp_lt_i64_e64 s3, s[6:7], 1
	s_and_b32 vcc_lo, exec_lo, s3
	s_cbranch_vccnz .LBB55_28
; %bb.7:
	v_dual_mov_b32 v4, 0 :: v_dual_bitop2_b32 v6, 3, v0 bitop3:0x40
	v_mul_u64_e32 v[10:11], s[8:9], v[8:9]
	s_clause 0x3
	s_load_b64 s[14:15], s[0:1], 0x48
	s_load_b64 s[18:19], s[0:1], 0x58
	s_load_b64 s[16:17], s[0:1], 0x38
	s_load_b32 s3, s[0:1], 0x0
	v_and_b32_e32 v0, 0x3f0, v0
	v_dual_mov_b32 v7, v4 :: v_dual_lshlrev_b32 v1, 4, v8
	v_mbcnt_lo_u32_b32 v3, -1, 0
	s_load_b64 s[4:5], s[0:1], 0x68
	v_lshlrev_b32_e32 v8, 2, v8
	s_delay_alu instid0(VALU_DEP_3) | instskip(SKIP_4) | instid1(VALU_DEP_3)
	v_mul_u64_e32 v[12:13], s[8:9], v[6:7]
	v_lshl_or_b32 v24, v0, 2, v1
	v_dual_lshlrev_b32 v16, 2, v3 :: v_dual_bitop2_b32 v5, 2, v3 bitop3:0x14
	v_dual_mov_b32 v1, v4 :: v_dual_bitop2_b32 v17, 8, v3 bitop3:0x14
	v_dual_mov_b32 v9, v4 :: v_dual_bitop2_b32 v15, 1, v3 bitop3:0x14
	v_cmp_gt_i32_e32 vcc_lo, 32, v5
	v_xor_b32_e32 v18, 4, v3
	s_wait_xcnt 0x0
	v_cmp_gt_i32_e64 s0, 32, v17
	v_dual_lshlrev_b32 v0, 2, v6 :: v_dual_bitop2_b32 v26, 12, v16 bitop3:0x54
	v_cndmask_b32_e32 v5, v3, v5, vcc_lo
	v_cmp_gt_i32_e32 vcc_lo, 32, v15
	s_delay_alu instid0(VALU_DEP_4) | instskip(SKIP_4) | instid1(VALU_DEP_4)
	v_cndmask_b32_e64 v17, v3, v17, s0
	v_cmp_gt_i32_e64 s0, 32, v18
	v_dual_mov_b32 v31, 1 :: v_dual_bitop2_b32 v25, v24, v0 bitop3:0x54
	v_cndmask_b32_e32 v15, v3, v15, vcc_lo
	v_cmp_gt_u64_e32 vcc_lo, s[8:9], v[6:7]
	v_dual_cndmask_b32 v3, v3, v18, s0 :: v_dual_lshlrev_b32 v7, 2, v5
	s_delay_alu instid0(VALU_DEP_3) | instskip(SKIP_2) | instid1(VALU_DEP_3)
	v_dual_lshlrev_b32 v28, 2, v17 :: v_dual_lshlrev_b32 v27, 2, v15
	s_wait_kmcnt 0x0
	v_lshl_add_u64 v[10:11], v[10:11], 2, s[18:19]
	v_dual_lshlrev_b32 v29, 2, v3 :: v_dual_bitop2_b32 v30, 60, v16 bitop3:0x54
	v_mov_b32_e32 v3, 0
	s_mov_b32 s1, 0
	s_delay_alu instid0(VALU_DEP_3)
	v_add_nc_u64_e32 v[0:1], v[10:11], v[0:1]
	s_cmp_lg_u32 s3, 0
	v_lshl_add_u64 v[12:13], v[12:13], 2, s[18:19]
	s_mul_u64 s[12:13], s[8:9], s[8:9]
	s_mov_b32 s11, s1
	s_cselect_b32 s23, -1, 0
	s_and_b32 s24, s2, vcc_lo
	v_add_nc_u64_e32 v[8:9], v[12:13], v[8:9]
	v_mov_b64_e32 v[12:13], 0
	s_mov_b64 s[2:3], 0xffffffff
	s_ashr_i32 s18, s9, 31
	s_sub_co_i32 s25, 0, s8
	s_mov_b32 s26, 0
	s_branch .LBB55_10
.LBB55_8:                               ;   in Loop: Header=BB55_10 Depth=1
	s_wait_xcnt 0x0
	s_or_b32 exec_lo, exec_lo, s19
	v_mov_b32_e32 v5, 1
.LBB55_9:                               ;   in Loop: Header=BB55_10 Depth=1
	s_or_b32 exec_lo, exec_lo, s0
	ds_bpermute_b32 v12, v28, v10
	ds_bpermute_b32 v13, v28, v11
	s_wait_storecnt_dscnt 0x0
	v_add_nc_u32_e32 v2, v5, v2
	v_min_i64 v[10:11], v[12:13], v[10:11]
	ds_bpermute_b32 v12, v29, v10
	ds_bpermute_b32 v13, v29, v11
	s_wait_dscnt 0x0
	v_min_i64 v[10:11], v[12:13], v[10:11]
	ds_bpermute_b32 v12, v7, v10
	ds_bpermute_b32 v13, v7, v11
	s_wait_dscnt 0x0
	;; [unrolled: 4-line block ×3, first 2 shown]
	v_min_i64 v[10:11], v[12:13], v[10:11]
	ds_bpermute_b32 v12, v30, v10
	s_wait_dscnt 0x0
	v_dual_ashrrev_i32 v13, 31, v12 :: v_dual_mov_b32 v3, v12
	s_delay_alu instid0(VALU_DEP_1) | instskip(SKIP_1) | instid1(SALU_CYCLE_1)
	v_cmp_le_i64_e32 vcc_lo, s[6:7], v[12:13]
	s_or_b32 s26, vcc_lo, s26
	s_and_not1_b32 exec_lo, exec_lo, s26
	s_cbranch_execz .LBB55_28
.LBB55_10:                              ; =>This Loop Header: Depth=1
                                        ;     Child Loop BB55_13 Depth 2
	v_mov_b64_e32 v[10:11], s[6:7]
	v_dual_mov_b32 v5, v23 :: v_dual_add_nc_u32 v14, v14, v6
	s_mov_b32 s27, exec_lo
	ds_store_b8 v22, v4 offset:1024
	ds_store_b32 v25, v4
	s_wait_dscnt 0x0
	v_cmpx_lt_i32_e64 v14, v23
	s_cbranch_execz .LBB55_22
; %bb.11:                               ;   in Loop: Header=BB55_10 Depth=1
	v_mul_u64_e32 v[16:17], s[8:9], v[12:13]
	v_mov_b64_e32 v[10:11], s[6:7]
	v_mov_b32_e32 v17, v23
	s_mov_b32 s28, 0
	s_branch .LBB55_13
.LBB55_12:                              ;   in Loop: Header=BB55_13 Depth=2
	s_wait_xcnt 0x0
	s_or_b32 exec_lo, exec_lo, s0
	v_dual_mov_b32 v17, v5 :: v_dual_add_nc_u32 v14, 4, v14
	s_xor_b32 s19, vcc_lo, -1
	s_delay_alu instid0(VALU_DEP_1) | instskip(SKIP_1) | instid1(SALU_CYCLE_1)
	v_cmp_ge_i32_e64 s0, v14, v23
	s_or_b32 s0, s19, s0
	s_and_b32 s0, exec_lo, s0
	s_delay_alu instid0(SALU_CYCLE_1) | instskip(NEXT) | instid1(SALU_CYCLE_1)
	s_or_b32 s28, s0, s28
	s_and_not1_b32 exec_lo, exec_lo, s28
	s_cbranch_execz .LBB55_21
.LBB55_13:                              ;   Parent Loop BB55_10 Depth=1
                                        ; =>  This Inner Loop Header: Depth=2
	global_load_b64 v[18:19], v14, s[14:15] scale_offset
                                        ; implicit-def: $vgpr20_vgpr21
	s_mov_b32 s0, exec_lo
	s_wait_loadcnt 0x0
	v_sub_nc_u64_e64 v[18:19], v[18:19], s[10:11]
	s_delay_alu instid0(VALU_DEP_1) | instskip(SKIP_1) | instid1(VALU_DEP_1)
	v_or_b32_e32 v5, s9, v19
	s_wait_xcnt 0x0
	v_cmpx_ne_u64_e32 0, v[4:5]
	s_xor_b32 s29, exec_lo, s0
	s_cbranch_execz .LBB55_15
; %bb.14:                               ;   in Loop: Header=BB55_13 Depth=2
	s_mov_b32 s19, s18
	v_dual_mov_b32 v35, v4 :: v_dual_ashrrev_i32 v20, 31, v19
	s_add_nc_u64 s[20:21], s[8:9], s[18:19]
	v_mov_b32_e32 v39, v4
	s_xor_b64 s[20:21], s[20:21], s[18:19]
	s_delay_alu instid0(VALU_DEP_2)
	v_mov_b32_e32 v21, v20
	s_cvt_f32_u32 s0, s20
	s_cvt_f32_u32 s19, s21
	s_sub_nc_u64 s[34:35], 0, s[20:21]
	v_mov_b32_e32 v43, v4
	v_add_nc_u64_e32 v[32:33], v[18:19], v[20:21]
	s_fmamk_f32 s0, s19, 0x4f800000, s0
	s_delay_alu instid0(SALU_CYCLE_3) | instskip(NEXT) | instid1(VALU_DEP_1)
	v_s_rcp_f32 s0, s0
	v_xor_b32_e32 v38, v33, v20
	s_delay_alu instid0(VALU_DEP_2) | instskip(SKIP_1) | instid1(TRANS32_DEP_1)
	v_xor_b32_e32 v34, v32, v20
	v_xor_b32_e32 v20, s18, v20
	s_mul_f32 s0, s0, 0x5f7ffffc
	s_delay_alu instid0(SALU_CYCLE_3) | instskip(NEXT) | instid1(SALU_CYCLE_3)
	s_mul_f32 s19, s0, 0x2f800000
	s_trunc_f32 s19, s19
	s_delay_alu instid0(SALU_CYCLE_3) | instskip(SKIP_1) | instid1(SALU_CYCLE_2)
	s_fmamk_f32 s0, s19, 0xcf800000, s0
	s_cvt_u32_f32 s31, s19
	s_cvt_u32_f32 s30, s0
	s_delay_alu instid0(SALU_CYCLE_3) | instskip(NEXT) | instid1(SALU_CYCLE_1)
	s_mul_u64 s[36:37], s[34:35], s[30:31]
	s_mul_hi_u32 s39, s30, s37
	s_mul_i32 s38, s30, s37
	s_mul_hi_u32 s0, s30, s36
	s_mul_i32 s33, s31, s36
	s_add_nc_u64 s[38:39], s[0:1], s[38:39]
	s_mul_hi_u32 s19, s31, s36
	s_mul_hi_u32 s40, s31, s37
	s_add_co_u32 s0, s38, s33
	s_add_co_ci_u32 s0, s39, s19
	s_mul_i32 s36, s31, s37
	s_add_co_ci_u32 s37, s40, 0
	s_delay_alu instid0(SALU_CYCLE_1) | instskip(NEXT) | instid1(SALU_CYCLE_1)
	s_add_nc_u64 s[36:37], s[0:1], s[36:37]
	s_add_co_u32 s30, s30, s36
	s_cselect_b32 s0, -1, 0
	s_delay_alu instid0(SALU_CYCLE_1) | instskip(SKIP_1) | instid1(SALU_CYCLE_1)
	s_cmp_lg_u32 s0, 0
	s_add_co_ci_u32 s31, s31, s37
	s_mul_u64 s[34:35], s[34:35], s[30:31]
	s_delay_alu instid0(SALU_CYCLE_1)
	s_mul_hi_u32 s37, s30, s35
	s_mul_i32 s36, s30, s35
	s_mul_hi_u32 s0, s30, s34
	s_mul_i32 s33, s31, s34
	s_add_nc_u64 s[36:37], s[0:1], s[36:37]
	s_mul_hi_u32 s19, s31, s34
	s_mul_hi_u32 s38, s31, s35
	s_add_co_u32 s0, s36, s33
	s_add_co_ci_u32 s0, s37, s19
	s_mul_i32 s34, s31, s35
	s_add_co_ci_u32 s35, s38, 0
	s_delay_alu instid0(SALU_CYCLE_1) | instskip(NEXT) | instid1(SALU_CYCLE_1)
	s_add_nc_u64 s[34:35], s[0:1], s[34:35]
	s_add_co_u32 s30, s30, s34
	s_cselect_b32 s0, -1, 0
	v_mul_hi_u32 v42, v34, s30
	s_cmp_lg_u32 s0, 0
	s_add_co_ci_u32 s0, s31, s35
	s_and_b64 s[34:35], s[30:31], s[2:3]
	v_mul_u64_e32 v[36:37], s[0:1], v[34:35]
	v_mul_u64_e32 v[32:33], s[34:35], v[38:39]
	;; [unrolled: 1-line block ×3, first 2 shown]
	s_delay_alu instid0(VALU_DEP_3) | instskip(NEXT) | instid1(VALU_DEP_1)
	v_add_nc_u64_e32 v[36:37], v[42:43], v[36:37]
	v_add_co_u32 v5, vcc_lo, v36, v32
	s_delay_alu instid0(VALU_DEP_2) | instskip(NEXT) | instid1(VALU_DEP_4)
	v_add_co_ci_u32_e32 v42, vcc_lo, v37, v33, vcc_lo
	v_add_co_ci_u32_e32 v41, vcc_lo, 0, v41, vcc_lo
	s_delay_alu instid0(VALU_DEP_1) | instskip(NEXT) | instid1(VALU_DEP_1)
	v_add_nc_u64_e32 v[32:33], v[42:43], v[40:41]
	v_mul_u64_e32 v[36:37], s[20:21], v[32:33]
	s_delay_alu instid0(VALU_DEP_1) | instskip(NEXT) | instid1(VALU_DEP_2)
	v_sub_nc_u32_e32 v5, v38, v37
	v_sub_co_u32 v15, vcc_lo, v34, v36
	s_delay_alu instid0(VALU_DEP_1) | instskip(NEXT) | instid1(VALU_DEP_3)
	v_sub_co_ci_u32_e64 v21, null, v38, v37, vcc_lo
	v_subrev_co_ci_u32_e64 v5, null, s21, v5, vcc_lo
	s_delay_alu instid0(VALU_DEP_3) | instskip(SKIP_1) | instid1(VALU_DEP_3)
	v_sub_co_u32 v19, s0, v15, s20
	v_add_nc_u64_e32 v[36:37], 1, v[32:33]
	v_subrev_co_ci_u32_e64 v5, null, 0, v5, s0
	s_delay_alu instid0(VALU_DEP_3) | instskip(SKIP_1) | instid1(VALU_DEP_3)
	v_cmp_le_u32_e32 vcc_lo, s20, v19
	v_cndmask_b32_e64 v19, 0, -1, vcc_lo
	v_cmp_le_u32_e32 vcc_lo, s21, v5
	v_cndmask_b32_e64 v34, 0, -1, vcc_lo
	;; [unrolled: 2-line block ×4, first 2 shown]
	v_cmp_eq_u32_e32 vcc_lo, s21, v5
	v_cndmask_b32_e32 v5, v34, v19, vcc_lo
	v_cmp_eq_u32_e32 vcc_lo, s21, v21
	v_add_nc_u64_e32 v[34:35], 2, v[32:33]
	v_dual_mov_b32 v21, v20 :: v_dual_cndmask_b32 v15, v38, v15, vcc_lo
	s_delay_alu instid0(VALU_DEP_4) | instskip(NEXT) | instid1(VALU_DEP_2)
	v_cmp_ne_u32_e32 vcc_lo, 0, v5
	v_cmp_ne_u32_e64 s0, 0, v15
	s_delay_alu instid0(VALU_DEP_4) | instskip(NEXT) | instid1(VALU_DEP_1)
	v_dual_cndmask_b32 v5, v37, v35, vcc_lo :: v_dual_cndmask_b32 v15, v36, v34, vcc_lo
	v_dual_cndmask_b32 v5, v33, v5, s0 :: v_dual_cndmask_b32 v15, v32, v15, s0
	s_delay_alu instid0(VALU_DEP_1) | instskip(NEXT) | instid1(VALU_DEP_2)
	v_xor_b32_e32 v33, v5, v20
	v_xor_b32_e32 v32, v15, v20
	s_delay_alu instid0(VALU_DEP_1)
	v_sub_nc_u64_e32 v[20:21], v[32:33], v[20:21]
.LBB55_15:                              ;   in Loop: Header=BB55_13 Depth=2
	s_and_not1_saveexec_b32 s0, s29
	s_cbranch_execz .LBB55_17
; %bb.16:                               ;   in Loop: Header=BB55_13 Depth=2
	v_cvt_f32_u32_e32 v5, s8
	v_mov_b32_e32 v21, v4
	s_delay_alu instid0(VALU_DEP_2) | instskip(SKIP_1) | instid1(TRANS32_DEP_1)
	v_rcp_iflag_f32_e32 v5, v5
	v_nop
	v_mul_f32_e32 v5, 0x4f7ffffe, v5
	s_delay_alu instid0(VALU_DEP_1) | instskip(NEXT) | instid1(VALU_DEP_1)
	v_cvt_u32_f32_e32 v5, v5
	v_mul_lo_u32 v15, s25, v5
	s_delay_alu instid0(VALU_DEP_1) | instskip(NEXT) | instid1(VALU_DEP_1)
	v_mul_hi_u32 v15, v5, v15
	v_add_nc_u32_e32 v5, v5, v15
	s_delay_alu instid0(VALU_DEP_1) | instskip(NEXT) | instid1(VALU_DEP_1)
	v_mul_hi_u32 v5, v18, v5
	v_mul_lo_u32 v15, v5, s8
	s_delay_alu instid0(VALU_DEP_1) | instskip(NEXT) | instid1(VALU_DEP_1)
	v_sub_nc_u32_e32 v15, v18, v15
	v_subrev_nc_u32_e32 v20, s8, v15
	v_cmp_le_u32_e32 vcc_lo, s8, v15
	s_delay_alu instid0(VALU_DEP_2) | instskip(NEXT) | instid1(VALU_DEP_1)
	v_dual_add_nc_u32 v19, 1, v5 :: v_dual_cndmask_b32 v15, v15, v20, vcc_lo
	v_cndmask_b32_e32 v5, v5, v19, vcc_lo
	s_delay_alu instid0(VALU_DEP_2) | instskip(NEXT) | instid1(VALU_DEP_2)
	v_cmp_le_u32_e32 vcc_lo, s8, v15
	v_add_nc_u32_e32 v19, 1, v5
	s_delay_alu instid0(VALU_DEP_1)
	v_cndmask_b32_e32 v20, v5, v19, vcc_lo
.LBB55_17:                              ;   in Loop: Header=BB55_13 Depth=2
	s_or_b32 exec_lo, exec_lo, s0
	s_delay_alu instid0(VALU_DEP_1) | instskip(SKIP_2) | instid1(SALU_CYCLE_1)
	v_cmp_ne_u64_e64 s0, v[20:21], v[12:13]
	v_cmp_eq_u64_e32 vcc_lo, v[20:21], v[12:13]
	s_and_saveexec_b32 s19, s0
	s_xor_b32 s0, exec_lo, s19
; %bb.18:                               ;   in Loop: Header=BB55_13 Depth=2
	v_min_i64 v[10:11], v[20:21], v[10:11]
                                        ; implicit-def: $vgpr18_vgpr19
                                        ; implicit-def: $vgpr17
; %bb.19:                               ;   in Loop: Header=BB55_13 Depth=2
	s_or_saveexec_b32 s0, s0
	v_mov_b32_e32 v5, v14
	s_xor_b32 exec_lo, exec_lo, s0
	s_cbranch_execz .LBB55_12
; %bb.20:                               ;   in Loop: Header=BB55_13 Depth=2
	v_dual_ashrrev_i32 v15, 31, v14 :: v_dual_sub_nc_u32 v5, v18, v16
	s_delay_alu instid0(VALU_DEP_1) | instskip(NEXT) | instid1(VALU_DEP_2)
	v_lshl_add_u64 v[20:21], v[14:15], 2, s[16:17]
	v_lshl_add_u32 v18, v5, 2, v24
	v_mov_b32_e32 v5, v17
	global_load_b32 v15, v[20:21], off
	ds_store_b8 v22, v31 offset:1024
	s_wait_loadcnt 0x0
	ds_store_b32 v18, v15
	s_branch .LBB55_12
.LBB55_21:                              ;   in Loop: Header=BB55_10 Depth=1
	s_or_b32 exec_lo, exec_lo, s28
.LBB55_22:                              ;   in Loop: Header=BB55_10 Depth=1
	s_delay_alu instid0(SALU_CYCLE_1)
	s_or_b32 exec_lo, exec_lo, s27
	ds_bpermute_b32 v12, v7, v5
	s_wait_dscnt 0x0
	ds_load_u8 v13, v22 offset:1024
	v_min_i32_e32 v5, v12, v5
	ds_bpermute_b32 v12, v27, v5
	s_wait_dscnt 0x0
	v_min_i32_e32 v5, v12, v5
	ds_bpermute_b32 v14, v26, v5
	v_and_b32_e32 v5, 1, v13
	s_delay_alu instid0(VALU_DEP_1)
	v_cmp_eq_u32_e32 vcc_lo, 1, v5
	v_mov_b32_e32 v5, 0
	s_and_saveexec_b32 s0, vcc_lo
	s_cbranch_execz .LBB55_9
; %bb.23:                               ;   in Loop: Header=BB55_10 Depth=1
	v_add_nc_u32_e32 v12, s22, v3
	s_delay_alu instid0(VALU_DEP_1)
	v_ashrrev_i32_e32 v13, 31, v12
	global_store_b64 v2, v[12:13], s[4:5] scale_offset
	s_wait_xcnt 0x0
	s_and_saveexec_b32 s19, s24
	s_cbranch_execz .LBB55_8
; %bb.24:                               ;   in Loop: Header=BB55_10 Depth=1
	v_ashrrev_i32_e32 v3, 31, v2
	s_and_b32 vcc_lo, exec_lo, s23
	s_delay_alu instid0(VALU_DEP_1)
	v_mul_u64_e32 v[12:13], s[12:13], v[2:3]
	ds_load_b32 v3, v25
	s_cbranch_vccz .LBB55_26
; %bb.25:                               ;   in Loop: Header=BB55_10 Depth=1
	v_lshl_add_u64 v[16:17], v[12:13], 2, v[8:9]
	s_wait_dscnt 0x0
	global_store_b32 v[16:17], v3, off
	s_cbranch_execnz .LBB55_8
	s_branch .LBB55_27
.LBB55_26:                              ;   in Loop: Header=BB55_10 Depth=1
.LBB55_27:                              ;   in Loop: Header=BB55_10 Depth=1
	v_lshl_add_u64 v[12:13], v[12:13], 2, v[0:1]
	s_wait_dscnt 0x0
	global_store_b32 v[12:13], v3, off
	s_branch .LBB55_8
.LBB55_28:
	s_endpgm
	.section	.rodata,"a",@progbits
	.p2align	6, 0x0
	.amdhsa_kernel _ZN9rocsparseL42csr2bsr_wavefront_per_row_multipass_kernelILj256ELj16ELj4EfilEEv20rocsparse_direction_T4_S2_S2_S2_S2_21rocsparse_index_base_PKT2_PKT3_PKS2_S3_PS4_PS7_PS2_
		.amdhsa_group_segment_fixed_size 1040
		.amdhsa_private_segment_fixed_size 0
		.amdhsa_kernarg_size 112
		.amdhsa_user_sgpr_count 2
		.amdhsa_user_sgpr_dispatch_ptr 0
		.amdhsa_user_sgpr_queue_ptr 0
		.amdhsa_user_sgpr_kernarg_segment_ptr 1
		.amdhsa_user_sgpr_dispatch_id 0
		.amdhsa_user_sgpr_kernarg_preload_length 0
		.amdhsa_user_sgpr_kernarg_preload_offset 0
		.amdhsa_user_sgpr_private_segment_size 0
		.amdhsa_wavefront_size32 1
		.amdhsa_uses_dynamic_stack 0
		.amdhsa_enable_private_segment 0
		.amdhsa_system_sgpr_workgroup_id_x 1
		.amdhsa_system_sgpr_workgroup_id_y 0
		.amdhsa_system_sgpr_workgroup_id_z 0
		.amdhsa_system_sgpr_workgroup_info 0
		.amdhsa_system_vgpr_workitem_id 0
		.amdhsa_next_free_vgpr 44
		.amdhsa_next_free_sgpr 41
		.amdhsa_named_barrier_count 0
		.amdhsa_reserve_vcc 1
		.amdhsa_float_round_mode_32 0
		.amdhsa_float_round_mode_16_64 0
		.amdhsa_float_denorm_mode_32 3
		.amdhsa_float_denorm_mode_16_64 3
		.amdhsa_fp16_overflow 0
		.amdhsa_memory_ordered 1
		.amdhsa_forward_progress 1
		.amdhsa_inst_pref_size 17
		.amdhsa_round_robin_scheduling 0
		.amdhsa_exception_fp_ieee_invalid_op 0
		.amdhsa_exception_fp_denorm_src 0
		.amdhsa_exception_fp_ieee_div_zero 0
		.amdhsa_exception_fp_ieee_overflow 0
		.amdhsa_exception_fp_ieee_underflow 0
		.amdhsa_exception_fp_ieee_inexact 0
		.amdhsa_exception_int_div_zero 0
	.end_amdhsa_kernel
	.section	.text._ZN9rocsparseL42csr2bsr_wavefront_per_row_multipass_kernelILj256ELj16ELj4EfilEEv20rocsparse_direction_T4_S2_S2_S2_S2_21rocsparse_index_base_PKT2_PKT3_PKS2_S3_PS4_PS7_PS2_,"axG",@progbits,_ZN9rocsparseL42csr2bsr_wavefront_per_row_multipass_kernelILj256ELj16ELj4EfilEEv20rocsparse_direction_T4_S2_S2_S2_S2_21rocsparse_index_base_PKT2_PKT3_PKS2_S3_PS4_PS7_PS2_,comdat
.Lfunc_end55:
	.size	_ZN9rocsparseL42csr2bsr_wavefront_per_row_multipass_kernelILj256ELj16ELj4EfilEEv20rocsparse_direction_T4_S2_S2_S2_S2_21rocsparse_index_base_PKT2_PKT3_PKS2_S3_PS4_PS7_PS2_, .Lfunc_end55-_ZN9rocsparseL42csr2bsr_wavefront_per_row_multipass_kernelILj256ELj16ELj4EfilEEv20rocsparse_direction_T4_S2_S2_S2_S2_21rocsparse_index_base_PKT2_PKT3_PKS2_S3_PS4_PS7_PS2_
                                        ; -- End function
	.set _ZN9rocsparseL42csr2bsr_wavefront_per_row_multipass_kernelILj256ELj16ELj4EfilEEv20rocsparse_direction_T4_S2_S2_S2_S2_21rocsparse_index_base_PKT2_PKT3_PKS2_S3_PS4_PS7_PS2_.num_vgpr, 44
	.set _ZN9rocsparseL42csr2bsr_wavefront_per_row_multipass_kernelILj256ELj16ELj4EfilEEv20rocsparse_direction_T4_S2_S2_S2_S2_21rocsparse_index_base_PKT2_PKT3_PKS2_S3_PS4_PS7_PS2_.num_agpr, 0
	.set _ZN9rocsparseL42csr2bsr_wavefront_per_row_multipass_kernelILj256ELj16ELj4EfilEEv20rocsparse_direction_T4_S2_S2_S2_S2_21rocsparse_index_base_PKT2_PKT3_PKS2_S3_PS4_PS7_PS2_.numbered_sgpr, 41
	.set _ZN9rocsparseL42csr2bsr_wavefront_per_row_multipass_kernelILj256ELj16ELj4EfilEEv20rocsparse_direction_T4_S2_S2_S2_S2_21rocsparse_index_base_PKT2_PKT3_PKS2_S3_PS4_PS7_PS2_.num_named_barrier, 0
	.set _ZN9rocsparseL42csr2bsr_wavefront_per_row_multipass_kernelILj256ELj16ELj4EfilEEv20rocsparse_direction_T4_S2_S2_S2_S2_21rocsparse_index_base_PKT2_PKT3_PKS2_S3_PS4_PS7_PS2_.private_seg_size, 0
	.set _ZN9rocsparseL42csr2bsr_wavefront_per_row_multipass_kernelILj256ELj16ELj4EfilEEv20rocsparse_direction_T4_S2_S2_S2_S2_21rocsparse_index_base_PKT2_PKT3_PKS2_S3_PS4_PS7_PS2_.uses_vcc, 1
	.set _ZN9rocsparseL42csr2bsr_wavefront_per_row_multipass_kernelILj256ELj16ELj4EfilEEv20rocsparse_direction_T4_S2_S2_S2_S2_21rocsparse_index_base_PKT2_PKT3_PKS2_S3_PS4_PS7_PS2_.uses_flat_scratch, 0
	.set _ZN9rocsparseL42csr2bsr_wavefront_per_row_multipass_kernelILj256ELj16ELj4EfilEEv20rocsparse_direction_T4_S2_S2_S2_S2_21rocsparse_index_base_PKT2_PKT3_PKS2_S3_PS4_PS7_PS2_.has_dyn_sized_stack, 0
	.set _ZN9rocsparseL42csr2bsr_wavefront_per_row_multipass_kernelILj256ELj16ELj4EfilEEv20rocsparse_direction_T4_S2_S2_S2_S2_21rocsparse_index_base_PKT2_PKT3_PKS2_S3_PS4_PS7_PS2_.has_recursion, 0
	.set _ZN9rocsparseL42csr2bsr_wavefront_per_row_multipass_kernelILj256ELj16ELj4EfilEEv20rocsparse_direction_T4_S2_S2_S2_S2_21rocsparse_index_base_PKT2_PKT3_PKS2_S3_PS4_PS7_PS2_.has_indirect_call, 0
	.section	.AMDGPU.csdata,"",@progbits
; Kernel info:
; codeLenInByte = 2096
; TotalNumSgprs: 43
; NumVgprs: 44
; ScratchSize: 0
; MemoryBound: 0
; FloatMode: 240
; IeeeMode: 1
; LDSByteSize: 1040 bytes/workgroup (compile time only)
; SGPRBlocks: 0
; VGPRBlocks: 2
; NumSGPRsForWavesPerEU: 43
; NumVGPRsForWavesPerEU: 44
; NamedBarCnt: 0
; Occupancy: 16
; WaveLimiterHint : 0
; COMPUTE_PGM_RSRC2:SCRATCH_EN: 0
; COMPUTE_PGM_RSRC2:USER_SGPR: 2
; COMPUTE_PGM_RSRC2:TRAP_HANDLER: 0
; COMPUTE_PGM_RSRC2:TGID_X_EN: 1
; COMPUTE_PGM_RSRC2:TGID_Y_EN: 0
; COMPUTE_PGM_RSRC2:TGID_Z_EN: 0
; COMPUTE_PGM_RSRC2:TIDIG_COMP_CNT: 0
	.section	.text._ZN9rocsparseL42csr2bsr_wavefront_per_row_multipass_kernelILj256ELj64ELj8EfilEEv20rocsparse_direction_T4_S2_S2_S2_S2_21rocsparse_index_base_PKT2_PKT3_PKS2_S3_PS4_PS7_PS2_,"axG",@progbits,_ZN9rocsparseL42csr2bsr_wavefront_per_row_multipass_kernelILj256ELj64ELj8EfilEEv20rocsparse_direction_T4_S2_S2_S2_S2_21rocsparse_index_base_PKT2_PKT3_PKS2_S3_PS4_PS7_PS2_,comdat
	.globl	_ZN9rocsparseL42csr2bsr_wavefront_per_row_multipass_kernelILj256ELj64ELj8EfilEEv20rocsparse_direction_T4_S2_S2_S2_S2_21rocsparse_index_base_PKT2_PKT3_PKS2_S3_PS4_PS7_PS2_ ; -- Begin function _ZN9rocsparseL42csr2bsr_wavefront_per_row_multipass_kernelILj256ELj64ELj8EfilEEv20rocsparse_direction_T4_S2_S2_S2_S2_21rocsparse_index_base_PKT2_PKT3_PKS2_S3_PS4_PS7_PS2_
	.p2align	8
	.type	_ZN9rocsparseL42csr2bsr_wavefront_per_row_multipass_kernelILj256ELj64ELj8EfilEEv20rocsparse_direction_T4_S2_S2_S2_S2_21rocsparse_index_base_PKT2_PKT3_PKS2_S3_PS4_PS7_PS2_,@function
_ZN9rocsparseL42csr2bsr_wavefront_per_row_multipass_kernelILj256ELj64ELj8EfilEEv20rocsparse_direction_T4_S2_S2_S2_S2_21rocsparse_index_base_PKT2_PKT3_PKS2_S3_PS4_PS7_PS2_: ; @_ZN9rocsparseL42csr2bsr_wavefront_per_row_multipass_kernelILj256ELj64ELj8EfilEEv20rocsparse_direction_T4_S2_S2_S2_S2_21rocsparse_index_base_PKT2_PKT3_PKS2_S3_PS4_PS7_PS2_
; %bb.0:
	s_bfe_u32 s2, ttmp6, 0x4000c
	s_clause 0x1
	s_load_b96 s[8:10], s[0:1], 0x28
	s_load_b64 s[14:15], s[0:1], 0x40
	s_add_co_i32 s2, s2, 1
	s_and_b32 s3, ttmp6, 15
	s_mul_i32 s2, ttmp9, s2
	s_getreg_b32 s4, hwreg(HW_REG_IB_STS2, 6, 4)
	s_add_co_i32 s3, s3, s2
	s_cmp_eq_u32 s4, 0
	v_dual_mov_b32 v23, 0 :: v_dual_lshrrev_b32 v22, 6, v0
	s_cselect_b32 s12, ttmp9, s3
	v_bfe_u32 v8, v0, 3, 3
	s_ashr_i32 s13, s12, 31
	v_mov_b32_e32 v14, 0
	s_lshl_b64 s[2:3], s[12:13], 2
	s_delay_alu instid0(SALU_CYCLE_1) | instskip(SKIP_2) | instid1(VALU_DEP_1)
	v_dual_mov_b32 v9, v23 :: v_dual_bitop2_b32 v1, s2, v22 bitop3:0x54
	s_load_b128 s[4:7], s[0:1], 0x18
	s_wait_kmcnt 0x0
	v_mad_nc_u64_u32 v[2:3], v1, s8, v[8:9]
	s_delay_alu instid0(VALU_DEP_1) | instskip(SKIP_1) | instid1(VALU_DEP_1)
	v_mad_u32 v3, s3, s8, v3
	s_load_b64 s[2:3], s[0:1], 0x8
	v_mad_u32 v3, v1, s9, v3
	s_wait_kmcnt 0x0
	s_delay_alu instid0(VALU_DEP_1) | instskip(SKIP_2) | instid1(SALU_CYCLE_1)
	v_cmp_gt_i64_e32 vcc_lo, s[2:3], v[2:3]
	v_cmp_gt_i64_e64 s2, s[8:9], v[8:9]
	s_and_b32 s3, s2, vcc_lo
	s_and_saveexec_b32 s11, s3
	s_cbranch_execz .LBB56_2
; %bb.1:
	v_lshl_add_u64 v[4:5], v[2:3], 2, s[14:15]
	global_load_b32 v1, v[4:5], off
	s_wait_loadcnt 0x0
	v_subrev_nc_u32_e32 v14, s10, v1
.LBB56_2:
	s_or_b32 exec_lo, exec_lo, s11
	s_and_saveexec_b32 s11, s3
	s_cbranch_execz .LBB56_4
; %bb.3:
	v_lshl_add_u64 v[2:3], v[2:3], 2, s[14:15]
	global_load_b32 v1, v[2:3], off offset:4
	s_wait_loadcnt 0x0
	v_subrev_nc_u32_e32 v23, s10, v1
.LBB56_4:
	s_or_b32 exec_lo, exec_lo, s11
	s_load_b32 s22, s[0:1], 0x50
	v_mov_b32_e32 v5, 0
	v_lshl_or_b32 v4, s12, 2, v22
	s_mov_b32 s3, exec_lo
	s_delay_alu instid0(VALU_DEP_2) | instskip(NEXT) | instid1(VALU_DEP_2)
	v_mov_b32_e32 v2, v5
	v_cmpx_gt_i64_e64 s[4:5], v[4:5]
	s_cbranch_execz .LBB56_6
; %bb.5:
	s_load_b64 s[4:5], s[0:1], 0x60
	s_wait_kmcnt 0x0
	v_lshl_add_u64 v[2:3], v[4:5], 2, s[4:5]
	global_load_b32 v1, v[2:3], off
	s_wait_loadcnt 0x0
	v_subrev_nc_u32_e32 v2, s22, v1
.LBB56_6:
	s_or_b32 exec_lo, exec_lo, s3
	v_cmp_lt_i64_e64 s3, s[6:7], 1
	s_and_b32 vcc_lo, exec_lo, s3
	s_cbranch_vccnz .LBB56_28
; %bb.7:
	v_dual_mov_b32 v4, 0 :: v_dual_bitop2_b32 v6, 7, v0 bitop3:0x40
	v_and_b32_e32 v1, 0x3c0, v0
	v_mbcnt_lo_u32_b32 v5, -1, 0
	v_mul_u64_e32 v[10:11], s[8:9], v[8:9]
	s_delay_alu instid0(VALU_DEP_4)
	v_dual_mov_b32 v7, v4 :: v_dual_lshlrev_b32 v3, 5, v8
	s_clause 0x3
	s_load_b64 s[14:15], s[0:1], 0x48
	s_load_b64 s[18:19], s[0:1], 0x58
	;; [unrolled: 1-line block ×3, first 2 shown]
	s_load_b32 s3, s[0:1], 0x0
	v_dual_mov_b32 v9, v4 :: v_dual_bitop2_b32 v15, 2, v5 bitop3:0x14
	v_mul_u64_e32 v[12:13], s[8:9], v[6:7]
	v_lshl_or_b32 v24, v1, 2, v3
	v_dual_mov_b32 v1, v4 :: v_dual_bitop2_b32 v3, 4, v5 bitop3:0x14
	s_load_b64 s[4:5], s[0:1], 0x68
	v_dual_lshlrev_b32 v0, 2, v8 :: v_dual_lshlrev_b32 v8, 2, v6
	s_delay_alu instid0(VALU_DEP_2)
	v_cmp_gt_i32_e32 vcc_lo, 32, v3
	v_xor_b32_e32 v16, 1, v5
	v_lshl_or_b32 v25, v5, 2, 28
	v_bfrev_b32_e32 v32, 0.5
	s_wait_xcnt 0x0
	s_mov_b32 s1, 0
	v_cndmask_b32_e32 v3, v5, v3, vcc_lo
	v_cmp_gt_i32_e32 vcc_lo, 32, v15
	v_or_b32_e32 v17, 32, v5
	v_or_b32_e32 v26, v24, v8
	s_mul_u64 s[12:13], s[8:9], s[8:9]
	s_wait_kmcnt 0x0
	s_cmp_lg_u32 s3, 0
	v_cndmask_b32_e32 v15, v5, v15, vcc_lo
	v_cmp_gt_i32_e32 vcc_lo, 32, v16
	v_xor_b32_e32 v18, 16, v5
	v_cmp_gt_i32_e64 s0, 32, v17
	s_mov_b32 s11, s1
	s_cselect_b32 s23, -1, 0
	v_cndmask_b32_e32 v16, v5, v16, vcc_lo
	v_cmp_gt_u64_e32 vcc_lo, s[8:9], v[6:7]
	v_lshlrev_b32_e32 v7, 2, v3
	v_dual_lshlrev_b32 v27, 2, v15 :: v_dual_cndmask_b32 v15, v5, v17, s0
	v_cmp_gt_i32_e64 s0, 32, v18
	v_dual_lshlrev_b32 v28, 2, v16 :: v_dual_bitop2_b32 v3, 8, v5 bitop3:0x14
	v_lshl_add_u64 v[10:11], v[10:11], 2, s[18:19]
	v_lshl_add_u64 v[12:13], v[12:13], 2, s[18:19]
	s_delay_alu instid0(VALU_DEP_4) | instskip(NEXT) | instid1(VALU_DEP_4)
	v_cndmask_b32_e64 v16, v5, v18, s0
	v_cmp_gt_i32_e64 s0, 32, v3
	v_mov_b32_e32 v33, 1
	v_add_nc_u64_e32 v[8:9], v[10:11], v[8:9]
	v_add_nc_u64_e32 v[0:1], v[12:13], v[0:1]
	v_mov_b64_e32 v[12:13], 0
	v_cndmask_b32_e64 v3, v5, v3, s0
	v_dual_lshlrev_b32 v29, 2, v15 :: v_dual_lshlrev_b32 v30, 2, v16
	s_and_b32 s24, s2, vcc_lo
	s_mov_b64 s[2:3], 0xffffffff
	s_delay_alu instid0(VALU_DEP_2)
	v_dual_lshlrev_b32 v31, 2, v3 :: v_dual_mov_b32 v3, 0
	s_ashr_i32 s18, s9, 31
	s_sub_co_i32 s25, 0, s8
	s_mov_b32 s26, 0
	s_branch .LBB56_10
.LBB56_8:                               ;   in Loop: Header=BB56_10 Depth=1
	s_wait_xcnt 0x0
	s_or_b32 exec_lo, exec_lo, s19
	v_mov_b32_e32 v5, 1
.LBB56_9:                               ;   in Loop: Header=BB56_10 Depth=1
	s_or_b32 exec_lo, exec_lo, s0
	ds_bpermute_b32 v12, v29, v10
	ds_bpermute_b32 v13, v29, v11
	s_wait_storecnt_dscnt 0x0
	v_add_nc_u32_e32 v2, v5, v2
	v_min_i64 v[10:11], v[12:13], v[10:11]
	ds_bpermute_b32 v12, v30, v10
	ds_bpermute_b32 v13, v30, v11
	s_wait_dscnt 0x0
	v_min_i64 v[10:11], v[12:13], v[10:11]
	ds_bpermute_b32 v12, v31, v10
	ds_bpermute_b32 v13, v31, v11
	s_wait_dscnt 0x0
	v_min_i64 v[10:11], v[12:13], v[10:11]
	ds_bpermute_b32 v12, v7, v10
	ds_bpermute_b32 v13, v7, v11
	s_wait_dscnt 0x0
	v_min_i64 v[10:11], v[12:13], v[10:11]
	ds_bpermute_b32 v12, v27, v10
	ds_bpermute_b32 v13, v27, v11
	s_wait_dscnt 0x0
	v_min_i64 v[10:11], v[12:13], v[10:11]
	ds_bpermute_b32 v12, v28, v10
	ds_bpermute_b32 v13, v28, v11
	s_wait_dscnt 0x0
	v_min_i64 v[10:11], v[12:13], v[10:11]
	ds_bpermute_b32 v12, v32, v10
	s_wait_dscnt 0x0
	v_dual_ashrrev_i32 v13, 31, v12 :: v_dual_mov_b32 v3, v12
	s_delay_alu instid0(VALU_DEP_1) | instskip(SKIP_1) | instid1(SALU_CYCLE_1)
	v_cmp_le_i64_e32 vcc_lo, s[6:7], v[12:13]
	s_or_b32 s26, vcc_lo, s26
	s_and_not1_b32 exec_lo, exec_lo, s26
	s_cbranch_execz .LBB56_28
.LBB56_10:                              ; =>This Loop Header: Depth=1
                                        ;     Child Loop BB56_13 Depth 2
	v_mov_b64_e32 v[10:11], s[6:7]
	v_dual_mov_b32 v5, v23 :: v_dual_add_nc_u32 v14, v14, v6
	s_mov_b32 s27, exec_lo
	ds_store_b8 v22, v4 offset:1024
	ds_store_b32 v26, v4
	s_wait_dscnt 0x0
	v_cmpx_lt_i32_e64 v14, v23
	s_cbranch_execz .LBB56_22
; %bb.11:                               ;   in Loop: Header=BB56_10 Depth=1
	v_mul_u64_e32 v[16:17], s[8:9], v[12:13]
	v_mov_b64_e32 v[10:11], s[6:7]
	v_mov_b32_e32 v17, v23
	s_mov_b32 s28, 0
	s_branch .LBB56_13
.LBB56_12:                              ;   in Loop: Header=BB56_13 Depth=2
	s_wait_xcnt 0x0
	s_or_b32 exec_lo, exec_lo, s0
	v_dual_mov_b32 v17, v5 :: v_dual_add_nc_u32 v14, 8, v14
	s_xor_b32 s19, vcc_lo, -1
	s_delay_alu instid0(VALU_DEP_1) | instskip(SKIP_1) | instid1(SALU_CYCLE_1)
	v_cmp_ge_i32_e64 s0, v14, v23
	s_or_b32 s0, s19, s0
	s_and_b32 s0, exec_lo, s0
	s_delay_alu instid0(SALU_CYCLE_1) | instskip(NEXT) | instid1(SALU_CYCLE_1)
	s_or_b32 s28, s0, s28
	s_and_not1_b32 exec_lo, exec_lo, s28
	s_cbranch_execz .LBB56_21
.LBB56_13:                              ;   Parent Loop BB56_10 Depth=1
                                        ; =>  This Inner Loop Header: Depth=2
	global_load_b64 v[18:19], v14, s[14:15] scale_offset
                                        ; implicit-def: $vgpr20_vgpr21
	s_mov_b32 s0, exec_lo
	s_wait_loadcnt 0x0
	v_sub_nc_u64_e64 v[18:19], v[18:19], s[10:11]
	s_delay_alu instid0(VALU_DEP_1) | instskip(SKIP_1) | instid1(VALU_DEP_1)
	v_or_b32_e32 v5, s9, v19
	s_wait_xcnt 0x0
	v_cmpx_ne_u64_e32 0, v[4:5]
	s_xor_b32 s29, exec_lo, s0
	s_cbranch_execz .LBB56_15
; %bb.14:                               ;   in Loop: Header=BB56_13 Depth=2
	s_mov_b32 s19, s18
	v_dual_mov_b32 v37, v4 :: v_dual_ashrrev_i32 v20, 31, v19
	s_add_nc_u64 s[20:21], s[8:9], s[18:19]
	v_mov_b32_e32 v45, v4
	s_xor_b64 s[20:21], s[20:21], s[18:19]
	s_delay_alu instid0(VALU_DEP_2) | instskip(SKIP_3) | instid1(VALU_DEP_1)
	v_mov_b32_e32 v21, v20
	s_cvt_f32_u32 s0, s20
	s_cvt_f32_u32 s19, s21
	s_sub_nc_u64 s[34:35], 0, s[20:21]
	v_add_nc_u64_e32 v[34:35], v[18:19], v[20:21]
	s_delay_alu instid0(SALU_CYCLE_1) | instskip(SKIP_1) | instid1(SALU_CYCLE_2)
	s_fmamk_f32 s0, s19, 0x4f800000, s0
	v_mov_b32_e32 v41, v4
	v_s_rcp_f32 s0, s0
	s_delay_alu instid0(VALU_DEP_2) | instskip(NEXT) | instid1(VALU_DEP_3)
	v_xor_b32_e32 v36, v34, v20
	v_xor_b32_e32 v40, v35, v20
	;; [unrolled: 1-line block ×3, first 2 shown]
	s_delay_alu instid0(TRANS32_DEP_1) | instskip(NEXT) | instid1(SALU_CYCLE_3)
	s_mul_f32 s0, s0, 0x5f7ffffc
	s_mul_f32 s19, s0, 0x2f800000
	s_delay_alu instid0(SALU_CYCLE_3) | instskip(NEXT) | instid1(SALU_CYCLE_3)
	s_trunc_f32 s19, s19
	s_fmamk_f32 s0, s19, 0xcf800000, s0
	s_cvt_u32_f32 s31, s19
	s_delay_alu instid0(SALU_CYCLE_2) | instskip(NEXT) | instid1(SALU_CYCLE_3)
	s_cvt_u32_f32 s30, s0
	s_mul_u64 s[36:37], s[34:35], s[30:31]
	s_delay_alu instid0(SALU_CYCLE_1)
	s_mul_hi_u32 s39, s30, s37
	s_mul_i32 s38, s30, s37
	s_mul_hi_u32 s0, s30, s36
	s_mul_i32 s33, s31, s36
	s_add_nc_u64 s[38:39], s[0:1], s[38:39]
	s_mul_hi_u32 s19, s31, s36
	s_mul_hi_u32 s40, s31, s37
	s_add_co_u32 s0, s38, s33
	s_add_co_ci_u32 s0, s39, s19
	s_mul_i32 s36, s31, s37
	s_add_co_ci_u32 s37, s40, 0
	s_delay_alu instid0(SALU_CYCLE_1) | instskip(NEXT) | instid1(SALU_CYCLE_1)
	s_add_nc_u64 s[36:37], s[0:1], s[36:37]
	s_add_co_u32 s30, s30, s36
	s_cselect_b32 s0, -1, 0
	s_delay_alu instid0(SALU_CYCLE_1) | instskip(SKIP_1) | instid1(SALU_CYCLE_1)
	s_cmp_lg_u32 s0, 0
	s_add_co_ci_u32 s31, s31, s37
	s_mul_u64 s[34:35], s[34:35], s[30:31]
	s_delay_alu instid0(SALU_CYCLE_1)
	s_mul_hi_u32 s37, s30, s35
	s_mul_i32 s36, s30, s35
	s_mul_hi_u32 s0, s30, s34
	s_mul_i32 s33, s31, s34
	s_add_nc_u64 s[36:37], s[0:1], s[36:37]
	s_mul_hi_u32 s19, s31, s34
	s_mul_hi_u32 s38, s31, s35
	s_add_co_u32 s0, s36, s33
	s_add_co_ci_u32 s0, s37, s19
	s_mul_i32 s34, s31, s35
	s_add_co_ci_u32 s35, s38, 0
	s_delay_alu instid0(SALU_CYCLE_1) | instskip(NEXT) | instid1(SALU_CYCLE_1)
	s_add_nc_u64 s[34:35], s[0:1], s[34:35]
	s_add_co_u32 s30, s30, s34
	s_cselect_b32 s0, -1, 0
	v_mul_hi_u32 v44, v36, s30
	s_cmp_lg_u32 s0, 0
	s_add_co_ci_u32 s0, s31, s35
	s_and_b64 s[34:35], s[30:31], s[2:3]
	v_mul_u64_e32 v[38:39], s[0:1], v[36:37]
	v_mul_u64_e32 v[34:35], s[34:35], v[40:41]
	v_mul_u64_e32 v[42:43], s[0:1], v[40:41]
	s_delay_alu instid0(VALU_DEP_3) | instskip(NEXT) | instid1(VALU_DEP_1)
	v_add_nc_u64_e32 v[38:39], v[44:45], v[38:39]
	v_add_co_u32 v5, vcc_lo, v38, v34
	s_delay_alu instid0(VALU_DEP_2) | instskip(NEXT) | instid1(VALU_DEP_4)
	v_add_co_ci_u32_e32 v44, vcc_lo, v39, v35, vcc_lo
	v_add_co_ci_u32_e32 v43, vcc_lo, 0, v43, vcc_lo
	s_delay_alu instid0(VALU_DEP_1) | instskip(NEXT) | instid1(VALU_DEP_1)
	v_add_nc_u64_e32 v[34:35], v[44:45], v[42:43]
	v_mul_u64_e32 v[38:39], s[20:21], v[34:35]
	s_delay_alu instid0(VALU_DEP_1) | instskip(NEXT) | instid1(VALU_DEP_2)
	v_sub_nc_u32_e32 v5, v40, v39
	v_sub_co_u32 v15, vcc_lo, v36, v38
	s_delay_alu instid0(VALU_DEP_1) | instskip(NEXT) | instid1(VALU_DEP_3)
	v_sub_co_ci_u32_e64 v21, null, v40, v39, vcc_lo
	v_subrev_co_ci_u32_e64 v5, null, s21, v5, vcc_lo
	s_delay_alu instid0(VALU_DEP_3) | instskip(SKIP_1) | instid1(VALU_DEP_3)
	v_sub_co_u32 v19, s0, v15, s20
	v_add_nc_u64_e32 v[38:39], 1, v[34:35]
	v_subrev_co_ci_u32_e64 v5, null, 0, v5, s0
	s_delay_alu instid0(VALU_DEP_3) | instskip(SKIP_1) | instid1(VALU_DEP_3)
	v_cmp_le_u32_e32 vcc_lo, s20, v19
	v_cndmask_b32_e64 v19, 0, -1, vcc_lo
	v_cmp_le_u32_e32 vcc_lo, s21, v5
	v_cndmask_b32_e64 v36, 0, -1, vcc_lo
	;; [unrolled: 2-line block ×4, first 2 shown]
	v_cmp_eq_u32_e32 vcc_lo, s21, v5
	v_cndmask_b32_e32 v5, v36, v19, vcc_lo
	v_cmp_eq_u32_e32 vcc_lo, s21, v21
	v_add_nc_u64_e32 v[36:37], 2, v[34:35]
	v_mov_b32_e32 v21, v20
	v_cndmask_b32_e32 v15, v40, v15, vcc_lo
	v_cmp_ne_u32_e32 vcc_lo, 0, v5
	s_delay_alu instid0(VALU_DEP_2) | instskip(SKIP_1) | instid1(VALU_DEP_1)
	v_cmp_ne_u32_e64 s0, 0, v15
	v_dual_cndmask_b32 v5, v39, v37, vcc_lo :: v_dual_cndmask_b32 v15, v38, v36, vcc_lo
	v_dual_cndmask_b32 v5, v35, v5, s0 :: v_dual_cndmask_b32 v15, v34, v15, s0
	s_delay_alu instid0(VALU_DEP_1) | instskip(NEXT) | instid1(VALU_DEP_2)
	v_xor_b32_e32 v35, v5, v20
	v_xor_b32_e32 v34, v15, v20
	s_delay_alu instid0(VALU_DEP_1)
	v_sub_nc_u64_e32 v[20:21], v[34:35], v[20:21]
.LBB56_15:                              ;   in Loop: Header=BB56_13 Depth=2
	s_and_not1_saveexec_b32 s0, s29
	s_cbranch_execz .LBB56_17
; %bb.16:                               ;   in Loop: Header=BB56_13 Depth=2
	v_cvt_f32_u32_e32 v5, s8
	v_mov_b32_e32 v21, v4
	s_delay_alu instid0(VALU_DEP_2) | instskip(SKIP_1) | instid1(TRANS32_DEP_1)
	v_rcp_iflag_f32_e32 v5, v5
	v_nop
	v_mul_f32_e32 v5, 0x4f7ffffe, v5
	s_delay_alu instid0(VALU_DEP_1) | instskip(NEXT) | instid1(VALU_DEP_1)
	v_cvt_u32_f32_e32 v5, v5
	v_mul_lo_u32 v15, s25, v5
	s_delay_alu instid0(VALU_DEP_1) | instskip(NEXT) | instid1(VALU_DEP_1)
	v_mul_hi_u32 v15, v5, v15
	v_add_nc_u32_e32 v5, v5, v15
	s_delay_alu instid0(VALU_DEP_1) | instskip(NEXT) | instid1(VALU_DEP_1)
	v_mul_hi_u32 v5, v18, v5
	v_mul_lo_u32 v15, v5, s8
	s_delay_alu instid0(VALU_DEP_1) | instskip(NEXT) | instid1(VALU_DEP_1)
	v_sub_nc_u32_e32 v15, v18, v15
	v_subrev_nc_u32_e32 v20, s8, v15
	v_cmp_le_u32_e32 vcc_lo, s8, v15
	s_delay_alu instid0(VALU_DEP_2) | instskip(NEXT) | instid1(VALU_DEP_1)
	v_dual_add_nc_u32 v19, 1, v5 :: v_dual_cndmask_b32 v15, v15, v20, vcc_lo
	v_cndmask_b32_e32 v5, v5, v19, vcc_lo
	s_delay_alu instid0(VALU_DEP_2) | instskip(NEXT) | instid1(VALU_DEP_2)
	v_cmp_le_u32_e32 vcc_lo, s8, v15
	v_add_nc_u32_e32 v19, 1, v5
	s_delay_alu instid0(VALU_DEP_1)
	v_cndmask_b32_e32 v20, v5, v19, vcc_lo
.LBB56_17:                              ;   in Loop: Header=BB56_13 Depth=2
	s_or_b32 exec_lo, exec_lo, s0
	s_delay_alu instid0(VALU_DEP_1) | instskip(SKIP_2) | instid1(SALU_CYCLE_1)
	v_cmp_ne_u64_e64 s0, v[20:21], v[12:13]
	v_cmp_eq_u64_e32 vcc_lo, v[20:21], v[12:13]
	s_and_saveexec_b32 s19, s0
	s_xor_b32 s0, exec_lo, s19
; %bb.18:                               ;   in Loop: Header=BB56_13 Depth=2
	v_min_i64 v[10:11], v[20:21], v[10:11]
                                        ; implicit-def: $vgpr18_vgpr19
                                        ; implicit-def: $vgpr17
; %bb.19:                               ;   in Loop: Header=BB56_13 Depth=2
	s_or_saveexec_b32 s0, s0
	v_mov_b32_e32 v5, v14
	s_xor_b32 exec_lo, exec_lo, s0
	s_cbranch_execz .LBB56_12
; %bb.20:                               ;   in Loop: Header=BB56_13 Depth=2
	v_dual_ashrrev_i32 v15, 31, v14 :: v_dual_sub_nc_u32 v5, v18, v16
	s_delay_alu instid0(VALU_DEP_1) | instskip(NEXT) | instid1(VALU_DEP_2)
	v_lshl_add_u64 v[20:21], v[14:15], 2, s[16:17]
	v_lshl_add_u32 v18, v5, 2, v24
	v_mov_b32_e32 v5, v17
	global_load_b32 v15, v[20:21], off
	ds_store_b8 v22, v33 offset:1024
	s_wait_loadcnt 0x0
	ds_store_b32 v18, v15
	s_branch .LBB56_12
.LBB56_21:                              ;   in Loop: Header=BB56_10 Depth=1
	s_or_b32 exec_lo, exec_lo, s28
.LBB56_22:                              ;   in Loop: Header=BB56_10 Depth=1
	s_delay_alu instid0(SALU_CYCLE_1)
	s_or_b32 exec_lo, exec_lo, s27
	ds_bpermute_b32 v12, v7, v5
	s_wait_dscnt 0x0
	ds_load_u8 v13, v22 offset:1024
	v_min_i32_e32 v5, v12, v5
	ds_bpermute_b32 v12, v27, v5
	s_wait_dscnt 0x0
	v_min_i32_e32 v5, v12, v5
	ds_bpermute_b32 v12, v28, v5
	s_wait_dscnt 0x0
	v_min_i32_e32 v5, v12, v5
	ds_bpermute_b32 v14, v25, v5
	v_and_b32_e32 v5, 1, v13
	s_delay_alu instid0(VALU_DEP_1)
	v_cmp_eq_u32_e32 vcc_lo, 1, v5
	v_mov_b32_e32 v5, 0
	s_and_saveexec_b32 s0, vcc_lo
	s_cbranch_execz .LBB56_9
; %bb.23:                               ;   in Loop: Header=BB56_10 Depth=1
	v_add_nc_u32_e32 v12, s22, v3
	s_delay_alu instid0(VALU_DEP_1)
	v_ashrrev_i32_e32 v13, 31, v12
	global_store_b64 v2, v[12:13], s[4:5] scale_offset
	s_wait_xcnt 0x0
	s_and_saveexec_b32 s19, s24
	s_cbranch_execz .LBB56_8
; %bb.24:                               ;   in Loop: Header=BB56_10 Depth=1
	v_ashrrev_i32_e32 v3, 31, v2
	s_and_b32 vcc_lo, exec_lo, s23
	s_delay_alu instid0(VALU_DEP_1)
	v_mul_u64_e32 v[12:13], s[12:13], v[2:3]
	ds_load_b32 v3, v26
	s_cbranch_vccz .LBB56_26
; %bb.25:                               ;   in Loop: Header=BB56_10 Depth=1
	v_lshl_add_u64 v[16:17], v[12:13], 2, v[0:1]
	s_wait_dscnt 0x0
	global_store_b32 v[16:17], v3, off
	s_cbranch_execnz .LBB56_8
	s_branch .LBB56_27
.LBB56_26:                              ;   in Loop: Header=BB56_10 Depth=1
.LBB56_27:                              ;   in Loop: Header=BB56_10 Depth=1
	v_lshl_add_u64 v[12:13], v[12:13], 2, v[8:9]
	s_wait_dscnt 0x0
	global_store_b32 v[12:13], v3, off
	s_branch .LBB56_8
.LBB56_28:
	s_endpgm
	.section	.rodata,"a",@progbits
	.p2align	6, 0x0
	.amdhsa_kernel _ZN9rocsparseL42csr2bsr_wavefront_per_row_multipass_kernelILj256ELj64ELj8EfilEEv20rocsparse_direction_T4_S2_S2_S2_S2_21rocsparse_index_base_PKT2_PKT3_PKS2_S3_PS4_PS7_PS2_
		.amdhsa_group_segment_fixed_size 1028
		.amdhsa_private_segment_fixed_size 0
		.amdhsa_kernarg_size 112
		.amdhsa_user_sgpr_count 2
		.amdhsa_user_sgpr_dispatch_ptr 0
		.amdhsa_user_sgpr_queue_ptr 0
		.amdhsa_user_sgpr_kernarg_segment_ptr 1
		.amdhsa_user_sgpr_dispatch_id 0
		.amdhsa_user_sgpr_kernarg_preload_length 0
		.amdhsa_user_sgpr_kernarg_preload_offset 0
		.amdhsa_user_sgpr_private_segment_size 0
		.amdhsa_wavefront_size32 1
		.amdhsa_uses_dynamic_stack 0
		.amdhsa_enable_private_segment 0
		.amdhsa_system_sgpr_workgroup_id_x 1
		.amdhsa_system_sgpr_workgroup_id_y 0
		.amdhsa_system_sgpr_workgroup_id_z 0
		.amdhsa_system_sgpr_workgroup_info 0
		.amdhsa_system_vgpr_workitem_id 0
		.amdhsa_next_free_vgpr 46
		.amdhsa_next_free_sgpr 41
		.amdhsa_named_barrier_count 0
		.amdhsa_reserve_vcc 1
		.amdhsa_float_round_mode_32 0
		.amdhsa_float_round_mode_16_64 0
		.amdhsa_float_denorm_mode_32 3
		.amdhsa_float_denorm_mode_16_64 3
		.amdhsa_fp16_overflow 0
		.amdhsa_memory_ordered 1
		.amdhsa_forward_progress 1
		.amdhsa_inst_pref_size 18
		.amdhsa_round_robin_scheduling 0
		.amdhsa_exception_fp_ieee_invalid_op 0
		.amdhsa_exception_fp_denorm_src 0
		.amdhsa_exception_fp_ieee_div_zero 0
		.amdhsa_exception_fp_ieee_overflow 0
		.amdhsa_exception_fp_ieee_underflow 0
		.amdhsa_exception_fp_ieee_inexact 0
		.amdhsa_exception_int_div_zero 0
	.end_amdhsa_kernel
	.section	.text._ZN9rocsparseL42csr2bsr_wavefront_per_row_multipass_kernelILj256ELj64ELj8EfilEEv20rocsparse_direction_T4_S2_S2_S2_S2_21rocsparse_index_base_PKT2_PKT3_PKS2_S3_PS4_PS7_PS2_,"axG",@progbits,_ZN9rocsparseL42csr2bsr_wavefront_per_row_multipass_kernelILj256ELj64ELj8EfilEEv20rocsparse_direction_T4_S2_S2_S2_S2_21rocsparse_index_base_PKT2_PKT3_PKS2_S3_PS4_PS7_PS2_,comdat
.Lfunc_end56:
	.size	_ZN9rocsparseL42csr2bsr_wavefront_per_row_multipass_kernelILj256ELj64ELj8EfilEEv20rocsparse_direction_T4_S2_S2_S2_S2_21rocsparse_index_base_PKT2_PKT3_PKS2_S3_PS4_PS7_PS2_, .Lfunc_end56-_ZN9rocsparseL42csr2bsr_wavefront_per_row_multipass_kernelILj256ELj64ELj8EfilEEv20rocsparse_direction_T4_S2_S2_S2_S2_21rocsparse_index_base_PKT2_PKT3_PKS2_S3_PS4_PS7_PS2_
                                        ; -- End function
	.set _ZN9rocsparseL42csr2bsr_wavefront_per_row_multipass_kernelILj256ELj64ELj8EfilEEv20rocsparse_direction_T4_S2_S2_S2_S2_21rocsparse_index_base_PKT2_PKT3_PKS2_S3_PS4_PS7_PS2_.num_vgpr, 46
	.set _ZN9rocsparseL42csr2bsr_wavefront_per_row_multipass_kernelILj256ELj64ELj8EfilEEv20rocsparse_direction_T4_S2_S2_S2_S2_21rocsparse_index_base_PKT2_PKT3_PKS2_S3_PS4_PS7_PS2_.num_agpr, 0
	.set _ZN9rocsparseL42csr2bsr_wavefront_per_row_multipass_kernelILj256ELj64ELj8EfilEEv20rocsparse_direction_T4_S2_S2_S2_S2_21rocsparse_index_base_PKT2_PKT3_PKS2_S3_PS4_PS7_PS2_.numbered_sgpr, 41
	.set _ZN9rocsparseL42csr2bsr_wavefront_per_row_multipass_kernelILj256ELj64ELj8EfilEEv20rocsparse_direction_T4_S2_S2_S2_S2_21rocsparse_index_base_PKT2_PKT3_PKS2_S3_PS4_PS7_PS2_.num_named_barrier, 0
	.set _ZN9rocsparseL42csr2bsr_wavefront_per_row_multipass_kernelILj256ELj64ELj8EfilEEv20rocsparse_direction_T4_S2_S2_S2_S2_21rocsparse_index_base_PKT2_PKT3_PKS2_S3_PS4_PS7_PS2_.private_seg_size, 0
	.set _ZN9rocsparseL42csr2bsr_wavefront_per_row_multipass_kernelILj256ELj64ELj8EfilEEv20rocsparse_direction_T4_S2_S2_S2_S2_21rocsparse_index_base_PKT2_PKT3_PKS2_S3_PS4_PS7_PS2_.uses_vcc, 1
	.set _ZN9rocsparseL42csr2bsr_wavefront_per_row_multipass_kernelILj256ELj64ELj8EfilEEv20rocsparse_direction_T4_S2_S2_S2_S2_21rocsparse_index_base_PKT2_PKT3_PKS2_S3_PS4_PS7_PS2_.uses_flat_scratch, 0
	.set _ZN9rocsparseL42csr2bsr_wavefront_per_row_multipass_kernelILj256ELj64ELj8EfilEEv20rocsparse_direction_T4_S2_S2_S2_S2_21rocsparse_index_base_PKT2_PKT3_PKS2_S3_PS4_PS7_PS2_.has_dyn_sized_stack, 0
	.set _ZN9rocsparseL42csr2bsr_wavefront_per_row_multipass_kernelILj256ELj64ELj8EfilEEv20rocsparse_direction_T4_S2_S2_S2_S2_21rocsparse_index_base_PKT2_PKT3_PKS2_S3_PS4_PS7_PS2_.has_recursion, 0
	.set _ZN9rocsparseL42csr2bsr_wavefront_per_row_multipass_kernelILj256ELj64ELj8EfilEEv20rocsparse_direction_T4_S2_S2_S2_S2_21rocsparse_index_base_PKT2_PKT3_PKS2_S3_PS4_PS7_PS2_.has_indirect_call, 0
	.section	.AMDGPU.csdata,"",@progbits
; Kernel info:
; codeLenInByte = 2200
; TotalNumSgprs: 43
; NumVgprs: 46
; ScratchSize: 0
; MemoryBound: 0
; FloatMode: 240
; IeeeMode: 1
; LDSByteSize: 1028 bytes/workgroup (compile time only)
; SGPRBlocks: 0
; VGPRBlocks: 2
; NumSGPRsForWavesPerEU: 43
; NumVGPRsForWavesPerEU: 46
; NamedBarCnt: 0
; Occupancy: 16
; WaveLimiterHint : 0
; COMPUTE_PGM_RSRC2:SCRATCH_EN: 0
; COMPUTE_PGM_RSRC2:USER_SGPR: 2
; COMPUTE_PGM_RSRC2:TRAP_HANDLER: 0
; COMPUTE_PGM_RSRC2:TGID_X_EN: 1
; COMPUTE_PGM_RSRC2:TGID_Y_EN: 0
; COMPUTE_PGM_RSRC2:TGID_Z_EN: 0
; COMPUTE_PGM_RSRC2:TIDIG_COMP_CNT: 0
	.section	.text._ZN9rocsparseL42csr2bsr_wavefront_per_row_multipass_kernelILj256ELj32ELj8EfilEEv20rocsparse_direction_T4_S2_S2_S2_S2_21rocsparse_index_base_PKT2_PKT3_PKS2_S3_PS4_PS7_PS2_,"axG",@progbits,_ZN9rocsparseL42csr2bsr_wavefront_per_row_multipass_kernelILj256ELj32ELj8EfilEEv20rocsparse_direction_T4_S2_S2_S2_S2_21rocsparse_index_base_PKT2_PKT3_PKS2_S3_PS4_PS7_PS2_,comdat
	.globl	_ZN9rocsparseL42csr2bsr_wavefront_per_row_multipass_kernelILj256ELj32ELj8EfilEEv20rocsparse_direction_T4_S2_S2_S2_S2_21rocsparse_index_base_PKT2_PKT3_PKS2_S3_PS4_PS7_PS2_ ; -- Begin function _ZN9rocsparseL42csr2bsr_wavefront_per_row_multipass_kernelILj256ELj32ELj8EfilEEv20rocsparse_direction_T4_S2_S2_S2_S2_21rocsparse_index_base_PKT2_PKT3_PKS2_S3_PS4_PS7_PS2_
	.p2align	8
	.type	_ZN9rocsparseL42csr2bsr_wavefront_per_row_multipass_kernelILj256ELj32ELj8EfilEEv20rocsparse_direction_T4_S2_S2_S2_S2_21rocsparse_index_base_PKT2_PKT3_PKS2_S3_PS4_PS7_PS2_,@function
_ZN9rocsparseL42csr2bsr_wavefront_per_row_multipass_kernelILj256ELj32ELj8EfilEEv20rocsparse_direction_T4_S2_S2_S2_S2_21rocsparse_index_base_PKT2_PKT3_PKS2_S3_PS4_PS7_PS2_: ; @_ZN9rocsparseL42csr2bsr_wavefront_per_row_multipass_kernelILj256ELj32ELj8EfilEEv20rocsparse_direction_T4_S2_S2_S2_S2_21rocsparse_index_base_PKT2_PKT3_PKS2_S3_PS4_PS7_PS2_
; %bb.0:
	s_bfe_u32 s2, ttmp6, 0x4000c
	s_clause 0x1
	s_load_b96 s[8:10], s[0:1], 0x28
	s_load_b64 s[14:15], s[0:1], 0x40
	s_add_co_i32 s2, s2, 1
	s_and_b32 s3, ttmp6, 15
	s_mul_i32 s2, ttmp9, s2
	s_getreg_b32 s4, hwreg(HW_REG_IB_STS2, 6, 4)
	s_add_co_i32 s3, s3, s2
	s_cmp_eq_u32 s4, 0
	v_dual_mov_b32 v27, 0 :: v_dual_lshrrev_b32 v26, 5, v0
	s_cselect_b32 s12, ttmp9, s3
	v_bfe_u32 v6, v0, 2, 3
	s_ashr_i32 s13, s12, 31
	v_mov_b32_e32 v20, 0
	s_lshl_b64 s[2:3], s[12:13], 3
	s_delay_alu instid0(SALU_CYCLE_1) | instskip(SKIP_2) | instid1(VALU_DEP_1)
	v_dual_mov_b32 v7, v27 :: v_dual_bitop2_b32 v1, s2, v26 bitop3:0x54
	s_load_b128 s[4:7], s[0:1], 0x18
	s_wait_kmcnt 0x0
	v_mad_nc_u64_u32 v[2:3], v1, s8, v[6:7]
	s_delay_alu instid0(VALU_DEP_1) | instskip(SKIP_1) | instid1(VALU_DEP_1)
	v_mad_u32 v3, s3, s8, v3
	s_load_b64 s[2:3], s[0:1], 0x8
	v_mad_u32 v3, v1, s9, v3
	s_wait_kmcnt 0x0
	s_delay_alu instid0(VALU_DEP_1) | instskip(SKIP_2) | instid1(SALU_CYCLE_1)
	v_cmp_gt_i64_e32 vcc_lo, s[2:3], v[2:3]
	v_cmp_gt_i64_e64 s2, s[8:9], v[6:7]
	s_and_b32 s3, s2, vcc_lo
	s_and_saveexec_b32 s11, s3
	s_cbranch_execz .LBB57_2
; %bb.1:
	v_lshl_add_u64 v[4:5], v[2:3], 2, s[14:15]
	global_load_b32 v1, v[4:5], off
	s_wait_loadcnt 0x0
	v_subrev_nc_u32_e32 v20, s10, v1
.LBB57_2:
	s_or_b32 exec_lo, exec_lo, s11
	s_and_saveexec_b32 s11, s3
	s_cbranch_execz .LBB57_4
; %bb.3:
	v_lshl_add_u64 v[2:3], v[2:3], 2, s[14:15]
	global_load_b32 v1, v[2:3], off offset:4
	s_wait_loadcnt 0x0
	v_subrev_nc_u32_e32 v27, s10, v1
.LBB57_4:
	s_or_b32 exec_lo, exec_lo, s11
	s_load_b32 s24, s[0:1], 0x50
	v_mov_b32_e32 v5, 0
	v_lshl_or_b32 v4, s12, 3, v26
	s_mov_b32 s3, exec_lo
	s_delay_alu instid0(VALU_DEP_2) | instskip(NEXT) | instid1(VALU_DEP_2)
	v_mov_b32_e32 v2, v5
	v_cmpx_gt_i64_e64 s[4:5], v[4:5]
	s_cbranch_execz .LBB57_6
; %bb.5:
	s_load_b64 s[4:5], s[0:1], 0x60
	s_wait_kmcnt 0x0
	v_lshl_add_u64 v[2:3], v[4:5], 2, s[4:5]
	global_load_b32 v1, v[2:3], off
	s_wait_loadcnt 0x0
	v_subrev_nc_u32_e32 v2, s24, v1
.LBB57_6:
	s_or_b32 exec_lo, exec_lo, s3
	v_cmp_lt_i64_e64 s3, s[6:7], 1
	s_and_b32 vcc_lo, exec_lo, s3
	s_cbranch_vccnz .LBB57_33
; %bb.7:
	s_clause 0x1
	s_load_b64 s[18:19], s[0:1], 0x58
	s_load_b64 s[4:5], s[0:1], 0x68
	v_dual_lshlrev_b32 v8, 2, v6 :: v_dual_mov_b32 v4, 0
	v_dual_lshlrev_b32 v1, 5, v6 :: v_dual_bitop2_b32 v0, 3, v0 bitop3:0x40
	v_mbcnt_lo_u32_b32 v3, -1, 0
	v_mul_u64_e32 v[12:13], s[8:9], v[6:7]
	s_delay_alu instid0(VALU_DEP_4) | instskip(NEXT) | instid1(VALU_DEP_4)
	v_mov_b32_e32 v9, v4
	v_lshl_or_b32 v28, v26, 8, v1
	s_clause 0x2
	s_load_b64 s[14:15], s[0:1], 0x48
	s_load_b64 s[16:17], s[0:1], 0x38
	s_load_b32 s20, s[0:1], 0x0
	v_xor_b32_e32 v1, 2, v3
	v_xor_b32_e32 v16, 8, v3
	v_lshl_or_b32 v32, v3, 2, 12
	v_lshl_or_b32 v29, v0, 2, v28
	v_dual_mov_b32 v36, 1 :: v_dual_mov_b32 v37, 0
	v_cmp_gt_i32_e32 vcc_lo, 32, v1
	v_xor_b32_e32 v5, 1, v3
	s_mov_b32 s3, 0
	s_wait_kmcnt 0x0
	v_add_nc_u64_e32 v[6:7], s[18:19], v[8:9]
	v_dual_cndmask_b32 v8, v3, v1, vcc_lo :: v_dual_bitop2_b32 v14, 4, v0 bitop3:0x54
	v_cmp_gt_i32_e32 vcc_lo, 32, v5
	v_dual_mov_b32 v1, v4 :: v_dual_mov_b32 v15, v4
	s_mul_u64 s[12:13], s[8:9], s[8:9]
	s_mov_b32 s11, s3
	v_dual_cndmask_b32 v5, v3, v5 :: v_dual_lshlrev_b32 v30, 2, v8
	s_delay_alu instid0(VALU_DEP_2) | instskip(SKIP_2) | instid1(VALU_DEP_4)
	v_mul_u64_e32 v[8:9], s[8:9], v[0:1]
	v_mul_u64_e32 v[10:11], s[8:9], v[14:15]
	v_cmp_gt_u64_e64 s0, s[8:9], v[14:15]
	v_dual_lshlrev_b32 v31, 2, v5 :: v_dual_bitop2_b32 v5, 16, v3 bitop3:0x14
	s_cmp_lg_u32 s20, 0
	s_mov_b32 s28, 0
	s_cselect_b32 s1, -1, 0
	s_ashr_i32 s20, s9, 31
	v_cmp_gt_i32_e32 vcc_lo, 32, v5
	v_lshl_add_u64 v[12:13], v[12:13], 2, s[18:19]
	s_and_b32 s26, s2, s0
	s_mov_b64 s[18:19], 0xffffffff
	s_sub_co_i32 s27, 0, s8
	v_dual_cndmask_b32 v5, v3, v5, vcc_lo :: v_dual_bitop2_b32 v17, 4, v3 bitop3:0x14
	v_cmp_gt_i32_e32 vcc_lo, 32, v16
	v_dual_mov_b32 v35, 0x7c :: v_dual_cndmask_b32 v16, v3, v16
	s_delay_alu instid0(VALU_DEP_3) | instskip(NEXT) | instid1(VALU_DEP_2)
	v_cmp_gt_i32_e32 vcc_lo, 32, v17
	v_dual_lshlrev_b32 v33, 2, v16 :: v_dual_cndmask_b32 v3, v3, v17, vcc_lo
	v_cmp_gt_u64_e32 vcc_lo, s[8:9], v[0:1]
	v_mov_b64_e32 v[16:17], 0
	s_delay_alu instid0(VALU_DEP_3)
	v_dual_lshlrev_b32 v1, 2, v5 :: v_dual_lshlrev_b32 v34, 2, v3
	s_and_b32 s25, s2, vcc_lo
	s_branch .LBB57_10
.LBB57_8:                               ;   in Loop: Header=BB57_10 Depth=1
	s_wait_xcnt 0x0
	s_or_b32 exec_lo, exec_lo, s2
	s_wait_dscnt 0x0
	v_mov_b32_e32 v3, 1
.LBB57_9:                               ;   in Loop: Header=BB57_10 Depth=1
	s_or_b32 exec_lo, exec_lo, s0
	ds_bpermute_b32 v16, v1, v14
	ds_bpermute_b32 v17, v1, v15
	s_wait_storecnt_dscnt 0x0
	v_add_nc_u32_e32 v2, v3, v2
	v_min_i64 v[14:15], v[16:17], v[14:15]
	ds_bpermute_b32 v16, v33, v14
	ds_bpermute_b32 v17, v33, v15
	s_wait_dscnt 0x0
	v_min_i64 v[14:15], v[16:17], v[14:15]
	ds_bpermute_b32 v16, v34, v14
	ds_bpermute_b32 v17, v34, v15
	s_wait_dscnt 0x0
	;; [unrolled: 4-line block ×4, first 2 shown]
	v_min_i64 v[14:15], v[16:17], v[14:15]
	ds_bpermute_b32 v16, v35, v14
	s_wait_dscnt 0x0
	v_dual_ashrrev_i32 v17, 31, v16 :: v_dual_mov_b32 v37, v16
	s_delay_alu instid0(VALU_DEP_1) | instskip(SKIP_1) | instid1(SALU_CYCLE_1)
	v_cmp_le_i64_e32 vcc_lo, s[6:7], v[16:17]
	s_or_b32 s28, vcc_lo, s28
	s_and_not1_b32 exec_lo, exec_lo, s28
	s_cbranch_execz .LBB57_33
.LBB57_10:                              ; =>This Loop Header: Depth=1
                                        ;     Child Loop BB57_13 Depth 2
	v_mov_b64_e32 v[14:15], s[6:7]
	v_dual_mov_b32 v5, v27 :: v_dual_add_nc_u32 v18, v20, v0
	s_mov_b32 s29, exec_lo
	ds_store_b8 v26, v4 offset:2048
	ds_store_2addr_b32 v29, v4, v4 offset1:4
	s_wait_dscnt 0x0
	v_cmpx_lt_i32_e64 v18, v27
	s_cbranch_execz .LBB57_22
; %bb.11:                               ;   in Loop: Header=BB57_10 Depth=1
	v_mul_u64_e32 v[20:21], s[8:9], v[16:17]
	v_mov_b64_e32 v[14:15], s[6:7]
	v_mov_b32_e32 v3, v27
	s_mov_b32 s30, 0
	s_branch .LBB57_13
.LBB57_12:                              ;   in Loop: Header=BB57_13 Depth=2
	s_wait_xcnt 0x0
	s_or_b32 exec_lo, exec_lo, s0
	v_dual_mov_b32 v3, v5 :: v_dual_add_nc_u32 v18, 4, v18
	s_xor_b32 s2, vcc_lo, -1
	s_delay_alu instid0(VALU_DEP_1) | instskip(SKIP_1) | instid1(SALU_CYCLE_1)
	v_cmp_ge_i32_e64 s0, v18, v27
	s_or_b32 s0, s2, s0
	s_and_b32 s0, exec_lo, s0
	s_delay_alu instid0(SALU_CYCLE_1) | instskip(NEXT) | instid1(SALU_CYCLE_1)
	s_or_b32 s30, s0, s30
	s_and_not1_b32 exec_lo, exec_lo, s30
	s_cbranch_execz .LBB57_21
.LBB57_13:                              ;   Parent Loop BB57_10 Depth=1
                                        ; =>  This Inner Loop Header: Depth=2
	global_load_b64 v[22:23], v18, s[14:15] scale_offset
                                        ; implicit-def: $vgpr24_vgpr25
	s_mov_b32 s0, exec_lo
	s_wait_loadcnt 0x0
	v_sub_nc_u64_e64 v[22:23], v[22:23], s[10:11]
	s_delay_alu instid0(VALU_DEP_1) | instskip(SKIP_1) | instid1(VALU_DEP_1)
	v_or_b32_e32 v5, s9, v23
	s_wait_xcnt 0x0
	v_cmpx_ne_u64_e32 0, v[4:5]
	s_xor_b32 s31, exec_lo, s0
	s_cbranch_execz .LBB57_15
; %bb.14:                               ;   in Loop: Header=BB57_13 Depth=2
	s_mov_b32 s21, s20
	v_dual_mov_b32 v41, v4 :: v_dual_ashrrev_i32 v24, 31, v23
	s_add_nc_u64 s[22:23], s[8:9], s[20:21]
	v_mov_b32_e32 v49, v4
	s_xor_b64 s[22:23], s[22:23], s[20:21]
	s_delay_alu instid0(VALU_DEP_2) | instskip(SKIP_3) | instid1(VALU_DEP_1)
	v_mov_b32_e32 v25, v24
	s_cvt_f32_u32 s0, s22
	s_cvt_f32_u32 s2, s23
	s_sub_nc_u64 s[36:37], 0, s[22:23]
	v_add_nc_u64_e32 v[38:39], v[22:23], v[24:25]
	s_delay_alu instid0(SALU_CYCLE_1) | instskip(SKIP_1) | instid1(SALU_CYCLE_2)
	s_fmamk_f32 s0, s2, 0x4f800000, s0
	v_mov_b32_e32 v45, v4
	v_s_rcp_f32 s0, s0
	s_delay_alu instid0(VALU_DEP_2) | instskip(NEXT) | instid1(VALU_DEP_3)
	v_xor_b32_e32 v40, v38, v24
	v_xor_b32_e32 v44, v39, v24
	s_delay_alu instid0(TRANS32_DEP_1) | instskip(NEXT) | instid1(SALU_CYCLE_3)
	s_mul_f32 s0, s0, 0x5f7ffffc
	s_mul_f32 s2, s0, 0x2f800000
	s_delay_alu instid0(SALU_CYCLE_3) | instskip(NEXT) | instid1(SALU_CYCLE_3)
	s_trunc_f32 s2, s2
	s_fmamk_f32 s0, s2, 0xcf800000, s0
	s_cvt_u32_f32 s35, s2
	s_delay_alu instid0(SALU_CYCLE_2) | instskip(NEXT) | instid1(SALU_CYCLE_3)
	s_cvt_u32_f32 s34, s0
	s_mul_u64 s[38:39], s[36:37], s[34:35]
	s_delay_alu instid0(SALU_CYCLE_1)
	s_mul_hi_u32 s41, s34, s39
	s_mul_i32 s40, s34, s39
	s_mul_hi_u32 s2, s34, s38
	s_mul_i32 s21, s35, s38
	s_add_nc_u64 s[40:41], s[2:3], s[40:41]
	s_mul_hi_u32 s0, s35, s38
	s_mul_hi_u32 s33, s35, s39
	s_add_co_u32 s2, s40, s21
	s_add_co_ci_u32 s2, s41, s0
	s_mul_i32 s38, s35, s39
	s_add_co_ci_u32 s39, s33, 0
	s_delay_alu instid0(SALU_CYCLE_1) | instskip(NEXT) | instid1(SALU_CYCLE_1)
	s_add_nc_u64 s[38:39], s[2:3], s[38:39]
	s_add_co_u32 s34, s34, s38
	s_cselect_b32 s0, -1, 0
	s_delay_alu instid0(SALU_CYCLE_1) | instskip(SKIP_1) | instid1(SALU_CYCLE_1)
	s_cmp_lg_u32 s0, 0
	s_add_co_ci_u32 s35, s35, s39
	s_mul_u64 s[36:37], s[36:37], s[34:35]
	s_delay_alu instid0(SALU_CYCLE_1)
	s_mul_hi_u32 s39, s34, s37
	s_mul_i32 s38, s34, s37
	s_mul_hi_u32 s2, s34, s36
	s_mul_i32 s21, s35, s36
	s_add_nc_u64 s[38:39], s[2:3], s[38:39]
	s_mul_hi_u32 s0, s35, s36
	s_mul_hi_u32 s33, s35, s37
	s_add_co_u32 s2, s38, s21
	s_add_co_ci_u32 s2, s39, s0
	s_mul_i32 s36, s35, s37
	s_add_co_ci_u32 s37, s33, 0
	s_delay_alu instid0(SALU_CYCLE_1) | instskip(NEXT) | instid1(SALU_CYCLE_1)
	s_add_nc_u64 s[36:37], s[2:3], s[36:37]
	s_add_co_u32 s0, s34, s36
	s_cselect_b32 s2, -1, 0
	v_mul_hi_u32 v48, v40, s0
	s_cmp_lg_u32 s2, 0
	s_add_co_ci_u32 s2, s35, s37
	s_and_b64 s[34:35], s[0:1], s[18:19]
	v_mul_u64_e32 v[42:43], s[2:3], v[40:41]
	v_mul_u64_e32 v[38:39], s[34:35], v[44:45]
	;; [unrolled: 1-line block ×3, first 2 shown]
	s_delay_alu instid0(VALU_DEP_3) | instskip(NEXT) | instid1(VALU_DEP_1)
	v_add_nc_u64_e32 v[42:43], v[48:49], v[42:43]
	v_add_co_u32 v5, vcc_lo, v42, v38
	s_delay_alu instid0(VALU_DEP_2) | instskip(NEXT) | instid1(VALU_DEP_4)
	v_add_co_ci_u32_e32 v48, vcc_lo, v43, v39, vcc_lo
	v_add_co_ci_u32_e32 v47, vcc_lo, 0, v47, vcc_lo
	s_delay_alu instid0(VALU_DEP_1) | instskip(NEXT) | instid1(VALU_DEP_1)
	v_add_nc_u64_e32 v[38:39], v[48:49], v[46:47]
	v_mul_u64_e32 v[42:43], s[22:23], v[38:39]
	s_delay_alu instid0(VALU_DEP_1) | instskip(SKIP_1) | instid1(VALU_DEP_3)
	v_sub_co_u32 v19, vcc_lo, v40, v42
	v_add_nc_u64_e32 v[40:41], 2, v[38:39]
	v_sub_nc_u32_e32 v5, v44, v43
	v_sub_co_ci_u32_e64 v23, null, v44, v43, vcc_lo
	s_delay_alu instid0(VALU_DEP_4) | instskip(NEXT) | instid1(VALU_DEP_3)
	v_sub_co_u32 v21, s0, v19, s22
	v_subrev_co_ci_u32_e64 v5, null, s23, v5, vcc_lo
	v_add_nc_u64_e32 v[42:43], 1, v[38:39]
	s_delay_alu instid0(VALU_DEP_3) | instskip(NEXT) | instid1(VALU_DEP_3)
	v_cmp_le_u32_e32 vcc_lo, s22, v21
	v_subrev_co_ci_u32_e64 v5, null, 0, v5, s0
	v_cndmask_b32_e64 v21, 0, -1, vcc_lo
	s_delay_alu instid0(VALU_DEP_2)
	v_cmp_le_u32_e32 vcc_lo, s23, v5
	v_cndmask_b32_e64 v25, 0, -1, vcc_lo
	v_cmp_le_u32_e32 vcc_lo, s22, v19
	v_cndmask_b32_e64 v19, 0, -1, vcc_lo
	;; [unrolled: 2-line block ×3, first 2 shown]
	v_cmp_eq_u32_e32 vcc_lo, s23, v5
	v_cndmask_b32_e32 v5, v25, v21, vcc_lo
	v_cmp_eq_u32_e32 vcc_lo, s23, v23
	s_delay_alu instid0(VALU_DEP_4) | instskip(NEXT) | instid1(VALU_DEP_3)
	v_cndmask_b32_e32 v19, v44, v19, vcc_lo
	v_cmp_ne_u32_e32 vcc_lo, 0, v5
	v_cndmask_b32_e32 v5, v43, v41, vcc_lo
	s_delay_alu instid0(VALU_DEP_3) | instskip(SKIP_1) | instid1(VALU_DEP_2)
	v_cmp_ne_u32_e64 s0, 0, v19
	v_cndmask_b32_e32 v19, v42, v40, vcc_lo
	v_dual_cndmask_b32 v5, v39, v5, s0 :: v_dual_bitop2_b32 v24, s20, v24 bitop3:0x14
	s_delay_alu instid0(VALU_DEP_1) | instskip(NEXT) | instid1(VALU_DEP_2)
	v_dual_cndmask_b32 v19, v38, v19, s0 :: v_dual_mov_b32 v25, v24
	v_xor_b32_e32 v39, v5, v24
	s_delay_alu instid0(VALU_DEP_2) | instskip(NEXT) | instid1(VALU_DEP_1)
	v_xor_b32_e32 v38, v19, v24
	v_sub_nc_u64_e32 v[24:25], v[38:39], v[24:25]
.LBB57_15:                              ;   in Loop: Header=BB57_13 Depth=2
	s_and_not1_saveexec_b32 s0, s31
	s_cbranch_execz .LBB57_17
; %bb.16:                               ;   in Loop: Header=BB57_13 Depth=2
	v_cvt_f32_u32_e32 v5, s8
	v_mov_b32_e32 v25, v4
	s_delay_alu instid0(VALU_DEP_2) | instskip(SKIP_1) | instid1(TRANS32_DEP_1)
	v_rcp_iflag_f32_e32 v5, v5
	v_nop
	v_mul_f32_e32 v5, 0x4f7ffffe, v5
	s_delay_alu instid0(VALU_DEP_1) | instskip(NEXT) | instid1(VALU_DEP_1)
	v_cvt_u32_f32_e32 v5, v5
	v_mul_lo_u32 v19, s27, v5
	s_delay_alu instid0(VALU_DEP_1) | instskip(NEXT) | instid1(VALU_DEP_1)
	v_mul_hi_u32 v19, v5, v19
	v_add_nc_u32_e32 v5, v5, v19
	s_delay_alu instid0(VALU_DEP_1) | instskip(NEXT) | instid1(VALU_DEP_1)
	v_mul_hi_u32 v5, v22, v5
	v_mul_lo_u32 v19, v5, s8
	s_delay_alu instid0(VALU_DEP_1) | instskip(NEXT) | instid1(VALU_DEP_1)
	v_sub_nc_u32_e32 v19, v22, v19
	v_subrev_nc_u32_e32 v23, s8, v19
	v_cmp_le_u32_e32 vcc_lo, s8, v19
	s_delay_alu instid0(VALU_DEP_2) | instskip(NEXT) | instid1(VALU_DEP_1)
	v_dual_add_nc_u32 v21, 1, v5 :: v_dual_cndmask_b32 v19, v19, v23, vcc_lo
	v_cndmask_b32_e32 v5, v5, v21, vcc_lo
	s_delay_alu instid0(VALU_DEP_2) | instskip(NEXT) | instid1(VALU_DEP_2)
	v_cmp_le_u32_e32 vcc_lo, s8, v19
	v_add_nc_u32_e32 v21, 1, v5
	s_delay_alu instid0(VALU_DEP_1)
	v_cndmask_b32_e32 v24, v5, v21, vcc_lo
.LBB57_17:                              ;   in Loop: Header=BB57_13 Depth=2
	s_or_b32 exec_lo, exec_lo, s0
	s_delay_alu instid0(VALU_DEP_1) | instskip(SKIP_2) | instid1(SALU_CYCLE_1)
	v_cmp_ne_u64_e64 s0, v[24:25], v[16:17]
	v_cmp_eq_u64_e32 vcc_lo, v[24:25], v[16:17]
	s_and_saveexec_b32 s2, s0
	s_xor_b32 s0, exec_lo, s2
; %bb.18:                               ;   in Loop: Header=BB57_13 Depth=2
	v_min_i64 v[14:15], v[24:25], v[14:15]
                                        ; implicit-def: $vgpr22_vgpr23
                                        ; implicit-def: $vgpr3
; %bb.19:                               ;   in Loop: Header=BB57_13 Depth=2
	s_or_saveexec_b32 s0, s0
	v_mov_b32_e32 v5, v18
	s_xor_b32 exec_lo, exec_lo, s0
	s_cbranch_execz .LBB57_12
; %bb.20:                               ;   in Loop: Header=BB57_13 Depth=2
	v_dual_ashrrev_i32 v19, 31, v18 :: v_dual_sub_nc_u32 v5, v22, v20
	s_delay_alu instid0(VALU_DEP_1) | instskip(NEXT) | instid1(VALU_DEP_2)
	v_lshl_add_u64 v[24:25], v[18:19], 2, s[16:17]
	v_lshl_add_u32 v21, v5, 2, v28
	v_mov_b32_e32 v5, v3
	global_load_b32 v19, v[24:25], off
	ds_store_b8 v26, v36 offset:2048
	s_wait_loadcnt 0x0
	ds_store_b32 v21, v19
	s_branch .LBB57_12
.LBB57_21:                              ;   in Loop: Header=BB57_10 Depth=1
	s_or_b32 exec_lo, exec_lo, s30
.LBB57_22:                              ;   in Loop: Header=BB57_10 Depth=1
	s_delay_alu instid0(SALU_CYCLE_1)
	s_or_b32 exec_lo, exec_lo, s29
	ds_bpermute_b32 v3, v30, v5
	s_wait_dscnt 0x0
	ds_load_u8 v16, v26 offset:2048
	v_min_i32_e32 v3, v3, v5
	ds_bpermute_b32 v5, v31, v3
	s_wait_dscnt 0x0
	v_min_i32_e32 v3, v5, v3
	ds_bpermute_b32 v20, v32, v3
	v_and_b32_e32 v3, 1, v16
	s_delay_alu instid0(VALU_DEP_1)
	v_cmp_eq_u32_e32 vcc_lo, 1, v3
	v_mov_b32_e32 v3, 0
	s_and_saveexec_b32 s0, vcc_lo
	s_cbranch_execz .LBB57_9
; %bb.23:                               ;   in Loop: Header=BB57_10 Depth=1
	v_dual_ashrrev_i32 v3, 31, v2 :: v_dual_add_nc_u32 v22, s24, v37
	s_delay_alu instid0(VALU_DEP_1) | instskip(NEXT) | instid1(VALU_DEP_2)
	v_mul_u64_e32 v[16:17], s[12:13], v[2:3]
	v_ashrrev_i32_e32 v23, 31, v22
	global_store_b64 v2, v[22:23], s[4:5] scale_offset
	v_lshlrev_b64_e32 v[16:17], 2, v[16:17]
	s_delay_alu instid0(VALU_DEP_1)
	v_add_nc_u64_e32 v[18:19], v[6:7], v[16:17]
	v_add_nc_u64_e32 v[16:17], v[12:13], v[16:17]
	s_wait_xcnt 0x0
	s_and_saveexec_b32 s2, s25
	s_cbranch_execz .LBB57_27
; %bb.24:                               ;   in Loop: Header=BB57_10 Depth=1
	ds_load_b32 v3, v29
	s_and_b32 vcc_lo, exec_lo, s1
	s_cbranch_vccz .LBB57_30
; %bb.25:                               ;   in Loop: Header=BB57_10 Depth=1
	v_lshl_add_u64 v[22:23], v[8:9], 2, v[18:19]
	s_wait_dscnt 0x0
	global_store_b32 v[22:23], v3, off
	s_cbranch_execnz .LBB57_27
.LBB57_26:                              ;   in Loop: Header=BB57_10 Depth=1
	s_wait_xcnt 0x0
	v_dual_mov_b32 v23, v4 :: v_dual_lshlrev_b32 v22, 2, v0
	s_delay_alu instid0(VALU_DEP_1)
	v_add_nc_u64_e32 v[22:23], v[16:17], v[22:23]
	s_wait_dscnt 0x0
	global_store_b32 v[22:23], v3, off
.LBB57_27:                              ;   in Loop: Header=BB57_10 Depth=1
	s_wait_xcnt 0x0
	s_or_b32 exec_lo, exec_lo, s2
	s_and_saveexec_b32 s2, s26
	s_cbranch_execz .LBB57_8
; %bb.28:                               ;   in Loop: Header=BB57_10 Depth=1
	s_and_not1_b32 vcc_lo, exec_lo, s1
	s_cbranch_vccnz .LBB57_31
; %bb.29:                               ;   in Loop: Header=BB57_10 Depth=1
	s_wait_dscnt 0x0
	ds_load_b32 v3, v29 offset:16
	v_lshl_add_u64 v[18:19], v[10:11], 2, v[18:19]
	s_wait_dscnt 0x0
	global_store_b32 v[18:19], v3, off
	s_cbranch_execnz .LBB57_8
	s_branch .LBB57_32
.LBB57_30:                              ;   in Loop: Header=BB57_10 Depth=1
	s_branch .LBB57_26
.LBB57_31:                              ;   in Loop: Header=BB57_10 Depth=1
.LBB57_32:                              ;   in Loop: Header=BB57_10 Depth=1
	s_wait_dscnt 0x0
	s_wait_xcnt 0x0
	ds_load_b32 v3, v29 offset:16
	v_dual_mov_b32 v19, v4 :: v_dual_lshlrev_b32 v18, 2, v0
	s_delay_alu instid0(VALU_DEP_1)
	v_add_nc_u64_e32 v[16:17], v[16:17], v[18:19]
	s_wait_dscnt 0x0
	global_store_b32 v[16:17], v3, off offset:16
	s_branch .LBB57_8
.LBB57_33:
	s_endpgm
	.section	.rodata,"a",@progbits
	.p2align	6, 0x0
	.amdhsa_kernel _ZN9rocsparseL42csr2bsr_wavefront_per_row_multipass_kernelILj256ELj32ELj8EfilEEv20rocsparse_direction_T4_S2_S2_S2_S2_21rocsparse_index_base_PKT2_PKT3_PKS2_S3_PS4_PS7_PS2_
		.amdhsa_group_segment_fixed_size 2056
		.amdhsa_private_segment_fixed_size 0
		.amdhsa_kernarg_size 112
		.amdhsa_user_sgpr_count 2
		.amdhsa_user_sgpr_dispatch_ptr 0
		.amdhsa_user_sgpr_queue_ptr 0
		.amdhsa_user_sgpr_kernarg_segment_ptr 1
		.amdhsa_user_sgpr_dispatch_id 0
		.amdhsa_user_sgpr_kernarg_preload_length 0
		.amdhsa_user_sgpr_kernarg_preload_offset 0
		.amdhsa_user_sgpr_private_segment_size 0
		.amdhsa_wavefront_size32 1
		.amdhsa_uses_dynamic_stack 0
		.amdhsa_enable_private_segment 0
		.amdhsa_system_sgpr_workgroup_id_x 1
		.amdhsa_system_sgpr_workgroup_id_y 0
		.amdhsa_system_sgpr_workgroup_id_z 0
		.amdhsa_system_sgpr_workgroup_info 0
		.amdhsa_system_vgpr_workitem_id 0
		.amdhsa_next_free_vgpr 50
		.amdhsa_next_free_sgpr 42
		.amdhsa_named_barrier_count 0
		.amdhsa_reserve_vcc 1
		.amdhsa_float_round_mode_32 0
		.amdhsa_float_round_mode_16_64 0
		.amdhsa_float_denorm_mode_32 3
		.amdhsa_float_denorm_mode_16_64 3
		.amdhsa_fp16_overflow 0
		.amdhsa_memory_ordered 1
		.amdhsa_forward_progress 1
		.amdhsa_inst_pref_size 18
		.amdhsa_round_robin_scheduling 0
		.amdhsa_exception_fp_ieee_invalid_op 0
		.amdhsa_exception_fp_denorm_src 0
		.amdhsa_exception_fp_ieee_div_zero 0
		.amdhsa_exception_fp_ieee_overflow 0
		.amdhsa_exception_fp_ieee_underflow 0
		.amdhsa_exception_fp_ieee_inexact 0
		.amdhsa_exception_int_div_zero 0
	.end_amdhsa_kernel
	.section	.text._ZN9rocsparseL42csr2bsr_wavefront_per_row_multipass_kernelILj256ELj32ELj8EfilEEv20rocsparse_direction_T4_S2_S2_S2_S2_21rocsparse_index_base_PKT2_PKT3_PKS2_S3_PS4_PS7_PS2_,"axG",@progbits,_ZN9rocsparseL42csr2bsr_wavefront_per_row_multipass_kernelILj256ELj32ELj8EfilEEv20rocsparse_direction_T4_S2_S2_S2_S2_21rocsparse_index_base_PKT2_PKT3_PKS2_S3_PS4_PS7_PS2_,comdat
.Lfunc_end57:
	.size	_ZN9rocsparseL42csr2bsr_wavefront_per_row_multipass_kernelILj256ELj32ELj8EfilEEv20rocsparse_direction_T4_S2_S2_S2_S2_21rocsparse_index_base_PKT2_PKT3_PKS2_S3_PS4_PS7_PS2_, .Lfunc_end57-_ZN9rocsparseL42csr2bsr_wavefront_per_row_multipass_kernelILj256ELj32ELj8EfilEEv20rocsparse_direction_T4_S2_S2_S2_S2_21rocsparse_index_base_PKT2_PKT3_PKS2_S3_PS4_PS7_PS2_
                                        ; -- End function
	.set _ZN9rocsparseL42csr2bsr_wavefront_per_row_multipass_kernelILj256ELj32ELj8EfilEEv20rocsparse_direction_T4_S2_S2_S2_S2_21rocsparse_index_base_PKT2_PKT3_PKS2_S3_PS4_PS7_PS2_.num_vgpr, 50
	.set _ZN9rocsparseL42csr2bsr_wavefront_per_row_multipass_kernelILj256ELj32ELj8EfilEEv20rocsparse_direction_T4_S2_S2_S2_S2_21rocsparse_index_base_PKT2_PKT3_PKS2_S3_PS4_PS7_PS2_.num_agpr, 0
	.set _ZN9rocsparseL42csr2bsr_wavefront_per_row_multipass_kernelILj256ELj32ELj8EfilEEv20rocsparse_direction_T4_S2_S2_S2_S2_21rocsparse_index_base_PKT2_PKT3_PKS2_S3_PS4_PS7_PS2_.numbered_sgpr, 42
	.set _ZN9rocsparseL42csr2bsr_wavefront_per_row_multipass_kernelILj256ELj32ELj8EfilEEv20rocsparse_direction_T4_S2_S2_S2_S2_21rocsparse_index_base_PKT2_PKT3_PKS2_S3_PS4_PS7_PS2_.num_named_barrier, 0
	.set _ZN9rocsparseL42csr2bsr_wavefront_per_row_multipass_kernelILj256ELj32ELj8EfilEEv20rocsparse_direction_T4_S2_S2_S2_S2_21rocsparse_index_base_PKT2_PKT3_PKS2_S3_PS4_PS7_PS2_.private_seg_size, 0
	.set _ZN9rocsparseL42csr2bsr_wavefront_per_row_multipass_kernelILj256ELj32ELj8EfilEEv20rocsparse_direction_T4_S2_S2_S2_S2_21rocsparse_index_base_PKT2_PKT3_PKS2_S3_PS4_PS7_PS2_.uses_vcc, 1
	.set _ZN9rocsparseL42csr2bsr_wavefront_per_row_multipass_kernelILj256ELj32ELj8EfilEEv20rocsparse_direction_T4_S2_S2_S2_S2_21rocsparse_index_base_PKT2_PKT3_PKS2_S3_PS4_PS7_PS2_.uses_flat_scratch, 0
	.set _ZN9rocsparseL42csr2bsr_wavefront_per_row_multipass_kernelILj256ELj32ELj8EfilEEv20rocsparse_direction_T4_S2_S2_S2_S2_21rocsparse_index_base_PKT2_PKT3_PKS2_S3_PS4_PS7_PS2_.has_dyn_sized_stack, 0
	.set _ZN9rocsparseL42csr2bsr_wavefront_per_row_multipass_kernelILj256ELj32ELj8EfilEEv20rocsparse_direction_T4_S2_S2_S2_S2_21rocsparse_index_base_PKT2_PKT3_PKS2_S3_PS4_PS7_PS2_.has_recursion, 0
	.set _ZN9rocsparseL42csr2bsr_wavefront_per_row_multipass_kernelILj256ELj32ELj8EfilEEv20rocsparse_direction_T4_S2_S2_S2_S2_21rocsparse_index_base_PKT2_PKT3_PKS2_S3_PS4_PS7_PS2_.has_indirect_call, 0
	.section	.AMDGPU.csdata,"",@progbits
; Kernel info:
; codeLenInByte = 2272
; TotalNumSgprs: 44
; NumVgprs: 50
; ScratchSize: 0
; MemoryBound: 0
; FloatMode: 240
; IeeeMode: 1
; LDSByteSize: 2056 bytes/workgroup (compile time only)
; SGPRBlocks: 0
; VGPRBlocks: 3
; NumSGPRsForWavesPerEU: 44
; NumVGPRsForWavesPerEU: 50
; NamedBarCnt: 0
; Occupancy: 16
; WaveLimiterHint : 0
; COMPUTE_PGM_RSRC2:SCRATCH_EN: 0
; COMPUTE_PGM_RSRC2:USER_SGPR: 2
; COMPUTE_PGM_RSRC2:TRAP_HANDLER: 0
; COMPUTE_PGM_RSRC2:TGID_X_EN: 1
; COMPUTE_PGM_RSRC2:TGID_Y_EN: 0
; COMPUTE_PGM_RSRC2:TGID_Z_EN: 0
; COMPUTE_PGM_RSRC2:TIDIG_COMP_CNT: 0
	.section	.text._ZN9rocsparseL42csr2bsr_wavefront_per_row_multipass_kernelILj256ELj64ELj16EfilEEv20rocsparse_direction_T4_S2_S2_S2_S2_21rocsparse_index_base_PKT2_PKT3_PKS2_S3_PS4_PS7_PS2_,"axG",@progbits,_ZN9rocsparseL42csr2bsr_wavefront_per_row_multipass_kernelILj256ELj64ELj16EfilEEv20rocsparse_direction_T4_S2_S2_S2_S2_21rocsparse_index_base_PKT2_PKT3_PKS2_S3_PS4_PS7_PS2_,comdat
	.globl	_ZN9rocsparseL42csr2bsr_wavefront_per_row_multipass_kernelILj256ELj64ELj16EfilEEv20rocsparse_direction_T4_S2_S2_S2_S2_21rocsparse_index_base_PKT2_PKT3_PKS2_S3_PS4_PS7_PS2_ ; -- Begin function _ZN9rocsparseL42csr2bsr_wavefront_per_row_multipass_kernelILj256ELj64ELj16EfilEEv20rocsparse_direction_T4_S2_S2_S2_S2_21rocsparse_index_base_PKT2_PKT3_PKS2_S3_PS4_PS7_PS2_
	.p2align	8
	.type	_ZN9rocsparseL42csr2bsr_wavefront_per_row_multipass_kernelILj256ELj64ELj16EfilEEv20rocsparse_direction_T4_S2_S2_S2_S2_21rocsparse_index_base_PKT2_PKT3_PKS2_S3_PS4_PS7_PS2_,@function
_ZN9rocsparseL42csr2bsr_wavefront_per_row_multipass_kernelILj256ELj64ELj16EfilEEv20rocsparse_direction_T4_S2_S2_S2_S2_21rocsparse_index_base_PKT2_PKT3_PKS2_S3_PS4_PS7_PS2_: ; @_ZN9rocsparseL42csr2bsr_wavefront_per_row_multipass_kernelILj256ELj64ELj16EfilEEv20rocsparse_direction_T4_S2_S2_S2_S2_21rocsparse_index_base_PKT2_PKT3_PKS2_S3_PS4_PS7_PS2_
; %bb.0:
	s_bfe_u32 s2, ttmp6, 0x4000c
	s_clause 0x1
	s_load_b96 s[8:10], s[0:1], 0x28
	s_load_b64 s[14:15], s[0:1], 0x40
	s_add_co_i32 s2, s2, 1
	s_and_b32 s3, ttmp6, 15
	s_mul_i32 s2, ttmp9, s2
	s_getreg_b32 s4, hwreg(HW_REG_IB_STS2, 6, 4)
	s_add_co_i32 s3, s3, s2
	s_cmp_eq_u32 s4, 0
	v_dual_mov_b32 v31, 0 :: v_dual_lshrrev_b32 v30, 6, v0
	s_cselect_b32 s12, ttmp9, s3
	v_bfe_u32 v6, v0, 2, 4
	s_ashr_i32 s13, s12, 31
	v_mov_b32_e32 v24, 0
	s_lshl_b64 s[2:3], s[12:13], 2
	s_delay_alu instid0(SALU_CYCLE_1) | instskip(SKIP_2) | instid1(VALU_DEP_1)
	v_dual_mov_b32 v7, v31 :: v_dual_bitop2_b32 v1, s2, v30 bitop3:0x54
	s_load_b128 s[4:7], s[0:1], 0x18
	s_wait_kmcnt 0x0
	v_mad_nc_u64_u32 v[2:3], v1, s8, v[6:7]
	s_delay_alu instid0(VALU_DEP_1) | instskip(SKIP_1) | instid1(VALU_DEP_1)
	v_mad_u32 v3, s3, s8, v3
	s_load_b64 s[2:3], s[0:1], 0x8
	v_mad_u32 v3, v1, s9, v3
	s_wait_kmcnt 0x0
	s_delay_alu instid0(VALU_DEP_1) | instskip(SKIP_2) | instid1(SALU_CYCLE_1)
	v_cmp_gt_i64_e32 vcc_lo, s[2:3], v[2:3]
	v_cmp_gt_i64_e64 s2, s[8:9], v[6:7]
	s_and_b32 s3, s2, vcc_lo
	s_and_saveexec_b32 s11, s3
	s_cbranch_execz .LBB58_2
; %bb.1:
	v_lshl_add_u64 v[4:5], v[2:3], 2, s[14:15]
	global_load_b32 v1, v[4:5], off
	s_wait_loadcnt 0x0
	v_subrev_nc_u32_e32 v24, s10, v1
.LBB58_2:
	s_or_b32 exec_lo, exec_lo, s11
	s_and_saveexec_b32 s11, s3
	s_cbranch_execz .LBB58_4
; %bb.3:
	v_lshl_add_u64 v[2:3], v[2:3], 2, s[14:15]
	global_load_b32 v1, v[2:3], off offset:4
	s_wait_loadcnt 0x0
	v_subrev_nc_u32_e32 v31, s10, v1
.LBB58_4:
	s_or_b32 exec_lo, exec_lo, s11
	s_load_b32 s24, s[0:1], 0x50
	v_mov_b32_e32 v5, 0
	v_lshl_or_b32 v4, s12, 2, v30
	s_mov_b32 s3, exec_lo
	s_delay_alu instid0(VALU_DEP_2) | instskip(NEXT) | instid1(VALU_DEP_2)
	v_mov_b32_e32 v2, v5
	v_cmpx_gt_i64_e64 s[4:5], v[4:5]
	s_cbranch_execz .LBB58_6
; %bb.5:
	s_load_b64 s[4:5], s[0:1], 0x60
	s_wait_kmcnt 0x0
	v_lshl_add_u64 v[2:3], v[4:5], 2, s[4:5]
	global_load_b32 v1, v[2:3], off
	s_wait_loadcnt 0x0
	v_subrev_nc_u32_e32 v2, s24, v1
.LBB58_6:
	s_or_b32 exec_lo, exec_lo, s3
	v_cmp_lt_i64_e64 s3, s[6:7], 1
	s_and_b32 vcc_lo, exec_lo, s3
	s_cbranch_vccnz .LBB58_43
; %bb.7:
	v_dual_lshlrev_b32 v8, 2, v6 :: v_dual_lshlrev_b32 v1, 6, v6
	v_mbcnt_lo_u32_b32 v3, -1, 0
	v_dual_mov_b32 v4, 0 :: v_dual_bitop2_b32 v0, 3, v0 bitop3:0x40
	s_clause 0x1
	s_load_b64 s[20:21], s[0:1], 0x58
	s_load_b64 s[4:5], s[0:1], 0x68
	v_lshl_or_b32 v32, v30, 10, v1
	v_dual_mov_b32 v9, v4 :: v_dual_bitop2_b32 v1, 2, v3 bitop3:0x14
	v_mul_u64_e32 v[16:17], s[8:9], v[6:7]
	v_dual_mov_b32 v19, v4 :: v_dual_bitop2_b32 v18, 4, v0 bitop3:0x54
	s_delay_alu instid0(VALU_DEP_3) | instskip(SKIP_4) | instid1(VALU_DEP_4)
	v_cmp_gt_i32_e32 vcc_lo, 32, v1
	v_xor_b32_e32 v5, 1, v3
	v_dual_mov_b32 v21, v4 :: v_dual_bitop2_b32 v20, 8, v0 bitop3:0x54
	v_dual_mov_b32 v23, v4 :: v_dual_bitop2_b32 v22, 12, v0 bitop3:0x54
	v_cndmask_b32_e32 v1, v3, v1, vcc_lo
	v_cmp_gt_i32_e32 vcc_lo, 32, v5
	v_mul_u64_e32 v[10:11], s[8:9], v[18:19]
	v_mul_u64_e32 v[12:13], s[8:9], v[20:21]
	;; [unrolled: 1-line block ×3, first 2 shown]
	v_lshlrev_b32_e32 v34, 2, v1
	v_dual_cndmask_b32 v5, v3, v5, vcc_lo :: v_dual_bitop2_b32 v1, 32, v3 bitop3:0x54
	s_wait_kmcnt 0x0
	v_add_nc_u64_e32 v[6:7], s[20:21], v[8:9]
	s_clause 0x2
	s_load_b64 s[14:15], s[0:1], 0x48
	s_load_b64 s[16:17], s[0:1], 0x38
	s_load_b32 s3, s[0:1], 0x0
	v_lshl_or_b32 v36, v3, 2, 12
	v_lshlrev_b32_e32 v35, 2, v5
	v_cmp_gt_i32_e32 vcc_lo, 32, v1
	s_wait_xcnt 0x0
	v_cmp_gt_u64_e64 s0, s[8:9], v[18:19]
	v_cmp_gt_u64_e64 s1, s[8:9], v[20:21]
	v_mov_b64_e32 v[20:21], 0
	v_lshl_or_b32 v33, v0, 2, v32
	v_dual_cndmask_b32 v5, v3, v1, vcc_lo :: v_dual_mov_b32 v1, v4
	v_xor_b32_e32 v25, 16, v3
	v_bfrev_b32_e32 v40, 0.5
	v_dual_mov_b32 v41, 1 :: v_dual_mov_b32 v42, 0
	s_delay_alu instid0(VALU_DEP_4)
	v_mul_u64_e32 v[8:9], s[8:9], v[0:1]
	v_lshlrev_b32_e32 v37, 2, v5
	v_cmp_gt_i32_e32 vcc_lo, 32, v25
	v_xor_b32_e32 v26, 8, v3
	v_lshl_add_u64 v[16:17], v[16:17], 2, s[20:21]
	s_mov_b32 s11, 0
	s_wait_kmcnt 0x0
	s_cmp_lg_u32 s3, 0
	v_dual_cndmask_b32 v25, v3, v25, vcc_lo :: v_dual_bitop2_b32 v27, 4, v3 bitop3:0x14
	v_cmp_gt_i32_e32 vcc_lo, 32, v26
	v_cmp_gt_u64_e64 s3, s[8:9], v[22:23]
	s_mul_u64 s[12:13], s[8:9], s[8:9]
	v_lshlrev_b32_e32 v38, 2, v25
	s_mov_b32 s18, s10
	v_cndmask_b32_e32 v5, v3, v26, vcc_lo
	v_cmp_gt_i32_e32 vcc_lo, 32, v27
	s_mov_b32 s19, s11
	s_cselect_b32 s25, -1, 0
	s_and_b32 s27, s2, s0
	s_and_b32 s1, s2, s1
	v_cndmask_b32_e32 v3, v3, v27, vcc_lo
	v_cmp_gt_u64_e32 vcc_lo, s[8:9], v[0:1]
	v_lshlrev_b32_e32 v1, 2, v5
	s_and_b32 s28, s2, s3
	s_ashr_i32 s20, s9, 31
	v_lshlrev_b32_e32 v39, 2, v3
	s_sub_co_i32 s29, 0, s8
	s_mov_b32 s30, 0
	s_and_b32 s26, s2, vcc_lo
	s_mov_b64 s[2:3], 0xffffffff
	s_branch .LBB58_10
.LBB58_8:                               ;   in Loop: Header=BB58_10 Depth=1
	s_wait_xcnt 0x0
	s_or_b32 exec_lo, exec_lo, s10
	s_wait_dscnt 0x0
	v_mov_b32_e32 v3, 1
.LBB58_9:                               ;   in Loop: Header=BB58_10 Depth=1
	s_or_b32 exec_lo, exec_lo, s0
	ds_bpermute_b32 v20, v37, v18
	ds_bpermute_b32 v21, v37, v19
	s_wait_storecnt_dscnt 0x0
	v_add_nc_u32_e32 v2, v3, v2
	v_min_i64 v[18:19], v[20:21], v[18:19]
	ds_bpermute_b32 v20, v38, v18
	ds_bpermute_b32 v21, v38, v19
	s_wait_dscnt 0x0
	v_min_i64 v[18:19], v[20:21], v[18:19]
	ds_bpermute_b32 v20, v1, v18
	ds_bpermute_b32 v21, v1, v19
	s_wait_dscnt 0x0
	;; [unrolled: 4-line block ×5, first 2 shown]
	v_min_i64 v[18:19], v[20:21], v[18:19]
	ds_bpermute_b32 v20, v40, v18
	s_wait_dscnt 0x0
	v_dual_mov_b32 v42, v20 :: v_dual_ashrrev_i32 v21, 31, v20
	s_delay_alu instid0(VALU_DEP_1) | instskip(SKIP_1) | instid1(SALU_CYCLE_1)
	v_cmp_le_i64_e32 vcc_lo, s[6:7], v[20:21]
	s_or_b32 s30, vcc_lo, s30
	s_and_not1_b32 exec_lo, exec_lo, s30
	s_cbranch_execz .LBB58_43
.LBB58_10:                              ; =>This Loop Header: Depth=1
                                        ;     Child Loop BB58_13 Depth 2
	v_mov_b64_e32 v[18:19], s[6:7]
	v_dual_mov_b32 v5, v31 :: v_dual_add_nc_u32 v22, v24, v0
	s_mov_b32 s31, exec_lo
	ds_store_b8 v30, v4 offset:4096
	ds_store_2addr_b32 v33, v4, v4 offset1:4
	ds_store_2addr_b32 v33, v4, v4 offset0:8 offset1:12
	s_wait_dscnt 0x0
	v_cmpx_lt_i32_e64 v22, v31
	s_cbranch_execz .LBB58_22
; %bb.11:                               ;   in Loop: Header=BB58_10 Depth=1
	v_mul_u64_e32 v[24:25], s[8:9], v[20:21]
	v_mov_b64_e32 v[18:19], s[6:7]
	v_mov_b32_e32 v3, v31
	s_mov_b32 s33, 0
	s_branch .LBB58_13
.LBB58_12:                              ;   in Loop: Header=BB58_13 Depth=2
	s_wait_xcnt 0x0
	s_or_b32 exec_lo, exec_lo, s0
	v_dual_mov_b32 v3, v5 :: v_dual_add_nc_u32 v22, 4, v22
	s_xor_b32 s10, vcc_lo, -1
	s_delay_alu instid0(VALU_DEP_1) | instskip(SKIP_1) | instid1(SALU_CYCLE_1)
	v_cmp_ge_i32_e64 s0, v22, v31
	s_or_b32 s0, s10, s0
	s_and_b32 s0, exec_lo, s0
	s_delay_alu instid0(SALU_CYCLE_1) | instskip(NEXT) | instid1(SALU_CYCLE_1)
	s_or_b32 s33, s0, s33
	s_and_not1_b32 exec_lo, exec_lo, s33
	s_cbranch_execz .LBB58_21
.LBB58_13:                              ;   Parent Loop BB58_10 Depth=1
                                        ; =>  This Inner Loop Header: Depth=2
	global_load_b64 v[26:27], v22, s[14:15] scale_offset
                                        ; implicit-def: $vgpr28_vgpr29
	s_mov_b32 s0, exec_lo
	s_wait_loadcnt 0x0
	v_sub_nc_u64_e64 v[26:27], v[26:27], s[18:19]
	s_delay_alu instid0(VALU_DEP_1) | instskip(SKIP_1) | instid1(VALU_DEP_1)
	v_or_b32_e32 v5, s9, v27
	s_wait_xcnt 0x0
	v_cmpx_ne_u64_e32 0, v[4:5]
	s_xor_b32 s34, exec_lo, s0
	s_cbranch_execz .LBB58_15
; %bb.14:                               ;   in Loop: Header=BB58_13 Depth=2
	s_mov_b32 s21, s20
	v_dual_mov_b32 v47, v4 :: v_dual_ashrrev_i32 v28, 31, v27
	s_add_nc_u64 s[22:23], s[8:9], s[20:21]
	v_mov_b32_e32 v51, v4
	s_xor_b64 s[22:23], s[22:23], s[20:21]
	s_delay_alu instid0(VALU_DEP_2)
	v_mov_b32_e32 v29, v28
	s_cvt_f32_u32 s0, s22
	s_cvt_f32_u32 s10, s23
	s_sub_nc_u64 s[38:39], 0, s[22:23]
	v_mov_b32_e32 v55, v4
	v_add_nc_u64_e32 v[44:45], v[26:27], v[28:29]
	s_fmamk_f32 s0, s10, 0x4f800000, s0
	s_delay_alu instid0(SALU_CYCLE_3) | instskip(NEXT) | instid1(VALU_DEP_1)
	v_s_rcp_f32 s0, s0
	v_xor_b32_e32 v50, v45, v28
	s_delay_alu instid0(VALU_DEP_2) | instskip(NEXT) | instid1(TRANS32_DEP_1)
	v_xor_b32_e32 v46, v44, v28
	s_mul_f32 s0, s0, 0x5f7ffffc
	s_delay_alu instid0(SALU_CYCLE_3) | instskip(NEXT) | instid1(SALU_CYCLE_3)
	s_mul_f32 s10, s0, 0x2f800000
	s_trunc_f32 s10, s10
	s_delay_alu instid0(SALU_CYCLE_3) | instskip(SKIP_1) | instid1(SALU_CYCLE_2)
	s_fmamk_f32 s0, s10, 0xcf800000, s0
	s_cvt_u32_f32 s37, s10
	s_cvt_u32_f32 s36, s0
	s_delay_alu instid0(SALU_CYCLE_3) | instskip(NEXT) | instid1(SALU_CYCLE_1)
	s_mul_u64 s[40:41], s[38:39], s[36:37]
	s_mul_hi_u32 s43, s36, s41
	s_mul_i32 s42, s36, s41
	s_mul_hi_u32 s10, s36, s40
	s_mul_i32 s21, s37, s40
	s_add_nc_u64 s[42:43], s[10:11], s[42:43]
	s_mul_hi_u32 s0, s37, s40
	s_mul_hi_u32 s35, s37, s41
	s_add_co_u32 s10, s42, s21
	s_add_co_ci_u32 s10, s43, s0
	s_mul_i32 s40, s37, s41
	s_add_co_ci_u32 s41, s35, 0
	s_delay_alu instid0(SALU_CYCLE_1) | instskip(NEXT) | instid1(SALU_CYCLE_1)
	s_add_nc_u64 s[40:41], s[10:11], s[40:41]
	s_add_co_u32 s36, s36, s40
	s_cselect_b32 s0, -1, 0
	s_delay_alu instid0(SALU_CYCLE_1) | instskip(SKIP_1) | instid1(SALU_CYCLE_1)
	s_cmp_lg_u32 s0, 0
	s_add_co_ci_u32 s37, s37, s41
	s_mul_u64 s[38:39], s[38:39], s[36:37]
	s_delay_alu instid0(SALU_CYCLE_1)
	s_mul_hi_u32 s41, s36, s39
	s_mul_i32 s40, s36, s39
	s_mul_hi_u32 s10, s36, s38
	s_mul_i32 s21, s37, s38
	s_add_nc_u64 s[40:41], s[10:11], s[40:41]
	s_mul_hi_u32 s0, s37, s38
	s_mul_hi_u32 s35, s37, s39
	s_add_co_u32 s10, s40, s21
	s_add_co_ci_u32 s10, s41, s0
	s_mul_i32 s38, s37, s39
	s_add_co_ci_u32 s39, s35, 0
	s_delay_alu instid0(SALU_CYCLE_1) | instskip(NEXT) | instid1(SALU_CYCLE_1)
	s_add_nc_u64 s[38:39], s[10:11], s[38:39]
	s_add_co_u32 s0, s36, s38
	s_cselect_b32 s10, -1, 0
	v_mul_hi_u32 v54, v46, s0
	s_cmp_lg_u32 s10, 0
	s_add_co_ci_u32 s10, s37, s39
	s_and_b64 s[36:37], s[0:1], s[2:3]
	v_mul_u64_e32 v[48:49], s[10:11], v[46:47]
	v_mul_u64_e32 v[44:45], s[36:37], v[50:51]
	;; [unrolled: 1-line block ×3, first 2 shown]
	s_delay_alu instid0(VALU_DEP_3) | instskip(NEXT) | instid1(VALU_DEP_1)
	v_add_nc_u64_e32 v[48:49], v[54:55], v[48:49]
	v_add_co_u32 v5, vcc_lo, v48, v44
	s_delay_alu instid0(VALU_DEP_2) | instskip(NEXT) | instid1(VALU_DEP_4)
	v_add_co_ci_u32_e32 v54, vcc_lo, v49, v45, vcc_lo
	v_add_co_ci_u32_e32 v53, vcc_lo, 0, v53, vcc_lo
	s_delay_alu instid0(VALU_DEP_1) | instskip(NEXT) | instid1(VALU_DEP_1)
	v_add_nc_u64_e32 v[44:45], v[54:55], v[52:53]
	v_mul_u64_e32 v[48:49], s[22:23], v[44:45]
	s_delay_alu instid0(VALU_DEP_1) | instskip(NEXT) | instid1(VALU_DEP_2)
	v_sub_nc_u32_e32 v5, v50, v49
	v_sub_co_u32 v23, vcc_lo, v46, v48
	s_delay_alu instid0(VALU_DEP_1) | instskip(NEXT) | instid1(VALU_DEP_3)
	v_sub_co_ci_u32_e64 v27, null, v50, v49, vcc_lo
	v_subrev_co_ci_u32_e64 v5, null, s23, v5, vcc_lo
	s_delay_alu instid0(VALU_DEP_3) | instskip(SKIP_1) | instid1(VALU_DEP_3)
	v_sub_co_u32 v25, s0, v23, s22
	v_add_nc_u64_e32 v[46:47], 2, v[44:45]
	v_subrev_co_ci_u32_e64 v5, null, 0, v5, s0
	s_delay_alu instid0(VALU_DEP_3) | instskip(SKIP_2) | instid1(VALU_DEP_4)
	v_cmp_le_u32_e32 vcc_lo, s22, v25
	v_add_nc_u64_e32 v[48:49], 1, v[44:45]
	v_cndmask_b32_e64 v25, 0, -1, vcc_lo
	v_cmp_le_u32_e32 vcc_lo, s23, v5
	v_cndmask_b32_e64 v29, 0, -1, vcc_lo
	v_cmp_le_u32_e32 vcc_lo, s22, v23
	;; [unrolled: 2-line block ×3, first 2 shown]
	v_cndmask_b32_e64 v43, 0, -1, vcc_lo
	v_cmp_eq_u32_e32 vcc_lo, s23, v5
	v_cndmask_b32_e32 v5, v29, v25, vcc_lo
	v_cmp_eq_u32_e32 vcc_lo, s23, v27
	s_delay_alu instid0(VALU_DEP_4) | instskip(NEXT) | instid1(VALU_DEP_3)
	v_cndmask_b32_e32 v23, v43, v23, vcc_lo
	v_cmp_ne_u32_e32 vcc_lo, 0, v5
	s_delay_alu instid0(VALU_DEP_2) | instskip(SKIP_1) | instid1(VALU_DEP_1)
	v_cmp_ne_u32_e64 s0, 0, v23
	v_dual_cndmask_b32 v5, v49, v47, vcc_lo :: v_dual_cndmask_b32 v23, v48, v46, vcc_lo
	v_dual_cndmask_b32 v5, v45, v5, s0 :: v_dual_bitop2_b32 v28, s20, v28 bitop3:0x14
	s_delay_alu instid0(VALU_DEP_1) | instskip(NEXT) | instid1(VALU_DEP_1)
	v_dual_cndmask_b32 v23, v44, v23, s0 :: v_dual_bitop2_b32 v45, v5, v28 bitop3:0x14
	v_dual_mov_b32 v29, v28 :: v_dual_bitop2_b32 v44, v23, v28 bitop3:0x14
	s_delay_alu instid0(VALU_DEP_1)
	v_sub_nc_u64_e32 v[28:29], v[44:45], v[28:29]
.LBB58_15:                              ;   in Loop: Header=BB58_13 Depth=2
	s_and_not1_saveexec_b32 s0, s34
	s_cbranch_execz .LBB58_17
; %bb.16:                               ;   in Loop: Header=BB58_13 Depth=2
	v_cvt_f32_u32_e32 v5, s8
	v_mov_b32_e32 v29, v4
	s_delay_alu instid0(VALU_DEP_2) | instskip(SKIP_1) | instid1(TRANS32_DEP_1)
	v_rcp_iflag_f32_e32 v5, v5
	v_nop
	v_mul_f32_e32 v5, 0x4f7ffffe, v5
	s_delay_alu instid0(VALU_DEP_1) | instskip(NEXT) | instid1(VALU_DEP_1)
	v_cvt_u32_f32_e32 v5, v5
	v_mul_lo_u32 v23, s29, v5
	s_delay_alu instid0(VALU_DEP_1) | instskip(NEXT) | instid1(VALU_DEP_1)
	v_mul_hi_u32 v23, v5, v23
	v_add_nc_u32_e32 v5, v5, v23
	s_delay_alu instid0(VALU_DEP_1) | instskip(NEXT) | instid1(VALU_DEP_1)
	v_mul_hi_u32 v5, v26, v5
	v_mul_lo_u32 v23, v5, s8
	s_delay_alu instid0(VALU_DEP_1) | instskip(NEXT) | instid1(VALU_DEP_1)
	v_sub_nc_u32_e32 v23, v26, v23
	v_subrev_nc_u32_e32 v27, s8, v23
	v_cmp_le_u32_e32 vcc_lo, s8, v23
	s_delay_alu instid0(VALU_DEP_2) | instskip(NEXT) | instid1(VALU_DEP_1)
	v_dual_add_nc_u32 v25, 1, v5 :: v_dual_cndmask_b32 v23, v23, v27, vcc_lo
	v_cndmask_b32_e32 v5, v5, v25, vcc_lo
	s_delay_alu instid0(VALU_DEP_2) | instskip(NEXT) | instid1(VALU_DEP_2)
	v_cmp_le_u32_e32 vcc_lo, s8, v23
	v_add_nc_u32_e32 v25, 1, v5
	s_delay_alu instid0(VALU_DEP_1)
	v_cndmask_b32_e32 v28, v5, v25, vcc_lo
.LBB58_17:                              ;   in Loop: Header=BB58_13 Depth=2
	s_or_b32 exec_lo, exec_lo, s0
	s_delay_alu instid0(VALU_DEP_1) | instskip(SKIP_2) | instid1(SALU_CYCLE_1)
	v_cmp_ne_u64_e64 s0, v[28:29], v[20:21]
	v_cmp_eq_u64_e32 vcc_lo, v[28:29], v[20:21]
	s_and_saveexec_b32 s10, s0
	s_xor_b32 s0, exec_lo, s10
; %bb.18:                               ;   in Loop: Header=BB58_13 Depth=2
	v_min_i64 v[18:19], v[28:29], v[18:19]
                                        ; implicit-def: $vgpr26_vgpr27
                                        ; implicit-def: $vgpr3
; %bb.19:                               ;   in Loop: Header=BB58_13 Depth=2
	s_or_saveexec_b32 s0, s0
	v_mov_b32_e32 v5, v22
	s_xor_b32 exec_lo, exec_lo, s0
	s_cbranch_execz .LBB58_12
; %bb.20:                               ;   in Loop: Header=BB58_13 Depth=2
	v_dual_ashrrev_i32 v23, 31, v22 :: v_dual_sub_nc_u32 v5, v26, v24
	s_delay_alu instid0(VALU_DEP_1) | instskip(NEXT) | instid1(VALU_DEP_2)
	v_lshl_add_u64 v[28:29], v[22:23], 2, s[16:17]
	v_lshl_add_u32 v25, v5, 2, v32
	v_mov_b32_e32 v5, v3
	global_load_b32 v23, v[28:29], off
	ds_store_b8 v30, v41 offset:4096
	s_wait_loadcnt 0x0
	ds_store_b32 v25, v23
	s_branch .LBB58_12
.LBB58_21:                              ;   in Loop: Header=BB58_10 Depth=1
	s_or_b32 exec_lo, exec_lo, s33
.LBB58_22:                              ;   in Loop: Header=BB58_10 Depth=1
	s_delay_alu instid0(SALU_CYCLE_1)
	s_or_b32 exec_lo, exec_lo, s31
	ds_bpermute_b32 v3, v34, v5
	s_wait_dscnt 0x0
	ds_load_u8 v20, v30 offset:4096
	v_min_i32_e32 v3, v3, v5
	ds_bpermute_b32 v5, v35, v3
	s_wait_dscnt 0x0
	v_min_i32_e32 v3, v5, v3
	ds_bpermute_b32 v24, v36, v3
	v_and_b32_e32 v3, 1, v20
	s_delay_alu instid0(VALU_DEP_1)
	v_cmp_eq_u32_e32 vcc_lo, 1, v3
	v_mov_b32_e32 v3, 0
	s_and_saveexec_b32 s0, vcc_lo
	s_cbranch_execz .LBB58_9
; %bb.23:                               ;   in Loop: Header=BB58_10 Depth=1
	v_ashrrev_i32_e32 v3, 31, v2
	v_add_nc_u32_e32 v26, s24, v42
	s_delay_alu instid0(VALU_DEP_2) | instskip(NEXT) | instid1(VALU_DEP_2)
	v_mul_u64_e32 v[20:21], s[12:13], v[2:3]
	v_ashrrev_i32_e32 v27, 31, v26
	global_store_b64 v2, v[26:27], s[4:5] scale_offset
	v_lshlrev_b64_e32 v[20:21], 2, v[20:21]
	s_delay_alu instid0(VALU_DEP_1)
	v_add_nc_u64_e32 v[22:23], v[6:7], v[20:21]
	v_add_nc_u64_e32 v[20:21], v[16:17], v[20:21]
	s_wait_xcnt 0x0
	s_and_saveexec_b32 s10, s26
	s_cbranch_execz .LBB58_27
; %bb.24:                               ;   in Loop: Header=BB58_10 Depth=1
	ds_load_b32 v3, v33
	s_and_b32 vcc_lo, exec_lo, s25
	s_cbranch_vccz .LBB58_38
; %bb.25:                               ;   in Loop: Header=BB58_10 Depth=1
	v_lshl_add_u64 v[26:27], v[8:9], 2, v[22:23]
	s_wait_dscnt 0x0
	global_store_b32 v[26:27], v3, off
	s_cbranch_execnz .LBB58_27
.LBB58_26:                              ;   in Loop: Header=BB58_10 Depth=1
	s_wait_xcnt 0x0
	v_dual_mov_b32 v27, v4 :: v_dual_lshlrev_b32 v26, 2, v0
	s_delay_alu instid0(VALU_DEP_1)
	v_add_nc_u64_e32 v[26:27], v[20:21], v[26:27]
	s_wait_dscnt 0x0
	global_store_b32 v[26:27], v3, off
.LBB58_27:                              ;   in Loop: Header=BB58_10 Depth=1
	s_wait_xcnt 0x0
	s_or_b32 exec_lo, exec_lo, s10
	s_and_saveexec_b32 s10, s27
	s_cbranch_execz .LBB58_31
; %bb.28:                               ;   in Loop: Header=BB58_10 Depth=1
	s_and_not1_b32 vcc_lo, exec_lo, s25
	s_cbranch_vccnz .LBB58_39
; %bb.29:                               ;   in Loop: Header=BB58_10 Depth=1
	s_wait_dscnt 0x0
	ds_load_b32 v3, v33 offset:16
	v_lshl_add_u64 v[26:27], v[10:11], 2, v[22:23]
	s_wait_dscnt 0x0
	global_store_b32 v[26:27], v3, off
	s_cbranch_execnz .LBB58_31
.LBB58_30:                              ;   in Loop: Header=BB58_10 Depth=1
	s_wait_dscnt 0x0
	s_wait_xcnt 0x0
	ds_load_b32 v3, v33 offset:16
	v_dual_mov_b32 v27, v4 :: v_dual_lshlrev_b32 v26, 2, v0
	s_delay_alu instid0(VALU_DEP_1)
	v_add_nc_u64_e32 v[26:27], v[20:21], v[26:27]
	s_wait_dscnt 0x0
	global_store_b32 v[26:27], v3, off offset:16
.LBB58_31:                              ;   in Loop: Header=BB58_10 Depth=1
	s_wait_xcnt 0x0
	s_or_b32 exec_lo, exec_lo, s10
	s_and_saveexec_b32 s10, s1
	s_cbranch_execz .LBB58_35
; %bb.32:                               ;   in Loop: Header=BB58_10 Depth=1
	s_and_not1_b32 vcc_lo, exec_lo, s25
	s_cbranch_vccnz .LBB58_40
; %bb.33:                               ;   in Loop: Header=BB58_10 Depth=1
	s_wait_dscnt 0x0
	ds_load_b32 v3, v33 offset:32
	v_lshl_add_u64 v[26:27], v[12:13], 2, v[22:23]
	s_wait_dscnt 0x0
	global_store_b32 v[26:27], v3, off
	s_cbranch_execnz .LBB58_35
.LBB58_34:                              ;   in Loop: Header=BB58_10 Depth=1
	s_wait_dscnt 0x0
	s_wait_xcnt 0x0
	ds_load_b32 v3, v33 offset:32
	v_dual_mov_b32 v27, v4 :: v_dual_lshlrev_b32 v26, 2, v0
	s_delay_alu instid0(VALU_DEP_1)
	v_add_nc_u64_e32 v[26:27], v[20:21], v[26:27]
	s_wait_dscnt 0x0
	global_store_b32 v[26:27], v3, off offset:32
.LBB58_35:                              ;   in Loop: Header=BB58_10 Depth=1
	s_wait_xcnt 0x0
	s_or_b32 exec_lo, exec_lo, s10
	s_and_saveexec_b32 s10, s28
	s_cbranch_execz .LBB58_8
; %bb.36:                               ;   in Loop: Header=BB58_10 Depth=1
	s_and_not1_b32 vcc_lo, exec_lo, s25
	s_cbranch_vccnz .LBB58_41
; %bb.37:                               ;   in Loop: Header=BB58_10 Depth=1
	s_wait_dscnt 0x0
	ds_load_b32 v3, v33 offset:48
	v_lshl_add_u64 v[22:23], v[14:15], 2, v[22:23]
	s_wait_dscnt 0x0
	global_store_b32 v[22:23], v3, off
	s_cbranch_execnz .LBB58_8
	s_branch .LBB58_42
.LBB58_38:                              ;   in Loop: Header=BB58_10 Depth=1
	s_branch .LBB58_26
.LBB58_39:                              ;   in Loop: Header=BB58_10 Depth=1
	s_branch .LBB58_30
.LBB58_40:                              ;   in Loop: Header=BB58_10 Depth=1
	s_branch .LBB58_34
.LBB58_41:                              ;   in Loop: Header=BB58_10 Depth=1
.LBB58_42:                              ;   in Loop: Header=BB58_10 Depth=1
	s_wait_dscnt 0x0
	s_wait_xcnt 0x0
	ds_load_b32 v3, v33 offset:48
	v_dual_mov_b32 v23, v4 :: v_dual_lshlrev_b32 v22, 2, v0
	s_delay_alu instid0(VALU_DEP_1)
	v_add_nc_u64_e32 v[20:21], v[20:21], v[22:23]
	s_wait_dscnt 0x0
	global_store_b32 v[20:21], v3, off offset:48
	s_branch .LBB58_8
.LBB58_43:
	s_endpgm
	.section	.rodata,"a",@progbits
	.p2align	6, 0x0
	.amdhsa_kernel _ZN9rocsparseL42csr2bsr_wavefront_per_row_multipass_kernelILj256ELj64ELj16EfilEEv20rocsparse_direction_T4_S2_S2_S2_S2_21rocsparse_index_base_PKT2_PKT3_PKS2_S3_PS4_PS7_PS2_
		.amdhsa_group_segment_fixed_size 4100
		.amdhsa_private_segment_fixed_size 0
		.amdhsa_kernarg_size 112
		.amdhsa_user_sgpr_count 2
		.amdhsa_user_sgpr_dispatch_ptr 0
		.amdhsa_user_sgpr_queue_ptr 0
		.amdhsa_user_sgpr_kernarg_segment_ptr 1
		.amdhsa_user_sgpr_dispatch_id 0
		.amdhsa_user_sgpr_kernarg_preload_length 0
		.amdhsa_user_sgpr_kernarg_preload_offset 0
		.amdhsa_user_sgpr_private_segment_size 0
		.amdhsa_wavefront_size32 1
		.amdhsa_uses_dynamic_stack 0
		.amdhsa_enable_private_segment 0
		.amdhsa_system_sgpr_workgroup_id_x 1
		.amdhsa_system_sgpr_workgroup_id_y 0
		.amdhsa_system_sgpr_workgroup_id_z 0
		.amdhsa_system_sgpr_workgroup_info 0
		.amdhsa_system_vgpr_workitem_id 0
		.amdhsa_next_free_vgpr 56
		.amdhsa_next_free_sgpr 44
		.amdhsa_named_barrier_count 0
		.amdhsa_reserve_vcc 1
		.amdhsa_float_round_mode_32 0
		.amdhsa_float_round_mode_16_64 0
		.amdhsa_float_denorm_mode_32 3
		.amdhsa_float_denorm_mode_16_64 3
		.amdhsa_fp16_overflow 0
		.amdhsa_memory_ordered 1
		.amdhsa_forward_progress 1
		.amdhsa_inst_pref_size 21
		.amdhsa_round_robin_scheduling 0
		.amdhsa_exception_fp_ieee_invalid_op 0
		.amdhsa_exception_fp_denorm_src 0
		.amdhsa_exception_fp_ieee_div_zero 0
		.amdhsa_exception_fp_ieee_overflow 0
		.amdhsa_exception_fp_ieee_underflow 0
		.amdhsa_exception_fp_ieee_inexact 0
		.amdhsa_exception_int_div_zero 0
	.end_amdhsa_kernel
	.section	.text._ZN9rocsparseL42csr2bsr_wavefront_per_row_multipass_kernelILj256ELj64ELj16EfilEEv20rocsparse_direction_T4_S2_S2_S2_S2_21rocsparse_index_base_PKT2_PKT3_PKS2_S3_PS4_PS7_PS2_,"axG",@progbits,_ZN9rocsparseL42csr2bsr_wavefront_per_row_multipass_kernelILj256ELj64ELj16EfilEEv20rocsparse_direction_T4_S2_S2_S2_S2_21rocsparse_index_base_PKT2_PKT3_PKS2_S3_PS4_PS7_PS2_,comdat
.Lfunc_end58:
	.size	_ZN9rocsparseL42csr2bsr_wavefront_per_row_multipass_kernelILj256ELj64ELj16EfilEEv20rocsparse_direction_T4_S2_S2_S2_S2_21rocsparse_index_base_PKT2_PKT3_PKS2_S3_PS4_PS7_PS2_, .Lfunc_end58-_ZN9rocsparseL42csr2bsr_wavefront_per_row_multipass_kernelILj256ELj64ELj16EfilEEv20rocsparse_direction_T4_S2_S2_S2_S2_21rocsparse_index_base_PKT2_PKT3_PKS2_S3_PS4_PS7_PS2_
                                        ; -- End function
	.set _ZN9rocsparseL42csr2bsr_wavefront_per_row_multipass_kernelILj256ELj64ELj16EfilEEv20rocsparse_direction_T4_S2_S2_S2_S2_21rocsparse_index_base_PKT2_PKT3_PKS2_S3_PS4_PS7_PS2_.num_vgpr, 56
	.set _ZN9rocsparseL42csr2bsr_wavefront_per_row_multipass_kernelILj256ELj64ELj16EfilEEv20rocsparse_direction_T4_S2_S2_S2_S2_21rocsparse_index_base_PKT2_PKT3_PKS2_S3_PS4_PS7_PS2_.num_agpr, 0
	.set _ZN9rocsparseL42csr2bsr_wavefront_per_row_multipass_kernelILj256ELj64ELj16EfilEEv20rocsparse_direction_T4_S2_S2_S2_S2_21rocsparse_index_base_PKT2_PKT3_PKS2_S3_PS4_PS7_PS2_.numbered_sgpr, 44
	.set _ZN9rocsparseL42csr2bsr_wavefront_per_row_multipass_kernelILj256ELj64ELj16EfilEEv20rocsparse_direction_T4_S2_S2_S2_S2_21rocsparse_index_base_PKT2_PKT3_PKS2_S3_PS4_PS7_PS2_.num_named_barrier, 0
	.set _ZN9rocsparseL42csr2bsr_wavefront_per_row_multipass_kernelILj256ELj64ELj16EfilEEv20rocsparse_direction_T4_S2_S2_S2_S2_21rocsparse_index_base_PKT2_PKT3_PKS2_S3_PS4_PS7_PS2_.private_seg_size, 0
	.set _ZN9rocsparseL42csr2bsr_wavefront_per_row_multipass_kernelILj256ELj64ELj16EfilEEv20rocsparse_direction_T4_S2_S2_S2_S2_21rocsparse_index_base_PKT2_PKT3_PKS2_S3_PS4_PS7_PS2_.uses_vcc, 1
	.set _ZN9rocsparseL42csr2bsr_wavefront_per_row_multipass_kernelILj256ELj64ELj16EfilEEv20rocsparse_direction_T4_S2_S2_S2_S2_21rocsparse_index_base_PKT2_PKT3_PKS2_S3_PS4_PS7_PS2_.uses_flat_scratch, 0
	.set _ZN9rocsparseL42csr2bsr_wavefront_per_row_multipass_kernelILj256ELj64ELj16EfilEEv20rocsparse_direction_T4_S2_S2_S2_S2_21rocsparse_index_base_PKT2_PKT3_PKS2_S3_PS4_PS7_PS2_.has_dyn_sized_stack, 0
	.set _ZN9rocsparseL42csr2bsr_wavefront_per_row_multipass_kernelILj256ELj64ELj16EfilEEv20rocsparse_direction_T4_S2_S2_S2_S2_21rocsparse_index_base_PKT2_PKT3_PKS2_S3_PS4_PS7_PS2_.has_recursion, 0
	.set _ZN9rocsparseL42csr2bsr_wavefront_per_row_multipass_kernelILj256ELj64ELj16EfilEEv20rocsparse_direction_T4_S2_S2_S2_S2_21rocsparse_index_base_PKT2_PKT3_PKS2_S3_PS4_PS7_PS2_.has_indirect_call, 0
	.section	.AMDGPU.csdata,"",@progbits
; Kernel info:
; codeLenInByte = 2604
; TotalNumSgprs: 46
; NumVgprs: 56
; ScratchSize: 0
; MemoryBound: 0
; FloatMode: 240
; IeeeMode: 1
; LDSByteSize: 4100 bytes/workgroup (compile time only)
; SGPRBlocks: 0
; VGPRBlocks: 3
; NumSGPRsForWavesPerEU: 46
; NumVGPRsForWavesPerEU: 56
; NamedBarCnt: 0
; Occupancy: 16
; WaveLimiterHint : 0
; COMPUTE_PGM_RSRC2:SCRATCH_EN: 0
; COMPUTE_PGM_RSRC2:USER_SGPR: 2
; COMPUTE_PGM_RSRC2:TRAP_HANDLER: 0
; COMPUTE_PGM_RSRC2:TGID_X_EN: 1
; COMPUTE_PGM_RSRC2:TGID_Y_EN: 0
; COMPUTE_PGM_RSRC2:TGID_Z_EN: 0
; COMPUTE_PGM_RSRC2:TIDIG_COMP_CNT: 0
	.section	.text._ZN9rocsparseL42csr2bsr_wavefront_per_row_multipass_kernelILj256ELj32ELj16EfilEEv20rocsparse_direction_T4_S2_S2_S2_S2_21rocsparse_index_base_PKT2_PKT3_PKS2_S3_PS4_PS7_PS2_,"axG",@progbits,_ZN9rocsparseL42csr2bsr_wavefront_per_row_multipass_kernelILj256ELj32ELj16EfilEEv20rocsparse_direction_T4_S2_S2_S2_S2_21rocsparse_index_base_PKT2_PKT3_PKS2_S3_PS4_PS7_PS2_,comdat
	.globl	_ZN9rocsparseL42csr2bsr_wavefront_per_row_multipass_kernelILj256ELj32ELj16EfilEEv20rocsparse_direction_T4_S2_S2_S2_S2_21rocsparse_index_base_PKT2_PKT3_PKS2_S3_PS4_PS7_PS2_ ; -- Begin function _ZN9rocsparseL42csr2bsr_wavefront_per_row_multipass_kernelILj256ELj32ELj16EfilEEv20rocsparse_direction_T4_S2_S2_S2_S2_21rocsparse_index_base_PKT2_PKT3_PKS2_S3_PS4_PS7_PS2_
	.p2align	8
	.type	_ZN9rocsparseL42csr2bsr_wavefront_per_row_multipass_kernelILj256ELj32ELj16EfilEEv20rocsparse_direction_T4_S2_S2_S2_S2_21rocsparse_index_base_PKT2_PKT3_PKS2_S3_PS4_PS7_PS2_,@function
_ZN9rocsparseL42csr2bsr_wavefront_per_row_multipass_kernelILj256ELj32ELj16EfilEEv20rocsparse_direction_T4_S2_S2_S2_S2_21rocsparse_index_base_PKT2_PKT3_PKS2_S3_PS4_PS7_PS2_: ; @_ZN9rocsparseL42csr2bsr_wavefront_per_row_multipass_kernelILj256ELj32ELj16EfilEEv20rocsparse_direction_T4_S2_S2_S2_S2_21rocsparse_index_base_PKT2_PKT3_PKS2_S3_PS4_PS7_PS2_
; %bb.0:
	s_bfe_u32 s2, ttmp6, 0x4000c
	s_clause 0x1
	s_load_b96 s[12:14], s[0:1], 0x28
	s_load_b64 s[6:7], s[0:1], 0x40
	s_add_co_i32 s2, s2, 1
	s_and_b32 s3, ttmp6, 15
	s_mul_i32 s2, ttmp9, s2
	s_getreg_b32 s4, hwreg(HW_REG_IB_STS2, 6, 4)
	s_add_co_i32 s3, s3, s2
	s_cmp_eq_u32 s4, 0
	v_dual_mov_b32 v39, 0 :: v_dual_lshrrev_b32 v38, 5, v0
	s_cselect_b32 s4, ttmp9, s3
	v_bfe_u32 v8, v0, 1, 4
	s_ashr_i32 s5, s4, 31
	v_mov_b32_e32 v32, 0
	s_lshl_b64 s[2:3], s[4:5], 3
	s_delay_alu instid0(SALU_CYCLE_1) | instskip(SKIP_2) | instid1(VALU_DEP_1)
	v_dual_mov_b32 v9, v39 :: v_dual_bitop2_b32 v1, s2, v38 bitop3:0x54
	s_load_b128 s[8:11], s[0:1], 0x18
	s_wait_kmcnt 0x0
	v_mad_nc_u64_u32 v[2:3], v1, s12, v[8:9]
	s_delay_alu instid0(VALU_DEP_1) | instskip(SKIP_1) | instid1(VALU_DEP_1)
	v_mad_u32 v3, s3, s12, v3
	s_load_b64 s[2:3], s[0:1], 0x8
	v_mad_u32 v3, v1, s13, v3
	s_wait_kmcnt 0x0
	s_delay_alu instid0(VALU_DEP_1) | instskip(SKIP_2) | instid1(SALU_CYCLE_1)
	v_cmp_gt_i64_e32 vcc_lo, s[2:3], v[2:3]
	v_cmp_gt_i64_e64 s2, s[12:13], v[8:9]
	s_and_b32 s3, s2, vcc_lo
	s_and_saveexec_b32 s5, s3
	s_cbranch_execz .LBB59_2
; %bb.1:
	v_lshl_add_u64 v[4:5], v[2:3], 2, s[6:7]
	global_load_b32 v1, v[4:5], off
	s_wait_loadcnt 0x0
	v_subrev_nc_u32_e32 v32, s14, v1
.LBB59_2:
	s_or_b32 exec_lo, exec_lo, s5
	s_and_saveexec_b32 s5, s3
	s_cbranch_execz .LBB59_4
; %bb.3:
	v_lshl_add_u64 v[2:3], v[2:3], 2, s[6:7]
	global_load_b32 v1, v[2:3], off offset:4
	s_wait_loadcnt 0x0
	v_subrev_nc_u32_e32 v39, s14, v1
.LBB59_4:
	s_or_b32 exec_lo, exec_lo, s5
	s_load_b32 s24, s[0:1], 0x50
	v_mov_b32_e32 v5, 0
	v_lshl_or_b32 v4, s4, 3, v38
	s_mov_b32 s3, exec_lo
	s_delay_alu instid0(VALU_DEP_2) | instskip(NEXT) | instid1(VALU_DEP_2)
	v_mov_b32_e32 v2, v5
	v_cmpx_gt_i64_e64 s[8:9], v[4:5]
	s_cbranch_execz .LBB59_6
; %bb.5:
	s_load_b64 s[4:5], s[0:1], 0x60
	s_wait_kmcnt 0x0
	v_lshl_add_u64 v[2:3], v[4:5], 2, s[4:5]
	global_load_b32 v1, v[2:3], off
	s_wait_loadcnt 0x0
	v_subrev_nc_u32_e32 v2, s24, v1
.LBB59_6:
	s_or_b32 exec_lo, exec_lo, s3
	v_cmp_lt_i64_e64 s3, s[10:11], 1
	s_and_b32 vcc_lo, exec_lo, s3
	s_cbranch_vccnz .LBB59_63
; %bb.7:
	v_mbcnt_lo_u32_b32 v3, -1, 0
	v_dual_lshlrev_b32 v1, 6, v8 :: v_dual_lshlrev_b32 v6, 2, v8
	v_mov_b32_e32 v4, 0
	v_mul_u64_e32 v[24:25], s[12:13], v[8:9]
	s_delay_alu instid0(VALU_DEP_4) | instskip(NEXT) | instid1(VALU_DEP_4)
	v_xor_b32_e32 v5, 1, v3
	v_lshl_or_b32 v40, v38, 10, v1
	s_delay_alu instid0(VALU_DEP_4) | instskip(SKIP_1) | instid1(VALU_DEP_4)
	v_dual_mov_b32 v7, v4 :: v_dual_bitop2_b32 v0, 1, v0 bitop3:0x40
	v_lshl_or_b32 v43, v3, 2, 4
	v_cmp_gt_i32_e32 vcc_lo, 32, v5
	s_delay_alu instid0(VALU_DEP_3) | instskip(SKIP_4) | instid1(VALU_DEP_3)
	v_dual_mov_b32 v27, v4 :: v_dual_bitop2_b32 v26, 2, v0 bitop3:0x54
	v_dual_mov_b32 v29, v4 :: v_dual_bitop2_b32 v28, 4, v0 bitop3:0x54
	v_dual_cndmask_b32 v1, v3, v5, vcc_lo :: v_dual_bitop2_b32 v5, 8, v3 bitop3:0x14
	v_dual_mov_b32 v35, v4 :: v_dual_bitop2_b32 v30, 6, v0 bitop3:0x54
	v_dual_mov_b32 v37, v4 :: v_dual_bitop2_b32 v34, 8, v0 bitop3:0x54
	v_dual_lshlrev_b32 v42, 2, v1 :: v_dual_bitop2_b32 v1, 16, v3 bitop3:0x14
	v_dual_mov_b32 v51, v4 :: v_dual_bitop2_b32 v36, 10, v0 bitop3:0x54
	v_dual_mov_b32 v53, v4 :: v_dual_bitop2_b32 v50, 12, v0 bitop3:0x54
	s_delay_alu instid0(VALU_DEP_3)
	v_cmp_gt_i32_e32 vcc_lo, 32, v1
	v_xor_b32_e32 v8, 4, v3
	v_mul_u64_e32 v[10:11], s[12:13], v[26:27]
	v_mul_u64_e32 v[12:13], s[12:13], v[28:29]
	;; [unrolled: 1-line block ×3, first 2 shown]
	v_cndmask_b32_e32 v33, v3, v1, vcc_lo
	v_cmp_gt_i32_e32 vcc_lo, 32, v5
	v_or_b32_e32 v52, 14, v0
	v_mul_u64_e32 v[18:19], s[12:13], v[36:37]
	v_mul_u64_e32 v[20:21], s[12:13], v[50:51]
	v_lshlrev_b32_e32 v44, 2, v33
	v_cndmask_b32_e32 v5, v3, v5, vcc_lo
	v_cmp_gt_i32_e32 vcc_lo, 32, v8
	v_mov_b32_e32 v1, v4
	v_mul_u64_e32 v[22:23], s[12:13], v[52:53]
	s_clause 0x4
	s_load_b64 s[4:5], s[0:1], 0x58
	s_load_b64 s[8:9], s[0:1], 0x48
	;; [unrolled: 1-line block ×3, first 2 shown]
	s_load_b32 s3, s[0:1], 0x0
	s_load_b64 s[18:19], s[0:1], 0x68
	s_wait_xcnt 0x0
	v_cmp_gt_u64_e64 s0, s[12:13], v[26:27]
	v_dual_cndmask_b32 v46, v3, v8, vcc_lo :: v_dual_bitop2_b32 v8, 2, v3 bitop3:0x14
	v_cmp_gt_u64_e64 s1, s[12:13], v[28:29]
	v_cmp_gt_u64_e64 s6, s[12:13], v[50:51]
	;; [unrolled: 1-line block ×3, first 2 shown]
	v_mov_b64_e32 v[28:29], 0
	v_cmp_gt_i32_e32 vcc_lo, 32, v8
	v_mov_b32_e32 v31, v4
	v_lshl_or_b32 v41, v0, 2, v40
	v_dual_lshlrev_b32 v45, 2, v5 :: v_dual_lshlrev_b32 v46, 2, v46
	v_cndmask_b32_e32 v3, v3, v8, vcc_lo
	v_mul_u64_e32 v[8:9], s[12:13], v[0:1]
	v_mul_u64_e32 v[14:15], s[12:13], v[30:31]
	s_wait_kmcnt 0x0
	v_add_nc_u64_e32 v[6:7], s[4:5], v[6:7]
	v_lshl_add_u64 v[24:25], v[24:25], 2, s[4:5]
	v_cmp_gt_u64_e32 vcc_lo, s[12:13], v[0:1]
	s_cmp_lg_u32 s3, 0
	v_cmp_gt_u64_e64 s3, s[12:13], v[30:31]
	v_cmp_gt_u64_e64 s4, s[12:13], v[34:35]
	;; [unrolled: 1-line block ×3, first 2 shown]
	v_dual_mov_b32 v48, 0x7c :: v_dual_lshlrev_b32 v47, 2, v3
	v_dual_mov_b32 v1, 1 :: v_dual_mov_b32 v49, 0
	s_mov_b32 s15, 0
	s_mul_u64 s[20:21], s[12:13], s[12:13]
	s_mov_b32 s22, s14
	s_mov_b32 s23, s15
	s_cselect_b32 s25, -1, 0
	s_and_b32 s26, s2, vcc_lo
	s_and_b32 s27, s2, s0
	s_and_b32 s1, s2, s1
	;; [unrolled: 1-line block ×7, first 2 shown]
	s_mov_b64 s[2:3], 0xffffffff
	s_ashr_i32 s4, s13, 31
	s_sub_co_i32 s34, 0, s12
	s_mov_b32 s35, 0
	s_branch .LBB59_10
.LBB59_8:                               ;   in Loop: Header=BB59_10 Depth=1
	s_wait_xcnt 0x0
	s_or_b32 exec_lo, exec_lo, s5
	s_wait_dscnt 0x0
	v_mov_b32_e32 v3, 1
.LBB59_9:                               ;   in Loop: Header=BB59_10 Depth=1
	s_or_b32 exec_lo, exec_lo, s0
	ds_bpermute_b32 v28, v44, v26
	ds_bpermute_b32 v29, v44, v27
	s_wait_storecnt_dscnt 0x0
	v_add_nc_u32_e32 v2, v3, v2
	v_min_i64 v[26:27], v[28:29], v[26:27]
	ds_bpermute_b32 v28, v45, v26
	ds_bpermute_b32 v29, v45, v27
	s_wait_dscnt 0x0
	v_min_i64 v[26:27], v[28:29], v[26:27]
	ds_bpermute_b32 v28, v46, v26
	ds_bpermute_b32 v29, v46, v27
	s_wait_dscnt 0x0
	;; [unrolled: 4-line block ×4, first 2 shown]
	v_min_i64 v[26:27], v[28:29], v[26:27]
	ds_bpermute_b32 v28, v48, v26
	s_wait_dscnt 0x0
	v_dual_ashrrev_i32 v29, 31, v28 :: v_dual_mov_b32 v49, v28
	s_delay_alu instid0(VALU_DEP_1) | instskip(SKIP_1) | instid1(SALU_CYCLE_1)
	v_cmp_le_i64_e32 vcc_lo, s[10:11], v[28:29]
	s_or_b32 s35, vcc_lo, s35
	s_and_not1_b32 exec_lo, exec_lo, s35
	s_cbranch_execz .LBB59_63
.LBB59_10:                              ; =>This Loop Header: Depth=1
                                        ;     Child Loop BB59_13 Depth 2
	v_mov_b64_e32 v[26:27], s[10:11]
	v_dual_mov_b32 v5, v39 :: v_dual_add_nc_u32 v30, v32, v0
	s_mov_b32 s36, exec_lo
	ds_store_b8 v38, v4 offset:8192
	ds_store_2addr_b32 v41, v4, v4 offset1:2
	ds_store_2addr_b32 v41, v4, v4 offset0:4 offset1:6
	ds_store_2addr_b32 v41, v4, v4 offset0:8 offset1:10
	;; [unrolled: 1-line block ×3, first 2 shown]
	s_wait_dscnt 0x0
	v_cmpx_lt_i32_e64 v30, v39
	s_cbranch_execz .LBB59_22
; %bb.11:                               ;   in Loop: Header=BB59_10 Depth=1
	v_mul_u64_e32 v[32:33], s[12:13], v[28:29]
	v_mov_b64_e32 v[26:27], s[10:11]
	v_mov_b32_e32 v3, v39
	s_mov_b32 s37, 0
	s_branch .LBB59_13
.LBB59_12:                              ;   in Loop: Header=BB59_13 Depth=2
	s_wait_xcnt 0x0
	s_or_b32 exec_lo, exec_lo, s0
	v_dual_mov_b32 v3, v5 :: v_dual_add_nc_u32 v30, 2, v30
	s_xor_b32 s5, vcc_lo, -1
	s_delay_alu instid0(VALU_DEP_1) | instskip(SKIP_1) | instid1(SALU_CYCLE_1)
	v_cmp_ge_i32_e64 s0, v30, v39
	s_or_b32 s0, s5, s0
	s_and_b32 s0, exec_lo, s0
	s_delay_alu instid0(SALU_CYCLE_1) | instskip(NEXT) | instid1(SALU_CYCLE_1)
	s_or_b32 s37, s0, s37
	s_and_not1_b32 exec_lo, exec_lo, s37
	s_cbranch_execz .LBB59_21
.LBB59_13:                              ;   Parent Loop BB59_10 Depth=1
                                        ; =>  This Inner Loop Header: Depth=2
	global_load_b64 v[34:35], v30, s[8:9] scale_offset
                                        ; implicit-def: $vgpr36_vgpr37
	s_mov_b32 s0, exec_lo
	s_wait_loadcnt 0x0
	v_sub_nc_u64_e64 v[34:35], v[34:35], s[22:23]
	s_delay_alu instid0(VALU_DEP_1) | instskip(SKIP_1) | instid1(VALU_DEP_1)
	v_or_b32_e32 v5, s13, v35
	s_wait_xcnt 0x0
	v_cmpx_ne_u64_e32 0, v[4:5]
	s_xor_b32 s38, exec_lo, s0
	s_cbranch_execz .LBB59_15
; %bb.14:                               ;   in Loop: Header=BB59_13 Depth=2
	s_mov_b32 s5, s4
	v_dual_mov_b32 v53, v4 :: v_dual_ashrrev_i32 v36, 31, v35
	s_add_nc_u64 s[6:7], s[12:13], s[4:5]
	v_mov_b32_e32 v61, v4
	s_xor_b64 s[6:7], s[6:7], s[4:5]
	s_delay_alu instid0(VALU_DEP_2) | instskip(SKIP_3) | instid1(VALU_DEP_1)
	v_mov_b32_e32 v37, v36
	s_cvt_f32_u32 s0, s6
	s_cvt_f32_u32 s5, s7
	s_sub_nc_u64 s[42:43], 0, s[6:7]
	v_add_nc_u64_e32 v[50:51], v[34:35], v[36:37]
	s_delay_alu instid0(SALU_CYCLE_1) | instskip(SKIP_1) | instid1(SALU_CYCLE_2)
	s_fmamk_f32 s0, s5, 0x4f800000, s0
	v_mov_b32_e32 v57, v4
	v_s_rcp_f32 s0, s0
	s_delay_alu instid0(VALU_DEP_2) | instskip(NEXT) | instid1(VALU_DEP_3)
	v_xor_b32_e32 v52, v50, v36
	v_xor_b32_e32 v56, v51, v36
	s_delay_alu instid0(TRANS32_DEP_1) | instskip(NEXT) | instid1(SALU_CYCLE_3)
	s_mul_f32 s0, s0, 0x5f7ffffc
	s_mul_f32 s5, s0, 0x2f800000
	s_delay_alu instid0(SALU_CYCLE_3) | instskip(NEXT) | instid1(SALU_CYCLE_3)
	s_trunc_f32 s5, s5
	s_fmamk_f32 s0, s5, 0xcf800000, s0
	s_cvt_u32_f32 s41, s5
	s_delay_alu instid0(SALU_CYCLE_2) | instskip(NEXT) | instid1(SALU_CYCLE_3)
	s_cvt_u32_f32 s40, s0
	s_mul_u64 s[44:45], s[42:43], s[40:41]
	s_delay_alu instid0(SALU_CYCLE_1)
	s_mul_hi_u32 s47, s40, s45
	s_mul_i32 s46, s40, s45
	s_mul_hi_u32 s14, s40, s44
	s_mul_i32 s5, s41, s44
	s_add_nc_u64 s[46:47], s[14:15], s[46:47]
	s_mul_hi_u32 s0, s41, s44
	s_mul_hi_u32 s39, s41, s45
	s_add_co_u32 s5, s46, s5
	s_add_co_ci_u32 s14, s47, s0
	s_mul_i32 s44, s41, s45
	s_add_co_ci_u32 s45, s39, 0
	s_delay_alu instid0(SALU_CYCLE_1) | instskip(NEXT) | instid1(SALU_CYCLE_1)
	s_add_nc_u64 s[44:45], s[14:15], s[44:45]
	s_add_co_u32 s40, s40, s44
	s_cselect_b32 s0, -1, 0
	s_delay_alu instid0(SALU_CYCLE_1) | instskip(SKIP_1) | instid1(SALU_CYCLE_1)
	s_cmp_lg_u32 s0, 0
	s_add_co_ci_u32 s41, s41, s45
	s_mul_u64 s[42:43], s[42:43], s[40:41]
	s_delay_alu instid0(SALU_CYCLE_1)
	s_mul_hi_u32 s45, s40, s43
	s_mul_i32 s44, s40, s43
	s_mul_hi_u32 s14, s40, s42
	s_mul_i32 s5, s41, s42
	s_add_nc_u64 s[44:45], s[14:15], s[44:45]
	s_mul_hi_u32 s0, s41, s42
	s_mul_hi_u32 s39, s41, s43
	s_add_co_u32 s5, s44, s5
	s_add_co_ci_u32 s14, s45, s0
	s_mul_i32 s42, s41, s43
	s_add_co_ci_u32 s43, s39, 0
	s_delay_alu instid0(SALU_CYCLE_1) | instskip(NEXT) | instid1(SALU_CYCLE_1)
	s_add_nc_u64 s[42:43], s[14:15], s[42:43]
	s_add_co_u32 s0, s40, s42
	s_cselect_b32 s5, -1, 0
	v_mul_hi_u32 v60, v52, s0
	s_cmp_lg_u32 s5, 0
	s_add_co_ci_u32 s14, s41, s43
	s_and_b64 s[40:41], s[0:1], s[2:3]
	v_mul_u64_e32 v[54:55], s[14:15], v[52:53]
	v_mul_u64_e32 v[50:51], s[40:41], v[56:57]
	;; [unrolled: 1-line block ×3, first 2 shown]
	s_delay_alu instid0(VALU_DEP_3) | instskip(NEXT) | instid1(VALU_DEP_1)
	v_add_nc_u64_e32 v[54:55], v[60:61], v[54:55]
	v_add_co_u32 v5, vcc_lo, v54, v50
	s_delay_alu instid0(VALU_DEP_2) | instskip(NEXT) | instid1(VALU_DEP_4)
	v_add_co_ci_u32_e32 v60, vcc_lo, v55, v51, vcc_lo
	v_add_co_ci_u32_e32 v59, vcc_lo, 0, v59, vcc_lo
	s_delay_alu instid0(VALU_DEP_1) | instskip(NEXT) | instid1(VALU_DEP_1)
	v_add_nc_u64_e32 v[50:51], v[60:61], v[58:59]
	v_mul_u64_e32 v[54:55], s[6:7], v[50:51]
	s_delay_alu instid0(VALU_DEP_1) | instskip(SKIP_1) | instid1(VALU_DEP_3)
	v_sub_co_u32 v31, vcc_lo, v52, v54
	v_add_nc_u64_e32 v[52:53], 2, v[50:51]
	v_sub_nc_u32_e32 v5, v56, v55
	v_sub_co_ci_u32_e64 v35, null, v56, v55, vcc_lo
	s_delay_alu instid0(VALU_DEP_4) | instskip(NEXT) | instid1(VALU_DEP_3)
	v_sub_co_u32 v33, s0, v31, s6
	v_subrev_co_ci_u32_e64 v5, null, s7, v5, vcc_lo
	v_add_nc_u64_e32 v[54:55], 1, v[50:51]
	s_delay_alu instid0(VALU_DEP_3) | instskip(NEXT) | instid1(VALU_DEP_3)
	v_cmp_le_u32_e32 vcc_lo, s6, v33
	v_subrev_co_ci_u32_e64 v5, null, 0, v5, s0
	v_cndmask_b32_e64 v33, 0, -1, vcc_lo
	s_delay_alu instid0(VALU_DEP_2)
	v_cmp_le_u32_e32 vcc_lo, s7, v5
	v_cndmask_b32_e64 v37, 0, -1, vcc_lo
	v_cmp_le_u32_e32 vcc_lo, s6, v31
	v_cndmask_b32_e64 v31, 0, -1, vcc_lo
	;; [unrolled: 2-line block ×3, first 2 shown]
	v_cmp_eq_u32_e32 vcc_lo, s7, v5
	v_cndmask_b32_e32 v5, v37, v33, vcc_lo
	v_cmp_eq_u32_e32 vcc_lo, s7, v35
	s_delay_alu instid0(VALU_DEP_4) | instskip(NEXT) | instid1(VALU_DEP_3)
	v_cndmask_b32_e32 v31, v56, v31, vcc_lo
	v_cmp_ne_u32_e32 vcc_lo, 0, v5
	v_cndmask_b32_e32 v5, v55, v53, vcc_lo
	s_delay_alu instid0(VALU_DEP_3) | instskip(SKIP_1) | instid1(VALU_DEP_2)
	v_cmp_ne_u32_e64 s0, 0, v31
	v_cndmask_b32_e32 v31, v54, v52, vcc_lo
	v_dual_cndmask_b32 v5, v51, v5, s0 :: v_dual_bitop2_b32 v36, s4, v36 bitop3:0x14
	s_delay_alu instid0(VALU_DEP_1) | instskip(NEXT) | instid1(VALU_DEP_2)
	v_dual_cndmask_b32 v31, v50, v31, s0 :: v_dual_mov_b32 v37, v36
	v_xor_b32_e32 v51, v5, v36
	s_delay_alu instid0(VALU_DEP_2) | instskip(NEXT) | instid1(VALU_DEP_1)
	v_xor_b32_e32 v50, v31, v36
	v_sub_nc_u64_e32 v[36:37], v[50:51], v[36:37]
.LBB59_15:                              ;   in Loop: Header=BB59_13 Depth=2
	s_and_not1_saveexec_b32 s0, s38
	s_cbranch_execz .LBB59_17
; %bb.16:                               ;   in Loop: Header=BB59_13 Depth=2
	v_cvt_f32_u32_e32 v5, s12
	v_mov_b32_e32 v37, v4
	s_delay_alu instid0(VALU_DEP_2) | instskip(SKIP_1) | instid1(TRANS32_DEP_1)
	v_rcp_iflag_f32_e32 v5, v5
	v_nop
	v_mul_f32_e32 v5, 0x4f7ffffe, v5
	s_delay_alu instid0(VALU_DEP_1) | instskip(NEXT) | instid1(VALU_DEP_1)
	v_cvt_u32_f32_e32 v5, v5
	v_mul_lo_u32 v31, s34, v5
	s_delay_alu instid0(VALU_DEP_1) | instskip(NEXT) | instid1(VALU_DEP_1)
	v_mul_hi_u32 v31, v5, v31
	v_add_nc_u32_e32 v5, v5, v31
	s_delay_alu instid0(VALU_DEP_1) | instskip(NEXT) | instid1(VALU_DEP_1)
	v_mul_hi_u32 v5, v34, v5
	v_mul_lo_u32 v31, v5, s12
	s_delay_alu instid0(VALU_DEP_1) | instskip(NEXT) | instid1(VALU_DEP_1)
	v_sub_nc_u32_e32 v31, v34, v31
	v_subrev_nc_u32_e32 v35, s12, v31
	v_cmp_le_u32_e32 vcc_lo, s12, v31
	s_delay_alu instid0(VALU_DEP_2) | instskip(NEXT) | instid1(VALU_DEP_1)
	v_dual_add_nc_u32 v33, 1, v5 :: v_dual_cndmask_b32 v31, v31, v35, vcc_lo
	v_cndmask_b32_e32 v5, v5, v33, vcc_lo
	s_delay_alu instid0(VALU_DEP_2) | instskip(NEXT) | instid1(VALU_DEP_2)
	v_cmp_le_u32_e32 vcc_lo, s12, v31
	v_add_nc_u32_e32 v33, 1, v5
	s_delay_alu instid0(VALU_DEP_1)
	v_cndmask_b32_e32 v36, v5, v33, vcc_lo
.LBB59_17:                              ;   in Loop: Header=BB59_13 Depth=2
	s_or_b32 exec_lo, exec_lo, s0
	s_delay_alu instid0(VALU_DEP_1) | instskip(SKIP_2) | instid1(SALU_CYCLE_1)
	v_cmp_ne_u64_e64 s0, v[36:37], v[28:29]
	v_cmp_eq_u64_e32 vcc_lo, v[36:37], v[28:29]
	s_and_saveexec_b32 s5, s0
	s_xor_b32 s0, exec_lo, s5
; %bb.18:                               ;   in Loop: Header=BB59_13 Depth=2
	v_min_i64 v[26:27], v[36:37], v[26:27]
                                        ; implicit-def: $vgpr34_vgpr35
                                        ; implicit-def: $vgpr3
; %bb.19:                               ;   in Loop: Header=BB59_13 Depth=2
	s_or_saveexec_b32 s0, s0
	v_mov_b32_e32 v5, v30
	s_xor_b32 exec_lo, exec_lo, s0
	s_cbranch_execz .LBB59_12
; %bb.20:                               ;   in Loop: Header=BB59_13 Depth=2
	v_dual_ashrrev_i32 v31, 31, v30 :: v_dual_sub_nc_u32 v5, v34, v32
	s_delay_alu instid0(VALU_DEP_1) | instskip(NEXT) | instid1(VALU_DEP_2)
	v_lshl_add_u64 v[36:37], v[30:31], 2, s[16:17]
	v_lshl_add_u32 v33, v5, 2, v40
	v_mov_b32_e32 v5, v3
	global_load_b32 v31, v[36:37], off
	ds_store_b8 v38, v1 offset:8192
	s_wait_loadcnt 0x0
	ds_store_b32 v33, v31
	s_branch .LBB59_12
.LBB59_21:                              ;   in Loop: Header=BB59_10 Depth=1
	s_or_b32 exec_lo, exec_lo, s37
.LBB59_22:                              ;   in Loop: Header=BB59_10 Depth=1
	s_delay_alu instid0(SALU_CYCLE_1)
	s_or_b32 exec_lo, exec_lo, s36
	ds_bpermute_b32 v3, v42, v5
	s_wait_dscnt 0x0
	ds_load_u8 v28, v38 offset:8192
	v_min_i32_e32 v3, v3, v5
	ds_bpermute_b32 v32, v43, v3
	s_wait_dscnt 0x1
	v_and_b32_e32 v3, 1, v28
	s_delay_alu instid0(VALU_DEP_1)
	v_cmp_eq_u32_e32 vcc_lo, 1, v3
	v_mov_b32_e32 v3, 0
	s_and_saveexec_b32 s0, vcc_lo
	s_cbranch_execz .LBB59_9
; %bb.23:                               ;   in Loop: Header=BB59_10 Depth=1
	v_dual_ashrrev_i32 v3, 31, v2 :: v_dual_add_nc_u32 v34, s24, v49
	s_delay_alu instid0(VALU_DEP_1) | instskip(NEXT) | instid1(VALU_DEP_2)
	v_mul_u64_e32 v[28:29], s[20:21], v[2:3]
	v_ashrrev_i32_e32 v35, 31, v34
	global_store_b64 v2, v[34:35], s[18:19] scale_offset
	v_lshlrev_b64_e32 v[28:29], 2, v[28:29]
	s_delay_alu instid0(VALU_DEP_1)
	v_add_nc_u64_e32 v[30:31], v[6:7], v[28:29]
	v_add_nc_u64_e32 v[28:29], v[24:25], v[28:29]
	s_wait_xcnt 0x0
	s_and_saveexec_b32 s5, s26
	s_cbranch_execz .LBB59_27
; %bb.24:                               ;   in Loop: Header=BB59_10 Depth=1
	ds_load_b32 v3, v41
	s_and_b32 vcc_lo, exec_lo, s25
	s_cbranch_vccz .LBB59_54
; %bb.25:                               ;   in Loop: Header=BB59_10 Depth=1
	v_lshl_add_u64 v[34:35], v[8:9], 2, v[30:31]
	s_wait_dscnt 0x0
	global_store_b32 v[34:35], v3, off
	s_cbranch_execnz .LBB59_27
.LBB59_26:                              ;   in Loop: Header=BB59_10 Depth=1
	s_wait_xcnt 0x0
	v_dual_mov_b32 v35, v4 :: v_dual_lshlrev_b32 v34, 2, v0
	s_delay_alu instid0(VALU_DEP_1)
	v_add_nc_u64_e32 v[34:35], v[28:29], v[34:35]
	s_wait_dscnt 0x0
	global_store_b32 v[34:35], v3, off
.LBB59_27:                              ;   in Loop: Header=BB59_10 Depth=1
	s_wait_xcnt 0x0
	s_or_b32 exec_lo, exec_lo, s5
	s_and_saveexec_b32 s5, s27
	s_cbranch_execz .LBB59_31
; %bb.28:                               ;   in Loop: Header=BB59_10 Depth=1
	s_and_not1_b32 vcc_lo, exec_lo, s25
	s_cbranch_vccnz .LBB59_55
; %bb.29:                               ;   in Loop: Header=BB59_10 Depth=1
	s_wait_dscnt 0x0
	ds_load_b32 v3, v41 offset:8
	v_lshl_add_u64 v[34:35], v[10:11], 2, v[30:31]
	s_wait_dscnt 0x0
	global_store_b32 v[34:35], v3, off
	s_cbranch_execnz .LBB59_31
.LBB59_30:                              ;   in Loop: Header=BB59_10 Depth=1
	s_wait_dscnt 0x0
	s_wait_xcnt 0x0
	ds_load_b32 v3, v41 offset:8
	v_dual_mov_b32 v35, v4 :: v_dual_lshlrev_b32 v34, 2, v0
	s_delay_alu instid0(VALU_DEP_1)
	v_add_nc_u64_e32 v[34:35], v[28:29], v[34:35]
	s_wait_dscnt 0x0
	global_store_b32 v[34:35], v3, off offset:8
.LBB59_31:                              ;   in Loop: Header=BB59_10 Depth=1
	s_wait_xcnt 0x0
	s_or_b32 exec_lo, exec_lo, s5
	s_and_saveexec_b32 s5, s1
	s_cbranch_execz .LBB59_35
; %bb.32:                               ;   in Loop: Header=BB59_10 Depth=1
	s_and_not1_b32 vcc_lo, exec_lo, s25
	s_cbranch_vccnz .LBB59_56
; %bb.33:                               ;   in Loop: Header=BB59_10 Depth=1
	s_wait_dscnt 0x0
	ds_load_b32 v3, v41 offset:16
	v_lshl_add_u64 v[34:35], v[12:13], 2, v[30:31]
	s_wait_dscnt 0x0
	global_store_b32 v[34:35], v3, off
	s_cbranch_execnz .LBB59_35
.LBB59_34:                              ;   in Loop: Header=BB59_10 Depth=1
	s_wait_dscnt 0x0
	s_wait_xcnt 0x0
	ds_load_b32 v3, v41 offset:16
	v_dual_mov_b32 v35, v4 :: v_dual_lshlrev_b32 v34, 2, v0
	s_delay_alu instid0(VALU_DEP_1)
	v_add_nc_u64_e32 v[34:35], v[28:29], v[34:35]
	s_wait_dscnt 0x0
	global_store_b32 v[34:35], v3, off offset:16
.LBB59_35:                              ;   in Loop: Header=BB59_10 Depth=1
	s_wait_xcnt 0x0
	s_or_b32 exec_lo, exec_lo, s5
	s_and_saveexec_b32 s5, s28
	s_cbranch_execz .LBB59_39
; %bb.36:                               ;   in Loop: Header=BB59_10 Depth=1
	s_and_not1_b32 vcc_lo, exec_lo, s25
	s_cbranch_vccnz .LBB59_57
; %bb.37:                               ;   in Loop: Header=BB59_10 Depth=1
	s_wait_dscnt 0x0
	ds_load_b32 v3, v41 offset:24
	v_lshl_add_u64 v[34:35], v[14:15], 2, v[30:31]
	s_wait_dscnt 0x0
	global_store_b32 v[34:35], v3, off
	s_cbranch_execnz .LBB59_39
.LBB59_38:                              ;   in Loop: Header=BB59_10 Depth=1
	s_wait_dscnt 0x0
	s_wait_xcnt 0x0
	ds_load_b32 v3, v41 offset:24
	v_dual_mov_b32 v35, v4 :: v_dual_lshlrev_b32 v34, 2, v0
	s_delay_alu instid0(VALU_DEP_1)
	v_add_nc_u64_e32 v[34:35], v[28:29], v[34:35]
	s_wait_dscnt 0x0
	global_store_b32 v[34:35], v3, off offset:24
.LBB59_39:                              ;   in Loop: Header=BB59_10 Depth=1
	s_wait_xcnt 0x0
	s_or_b32 exec_lo, exec_lo, s5
	s_and_saveexec_b32 s5, s29
	s_cbranch_execz .LBB59_43
; %bb.40:                               ;   in Loop: Header=BB59_10 Depth=1
	s_and_not1_b32 vcc_lo, exec_lo, s25
	s_cbranch_vccnz .LBB59_58
; %bb.41:                               ;   in Loop: Header=BB59_10 Depth=1
	s_wait_dscnt 0x0
	ds_load_b32 v3, v41 offset:32
	v_lshl_add_u64 v[34:35], v[16:17], 2, v[30:31]
	s_wait_dscnt 0x0
	global_store_b32 v[34:35], v3, off
	s_cbranch_execnz .LBB59_43
.LBB59_42:                              ;   in Loop: Header=BB59_10 Depth=1
	s_wait_dscnt 0x0
	s_wait_xcnt 0x0
	ds_load_b32 v3, v41 offset:32
	v_dual_mov_b32 v35, v4 :: v_dual_lshlrev_b32 v34, 2, v0
	s_delay_alu instid0(VALU_DEP_1)
	v_add_nc_u64_e32 v[34:35], v[28:29], v[34:35]
	s_wait_dscnt 0x0
	global_store_b32 v[34:35], v3, off offset:32
.LBB59_43:                              ;   in Loop: Header=BB59_10 Depth=1
	s_wait_xcnt 0x0
	s_or_b32 exec_lo, exec_lo, s5
	s_and_saveexec_b32 s5, s30
	s_cbranch_execz .LBB59_47
; %bb.44:                               ;   in Loop: Header=BB59_10 Depth=1
	s_and_not1_b32 vcc_lo, exec_lo, s25
	s_cbranch_vccnz .LBB59_59
; %bb.45:                               ;   in Loop: Header=BB59_10 Depth=1
	s_wait_dscnt 0x0
	ds_load_b32 v3, v41 offset:40
	v_lshl_add_u64 v[34:35], v[18:19], 2, v[30:31]
	s_wait_dscnt 0x0
	global_store_b32 v[34:35], v3, off
	s_cbranch_execnz .LBB59_47
.LBB59_46:                              ;   in Loop: Header=BB59_10 Depth=1
	s_wait_dscnt 0x0
	s_wait_xcnt 0x0
	ds_load_b32 v3, v41 offset:40
	v_dual_mov_b32 v35, v4 :: v_dual_lshlrev_b32 v34, 2, v0
	s_delay_alu instid0(VALU_DEP_1)
	v_add_nc_u64_e32 v[34:35], v[28:29], v[34:35]
	s_wait_dscnt 0x0
	global_store_b32 v[34:35], v3, off offset:40
.LBB59_47:                              ;   in Loop: Header=BB59_10 Depth=1
	s_wait_xcnt 0x0
	s_or_b32 exec_lo, exec_lo, s5
	s_and_saveexec_b32 s5, s31
	s_cbranch_execz .LBB59_51
; %bb.48:                               ;   in Loop: Header=BB59_10 Depth=1
	s_and_not1_b32 vcc_lo, exec_lo, s25
	s_cbranch_vccnz .LBB59_60
; %bb.49:                               ;   in Loop: Header=BB59_10 Depth=1
	s_wait_dscnt 0x0
	ds_load_b32 v3, v41 offset:48
	v_lshl_add_u64 v[34:35], v[20:21], 2, v[30:31]
	s_wait_dscnt 0x0
	global_store_b32 v[34:35], v3, off
	s_cbranch_execnz .LBB59_51
.LBB59_50:                              ;   in Loop: Header=BB59_10 Depth=1
	s_wait_dscnt 0x0
	s_wait_xcnt 0x0
	ds_load_b32 v3, v41 offset:48
	v_dual_mov_b32 v35, v4 :: v_dual_lshlrev_b32 v34, 2, v0
	s_delay_alu instid0(VALU_DEP_1)
	v_add_nc_u64_e32 v[34:35], v[28:29], v[34:35]
	s_wait_dscnt 0x0
	global_store_b32 v[34:35], v3, off offset:48
.LBB59_51:                              ;   in Loop: Header=BB59_10 Depth=1
	s_wait_xcnt 0x0
	s_or_b32 exec_lo, exec_lo, s5
	s_and_saveexec_b32 s5, s33
	s_cbranch_execz .LBB59_8
; %bb.52:                               ;   in Loop: Header=BB59_10 Depth=1
	s_and_not1_b32 vcc_lo, exec_lo, s25
	s_cbranch_vccnz .LBB59_61
; %bb.53:                               ;   in Loop: Header=BB59_10 Depth=1
	s_wait_dscnt 0x0
	ds_load_b32 v3, v41 offset:56
	v_lshl_add_u64 v[30:31], v[22:23], 2, v[30:31]
	s_wait_dscnt 0x0
	global_store_b32 v[30:31], v3, off
	s_cbranch_execnz .LBB59_8
	s_branch .LBB59_62
.LBB59_54:                              ;   in Loop: Header=BB59_10 Depth=1
	s_branch .LBB59_26
.LBB59_55:                              ;   in Loop: Header=BB59_10 Depth=1
	s_branch .LBB59_30
.LBB59_56:                              ;   in Loop: Header=BB59_10 Depth=1
	s_branch .LBB59_34
.LBB59_57:                              ;   in Loop: Header=BB59_10 Depth=1
	s_branch .LBB59_38
.LBB59_58:                              ;   in Loop: Header=BB59_10 Depth=1
	s_branch .LBB59_42
.LBB59_59:                              ;   in Loop: Header=BB59_10 Depth=1
	s_branch .LBB59_46
.LBB59_60:                              ;   in Loop: Header=BB59_10 Depth=1
	s_branch .LBB59_50
.LBB59_61:                              ;   in Loop: Header=BB59_10 Depth=1
.LBB59_62:                              ;   in Loop: Header=BB59_10 Depth=1
	s_wait_dscnt 0x0
	s_wait_xcnt 0x0
	ds_load_b32 v3, v41 offset:56
	v_dual_mov_b32 v31, v4 :: v_dual_lshlrev_b32 v30, 2, v0
	s_delay_alu instid0(VALU_DEP_1)
	v_add_nc_u64_e32 v[28:29], v[28:29], v[30:31]
	s_wait_dscnt 0x0
	global_store_b32 v[28:29], v3, off offset:56
	s_branch .LBB59_8
.LBB59_63:
	s_endpgm
	.section	.rodata,"a",@progbits
	.p2align	6, 0x0
	.amdhsa_kernel _ZN9rocsparseL42csr2bsr_wavefront_per_row_multipass_kernelILj256ELj32ELj16EfilEEv20rocsparse_direction_T4_S2_S2_S2_S2_21rocsparse_index_base_PKT2_PKT3_PKS2_S3_PS4_PS7_PS2_
		.amdhsa_group_segment_fixed_size 8200
		.amdhsa_private_segment_fixed_size 0
		.amdhsa_kernarg_size 112
		.amdhsa_user_sgpr_count 2
		.amdhsa_user_sgpr_dispatch_ptr 0
		.amdhsa_user_sgpr_queue_ptr 0
		.amdhsa_user_sgpr_kernarg_segment_ptr 1
		.amdhsa_user_sgpr_dispatch_id 0
		.amdhsa_user_sgpr_kernarg_preload_length 0
		.amdhsa_user_sgpr_kernarg_preload_offset 0
		.amdhsa_user_sgpr_private_segment_size 0
		.amdhsa_wavefront_size32 1
		.amdhsa_uses_dynamic_stack 0
		.amdhsa_enable_private_segment 0
		.amdhsa_system_sgpr_workgroup_id_x 1
		.amdhsa_system_sgpr_workgroup_id_y 0
		.amdhsa_system_sgpr_workgroup_id_z 0
		.amdhsa_system_sgpr_workgroup_info 0
		.amdhsa_system_vgpr_workitem_id 0
		.amdhsa_next_free_vgpr 62
		.amdhsa_next_free_sgpr 48
		.amdhsa_named_barrier_count 0
		.amdhsa_reserve_vcc 1
		.amdhsa_float_round_mode_32 0
		.amdhsa_float_round_mode_16_64 0
		.amdhsa_float_denorm_mode_32 3
		.amdhsa_float_denorm_mode_16_64 3
		.amdhsa_fp16_overflow 0
		.amdhsa_memory_ordered 1
		.amdhsa_forward_progress 1
		.amdhsa_inst_pref_size 25
		.amdhsa_round_robin_scheduling 0
		.amdhsa_exception_fp_ieee_invalid_op 0
		.amdhsa_exception_fp_denorm_src 0
		.amdhsa_exception_fp_ieee_div_zero 0
		.amdhsa_exception_fp_ieee_overflow 0
		.amdhsa_exception_fp_ieee_underflow 0
		.amdhsa_exception_fp_ieee_inexact 0
		.amdhsa_exception_int_div_zero 0
	.end_amdhsa_kernel
	.section	.text._ZN9rocsparseL42csr2bsr_wavefront_per_row_multipass_kernelILj256ELj32ELj16EfilEEv20rocsparse_direction_T4_S2_S2_S2_S2_21rocsparse_index_base_PKT2_PKT3_PKS2_S3_PS4_PS7_PS2_,"axG",@progbits,_ZN9rocsparseL42csr2bsr_wavefront_per_row_multipass_kernelILj256ELj32ELj16EfilEEv20rocsparse_direction_T4_S2_S2_S2_S2_21rocsparse_index_base_PKT2_PKT3_PKS2_S3_PS4_PS7_PS2_,comdat
.Lfunc_end59:
	.size	_ZN9rocsparseL42csr2bsr_wavefront_per_row_multipass_kernelILj256ELj32ELj16EfilEEv20rocsparse_direction_T4_S2_S2_S2_S2_21rocsparse_index_base_PKT2_PKT3_PKS2_S3_PS4_PS7_PS2_, .Lfunc_end59-_ZN9rocsparseL42csr2bsr_wavefront_per_row_multipass_kernelILj256ELj32ELj16EfilEEv20rocsparse_direction_T4_S2_S2_S2_S2_21rocsparse_index_base_PKT2_PKT3_PKS2_S3_PS4_PS7_PS2_
                                        ; -- End function
	.set _ZN9rocsparseL42csr2bsr_wavefront_per_row_multipass_kernelILj256ELj32ELj16EfilEEv20rocsparse_direction_T4_S2_S2_S2_S2_21rocsparse_index_base_PKT2_PKT3_PKS2_S3_PS4_PS7_PS2_.num_vgpr, 62
	.set _ZN9rocsparseL42csr2bsr_wavefront_per_row_multipass_kernelILj256ELj32ELj16EfilEEv20rocsparse_direction_T4_S2_S2_S2_S2_21rocsparse_index_base_PKT2_PKT3_PKS2_S3_PS4_PS7_PS2_.num_agpr, 0
	.set _ZN9rocsparseL42csr2bsr_wavefront_per_row_multipass_kernelILj256ELj32ELj16EfilEEv20rocsparse_direction_T4_S2_S2_S2_S2_21rocsparse_index_base_PKT2_PKT3_PKS2_S3_PS4_PS7_PS2_.numbered_sgpr, 48
	.set _ZN9rocsparseL42csr2bsr_wavefront_per_row_multipass_kernelILj256ELj32ELj16EfilEEv20rocsparse_direction_T4_S2_S2_S2_S2_21rocsparse_index_base_PKT2_PKT3_PKS2_S3_PS4_PS7_PS2_.num_named_barrier, 0
	.set _ZN9rocsparseL42csr2bsr_wavefront_per_row_multipass_kernelILj256ELj32ELj16EfilEEv20rocsparse_direction_T4_S2_S2_S2_S2_21rocsparse_index_base_PKT2_PKT3_PKS2_S3_PS4_PS7_PS2_.private_seg_size, 0
	.set _ZN9rocsparseL42csr2bsr_wavefront_per_row_multipass_kernelILj256ELj32ELj16EfilEEv20rocsparse_direction_T4_S2_S2_S2_S2_21rocsparse_index_base_PKT2_PKT3_PKS2_S3_PS4_PS7_PS2_.uses_vcc, 1
	.set _ZN9rocsparseL42csr2bsr_wavefront_per_row_multipass_kernelILj256ELj32ELj16EfilEEv20rocsparse_direction_T4_S2_S2_S2_S2_21rocsparse_index_base_PKT2_PKT3_PKS2_S3_PS4_PS7_PS2_.uses_flat_scratch, 0
	.set _ZN9rocsparseL42csr2bsr_wavefront_per_row_multipass_kernelILj256ELj32ELj16EfilEEv20rocsparse_direction_T4_S2_S2_S2_S2_21rocsparse_index_base_PKT2_PKT3_PKS2_S3_PS4_PS7_PS2_.has_dyn_sized_stack, 0
	.set _ZN9rocsparseL42csr2bsr_wavefront_per_row_multipass_kernelILj256ELj32ELj16EfilEEv20rocsparse_direction_T4_S2_S2_S2_S2_21rocsparse_index_base_PKT2_PKT3_PKS2_S3_PS4_PS7_PS2_.has_recursion, 0
	.set _ZN9rocsparseL42csr2bsr_wavefront_per_row_multipass_kernelILj256ELj32ELj16EfilEEv20rocsparse_direction_T4_S2_S2_S2_S2_21rocsparse_index_base_PKT2_PKT3_PKS2_S3_PS4_PS7_PS2_.has_indirect_call, 0
	.section	.AMDGPU.csdata,"",@progbits
; Kernel info:
; codeLenInByte = 3148
; TotalNumSgprs: 50
; NumVgprs: 62
; ScratchSize: 0
; MemoryBound: 0
; FloatMode: 240
; IeeeMode: 1
; LDSByteSize: 8200 bytes/workgroup (compile time only)
; SGPRBlocks: 0
; VGPRBlocks: 3
; NumSGPRsForWavesPerEU: 50
; NumVGPRsForWavesPerEU: 62
; NamedBarCnt: 0
; Occupancy: 16
; WaveLimiterHint : 0
; COMPUTE_PGM_RSRC2:SCRATCH_EN: 0
; COMPUTE_PGM_RSRC2:USER_SGPR: 2
; COMPUTE_PGM_RSRC2:TRAP_HANDLER: 0
; COMPUTE_PGM_RSRC2:TGID_X_EN: 1
; COMPUTE_PGM_RSRC2:TGID_Y_EN: 0
; COMPUTE_PGM_RSRC2:TGID_Z_EN: 0
; COMPUTE_PGM_RSRC2:TIDIG_COMP_CNT: 0
	.section	.text._ZN9rocsparseL38csr2bsr_block_per_row_multipass_kernelILj256ELj32EfilEEv20rocsparse_direction_T3_S2_S2_S2_S2_21rocsparse_index_base_PKT1_PKT2_PKS2_S3_PS4_PS7_PS2_,"axG",@progbits,_ZN9rocsparseL38csr2bsr_block_per_row_multipass_kernelILj256ELj32EfilEEv20rocsparse_direction_T3_S2_S2_S2_S2_21rocsparse_index_base_PKT1_PKT2_PKS2_S3_PS4_PS7_PS2_,comdat
	.globl	_ZN9rocsparseL38csr2bsr_block_per_row_multipass_kernelILj256ELj32EfilEEv20rocsparse_direction_T3_S2_S2_S2_S2_21rocsparse_index_base_PKT1_PKT2_PKS2_S3_PS4_PS7_PS2_ ; -- Begin function _ZN9rocsparseL38csr2bsr_block_per_row_multipass_kernelILj256ELj32EfilEEv20rocsparse_direction_T3_S2_S2_S2_S2_21rocsparse_index_base_PKT1_PKT2_PKS2_S3_PS4_PS7_PS2_
	.p2align	8
	.type	_ZN9rocsparseL38csr2bsr_block_per_row_multipass_kernelILj256ELj32EfilEEv20rocsparse_direction_T3_S2_S2_S2_S2_21rocsparse_index_base_PKT1_PKT2_PKS2_S3_PS4_PS7_PS2_,@function
_ZN9rocsparseL38csr2bsr_block_per_row_multipass_kernelILj256ELj32EfilEEv20rocsparse_direction_T3_S2_S2_S2_S2_21rocsparse_index_base_PKT1_PKT2_PKS2_S3_PS4_PS7_PS2_: ; @_ZN9rocsparseL38csr2bsr_block_per_row_multipass_kernelILj256ELj32EfilEEv20rocsparse_direction_T3_S2_S2_S2_S2_21rocsparse_index_base_PKT1_PKT2_PKS2_S3_PS4_PS7_PS2_
; %bb.0:
	s_clause 0x1
	s_load_b128 s[12:15], s[0:1], 0x20
	s_load_b64 s[6:7], s[0:1], 0x8
	s_bfe_u32 s3, ttmp6, 0x4000c
	v_dual_mov_b32 v28, 0 :: v_dual_lshrrev_b32 v6, 3, v0
	s_add_co_i32 s3, s3, 1
	s_and_b32 s2, ttmp6, 15
	s_mul_i32 s3, ttmp9, s3
	s_getreg_b32 s4, hwreg(HW_REG_IB_STS2, 6, 4)
	v_dual_mov_b32 v7, v28 :: v_dual_mov_b32 v22, 0
	s_add_co_i32 s2, s2, s3
	s_cmp_eq_u32 s4, 0
	s_clause 0x1
	s_load_b32 s20, s[0:1], 0x30
	s_load_b64 s[4:5], s[0:1], 0x40
	s_cselect_b32 s2, ttmp9, s2
	s_delay_alu instid0(SALU_CYCLE_1)
	s_ashr_i32 s3, s2, 31
	s_wait_kmcnt 0x0
	v_mad_nc_u64_u32 v[2:3], s14, s2, v[6:7]
	s_mul_i32 s8, s14, s3
	s_mul_i32 s9, s15, s2
	s_delay_alu instid0(VALU_DEP_1) | instid1(SALU_CYCLE_1)
	v_add3_u32 v3, s8, s9, v3
	v_cmp_gt_i64_e64 s8, s[14:15], v[6:7]
	s_delay_alu instid0(VALU_DEP_2) | instskip(SKIP_1) | instid1(SALU_CYCLE_1)
	v_cmp_gt_i64_e32 vcc_lo, s[6:7], v[2:3]
	s_and_b32 s6, s8, vcc_lo
	s_and_saveexec_b32 s7, s6
	s_cbranch_execnz .LBB60_3
; %bb.1:
	s_or_b32 exec_lo, exec_lo, s7
	s_and_saveexec_b32 s7, s6
	s_cbranch_execnz .LBB60_4
.LBB60_2:
	s_or_b32 exec_lo, exec_lo, s7
	v_cmp_lt_i64_e64 s4, s[12:13], 1
	s_and_b32 vcc_lo, exec_lo, s4
	s_cbranch_vccz .LBB60_5
	s_branch .LBB60_57
.LBB60_3:
	v_lshl_add_u64 v[4:5], v[2:3], 2, s[4:5]
	global_load_b32 v1, v[4:5], off
	s_wait_loadcnt 0x0
	v_subrev_nc_u32_e32 v22, s20, v1
	s_or_b32 exec_lo, exec_lo, s7
	s_and_saveexec_b32 s7, s6
	s_cbranch_execz .LBB60_2
.LBB60_4:
	v_lshl_add_u64 v[2:3], v[2:3], 2, s[4:5]
	global_load_b32 v1, v[2:3], off offset:4
	s_wait_loadcnt 0x0
	v_subrev_nc_u32_e32 v28, s20, v1
	s_or_b32 exec_lo, exec_lo, s7
	v_cmp_lt_i64_e64 s4, s[12:13], 1
	s_and_b32 vcc_lo, exec_lo, s4
	s_cbranch_vccnz .LBB60_57
.LBB60_5:
	v_mul_u64_e32 v[12:13], s[14:15], v[6:7]
	v_mbcnt_lo_u32_b32 v1, -1, 0
	s_clause 0x1
	s_load_b128 s[4:7], s[0:1], 0x58
	s_load_b64 s[22:23], s[0:1], 0x68
	v_dual_lshlrev_b32 v10, 2, v6 :: v_dual_mov_b32 v2, 0
	v_dual_lshlrev_b32 v29, 7, v6 :: v_dual_bitop2_b32 v4, 7, v0 bitop3:0x40
	v_xor_b32_e32 v3, 4, v1
	s_delay_alu instid0(VALU_DEP_3) | instskip(SKIP_2) | instid1(VALU_DEP_4)
	v_dual_mov_b32 v21, v2 :: v_dual_bitop2_b32 v6, 2, v1 bitop3:0x14
	v_dual_mov_b32 v5, v2 :: v_dual_bitop2_b32 v7, 1, v1 bitop3:0x14
	v_mov_b32_e32 v19, v2
	v_cmp_gt_i32_e32 vcc_lo, 32, v3
	v_or_b32_e32 v26, 24, v4
	v_dual_mov_b32 v25, v2 :: v_dual_bitop2_b32 v18, 8, v4 bitop3:0x54
	v_dual_mov_b32 v27, v2 :: v_dual_bitop2_b32 v24, 16, v4 bitop3:0x54
	v_cndmask_b32_e32 v3, v1, v3, vcc_lo
	v_cmp_gt_i32_e32 vcc_lo, 32, v6
	s_clause 0x2
	s_load_b96 s[16:18], s[0:1], 0x48
	s_load_b64 s[26:27], s[0:1], 0x38
	s_load_b32 s9, s[0:1], 0x0
	s_wait_xcnt 0x0
	s_lshl_b64 s[0:1], s[2:3], 2
	v_mul_u64_e32 v[8:9], s[14:15], v[18:19]
	s_wait_kmcnt 0x0
	s_add_nc_u64 s[0:1], s[6:7], s[0:1]
	v_cndmask_b32_e32 v14, v1, v6, vcc_lo
	v_cmp_gt_i32_e32 vcc_lo, 32, v7
	s_load_b32 s0, s[0:1], 0x0
	v_dual_mov_b32 v11, v2 :: v_dual_lshlrev_b32 v20, 2, v4
	v_cmp_gt_i64_e64 s10, s[14:15], v[24:25]
	v_cndmask_b32_e32 v23, v1, v7, vcc_lo
	v_mul_u64_e32 v[6:7], s[14:15], v[4:5]
	v_dual_lshlrev_b32 v30, 2, v3 :: v_dual_lshlrev_b32 v31, 2, v14
	v_lshl_add_u64 v[16:17], v[12:13], 2, s[4:5]
	v_mul_u64_e32 v[12:13], s[14:15], v[24:25]
	v_mul_u64_e32 v[14:15], s[14:15], v[26:27]
	v_cmp_gt_i64_e32 vcc_lo, s[14:15], v[4:5]
	v_add_nc_u64_e32 v[10:11], s[4:5], v[10:11]
	v_add_nc_u64_e32 v[16:17], v[16:17], v[20:21]
	v_dual_lshlrev_b32 v32, 2, v23 :: v_dual_lshlrev_b32 v34, 3, v0
	v_lshl_or_b32 v33, v1, 2, 28
	s_wait_xcnt 0x0
	v_cmp_gt_u32_e64 s1, 64, v0
	v_cmp_gt_u32_e64 s2, 32, v0
	;; [unrolled: 1-line block ×3, first 2 shown]
	s_wait_kmcnt 0x0
	s_sub_co_i32 s28, s0, s18
	s_cmp_lg_u32 s9, 0
	v_cmp_gt_i64_e64 s9, s[14:15], v[18:19]
	s_cselect_b32 s19, -1, 0
	s_and_b32 s33, s8, vcc_lo
	v_cmp_gt_i64_e32 vcc_lo, s[14:15], v[26:27]
	v_mov_b64_e32 v[18:19], 0
	v_cmp_gt_u32_e64 s0, 0x80, v0
	v_cmp_gt_u32_e64 s4, 8, v0
	;; [unrolled: 1-line block ×4, first 2 shown]
	v_cmp_eq_u32_e64 s7, 0, v0
	v_dual_add_nc_u32 v5, v20, v29 :: v_dual_mov_b32 v35, 1
	v_mov_b32_e32 v36, 0
	s_mov_b32 s11, 0
	s_mul_u64 s[24:25], s[14:15], s[14:15]
	s_mov_b32 s21, s11
	s_and_b32 s9, s8, s9
	s_and_b32 s38, s8, s10
	s_mov_b64 s[30:31], 0xffffffff
	s_and_b32 s39, s8, vcc_lo
	s_ashr_i32 s34, s15, 31
	s_sub_co_i32 s40, 0, s14
	s_branch .LBB60_7
.LBB60_6:                               ;   in Loop: Header=BB60_7 Depth=1
	s_or_b32 exec_lo, exec_lo, s10
	s_wait_dscnt 0x0
	s_barrier_signal -1
	s_barrier_wait -1
	ds_load_b64 v[18:19], v2
	s_add_co_i32 s28, s8, s28
	s_wait_dscnt 0x0
	s_barrier_signal -1
	s_barrier_wait -1
	v_dual_mov_b32 v36, v18 :: v_dual_ashrrev_i32 v19, 31, v18
	s_delay_alu instid0(VALU_DEP_1)
	v_cmp_gt_i64_e32 vcc_lo, s[12:13], v[18:19]
	s_cbranch_vccz .LBB60_57
.LBB60_7:                               ; =>This Loop Header: Depth=1
                                        ;     Child Loop BB60_10 Depth 2
	v_mov_b64_e32 v[0:1], s[12:13]
	v_dual_mov_b32 v3, v28 :: v_dual_add_nc_u32 v20, v22, v4
	s_mov_b32 s29, exec_lo
	ds_store_b8 v2, v2 offset:4096
	ds_store_2addr_b32 v5, v2, v2 offset1:8
	ds_store_2addr_b32 v5, v2, v2 offset0:16 offset1:24
	s_wait_dscnt 0x0
	s_barrier_signal -1
	s_barrier_wait -1
	v_cmpx_lt_i32_e64 v20, v28
	s_cbranch_execz .LBB60_19
; %bb.8:                                ;   in Loop: Header=BB60_7 Depth=1
	v_mul_u64_e32 v[22:23], s[14:15], v[18:19]
	v_mov_b64_e32 v[0:1], s[12:13]
	v_mov_b32_e32 v23, v28
	s_mov_b32 s41, 0
	s_branch .LBB60_10
.LBB60_9:                               ;   in Loop: Header=BB60_10 Depth=2
	s_wait_xcnt 0x0
	s_or_b32 exec_lo, exec_lo, s8
	v_dual_mov_b32 v23, v3 :: v_dual_add_nc_u32 v20, 8, v20
	s_xor_b32 s10, vcc_lo, -1
	s_delay_alu instid0(VALU_DEP_1) | instskip(SKIP_1) | instid1(SALU_CYCLE_1)
	v_cmp_ge_i32_e64 s8, v20, v28
	s_or_b32 s8, s10, s8
	s_and_b32 s8, exec_lo, s8
	s_delay_alu instid0(SALU_CYCLE_1) | instskip(NEXT) | instid1(SALU_CYCLE_1)
	s_or_b32 s41, s8, s41
	s_and_not1_b32 exec_lo, exec_lo, s41
	s_cbranch_execz .LBB60_18
.LBB60_10:                              ;   Parent Loop BB60_7 Depth=1
                                        ; =>  This Inner Loop Header: Depth=2
	global_load_b64 v[24:25], v20, s[16:17] scale_offset
                                        ; implicit-def: $vgpr26_vgpr27
	s_mov_b32 s8, exec_lo
	s_wait_loadcnt 0x0
	v_sub_nc_u64_e64 v[24:25], v[24:25], s[20:21]
	s_delay_alu instid0(VALU_DEP_1) | instskip(SKIP_1) | instid1(VALU_DEP_1)
	v_or_b32_e32 v3, s15, v25
	s_wait_xcnt 0x0
	v_cmpx_ne_u64_e32 0, v[2:3]
	s_xor_b32 s42, exec_lo, s8
	s_cbranch_execz .LBB60_12
; %bb.11:                               ;   in Loop: Header=BB60_10 Depth=2
	s_mov_b32 s35, s34
	v_dual_mov_b32 v41, v2 :: v_dual_ashrrev_i32 v26, 31, v25
	s_add_nc_u64 s[36:37], s[14:15], s[34:35]
	v_mov_b32_e32 v45, v2
	s_xor_b64 s[36:37], s[36:37], s[34:35]
	s_delay_alu instid0(VALU_DEP_2)
	v_mov_b32_e32 v27, v26
	s_cvt_f32_u32 s8, s36
	s_cvt_f32_u32 s10, s37
	s_sub_nc_u64 s[46:47], 0, s[36:37]
	v_mov_b32_e32 v49, v2
	v_add_nc_u64_e32 v[38:39], v[24:25], v[26:27]
	s_fmamk_f32 s8, s10, 0x4f800000, s8
	s_delay_alu instid0(SALU_CYCLE_3) | instskip(NEXT) | instid1(VALU_DEP_1)
	v_s_rcp_f32 s8, s8
	v_xor_b32_e32 v44, v39, v26
	s_delay_alu instid0(VALU_DEP_2) | instskip(SKIP_1) | instid1(TRANS32_DEP_1)
	v_xor_b32_e32 v40, v38, v26
	v_xor_b32_e32 v26, s34, v26
	s_mul_f32 s8, s8, 0x5f7ffffc
	s_delay_alu instid0(SALU_CYCLE_3) | instskip(NEXT) | instid1(SALU_CYCLE_3)
	s_mul_f32 s10, s8, 0x2f800000
	s_trunc_f32 s10, s10
	s_delay_alu instid0(SALU_CYCLE_3) | instskip(SKIP_1) | instid1(SALU_CYCLE_2)
	s_fmamk_f32 s8, s10, 0xcf800000, s8
	s_cvt_u32_f32 s45, s10
	s_cvt_u32_f32 s44, s8
	s_delay_alu instid0(SALU_CYCLE_3) | instskip(NEXT) | instid1(SALU_CYCLE_1)
	s_mul_u64 s[48:49], s[46:47], s[44:45]
	s_mul_hi_u32 s51, s44, s49
	s_mul_i32 s50, s44, s49
	s_mul_hi_u32 s10, s44, s48
	s_mul_i32 s35, s45, s48
	s_add_nc_u64 s[50:51], s[10:11], s[50:51]
	s_mul_hi_u32 s8, s45, s48
	s_mul_hi_u32 s43, s45, s49
	s_add_co_u32 s10, s50, s35
	s_add_co_ci_u32 s10, s51, s8
	s_mul_i32 s48, s45, s49
	s_add_co_ci_u32 s49, s43, 0
	s_delay_alu instid0(SALU_CYCLE_1) | instskip(NEXT) | instid1(SALU_CYCLE_1)
	s_add_nc_u64 s[48:49], s[10:11], s[48:49]
	s_add_co_u32 s44, s44, s48
	s_cselect_b32 s8, -1, 0
	s_delay_alu instid0(SALU_CYCLE_1) | instskip(SKIP_1) | instid1(SALU_CYCLE_1)
	s_cmp_lg_u32 s8, 0
	s_add_co_ci_u32 s45, s45, s49
	s_mul_u64 s[46:47], s[46:47], s[44:45]
	s_delay_alu instid0(SALU_CYCLE_1)
	s_mul_hi_u32 s49, s44, s47
	s_mul_i32 s48, s44, s47
	s_mul_hi_u32 s10, s44, s46
	s_mul_i32 s35, s45, s46
	s_add_nc_u64 s[48:49], s[10:11], s[48:49]
	s_mul_hi_u32 s8, s45, s46
	s_mul_hi_u32 s43, s45, s47
	s_add_co_u32 s10, s48, s35
	s_add_co_ci_u32 s10, s49, s8
	s_mul_i32 s46, s45, s47
	s_add_co_ci_u32 s47, s43, 0
	s_delay_alu instid0(SALU_CYCLE_1) | instskip(NEXT) | instid1(SALU_CYCLE_1)
	s_add_nc_u64 s[46:47], s[10:11], s[46:47]
	s_add_co_u32 s8, s44, s46
	s_cselect_b32 s10, -1, 0
	v_mul_hi_u32 v48, v40, s8
	s_cmp_lg_u32 s10, 0
	s_add_co_ci_u32 s10, s45, s47
	s_and_b64 s[44:45], s[8:9], s[30:31]
	v_mul_u64_e32 v[42:43], s[10:11], v[40:41]
	v_mul_u64_e32 v[38:39], s[44:45], v[44:45]
	;; [unrolled: 1-line block ×3, first 2 shown]
	s_delay_alu instid0(VALU_DEP_3) | instskip(NEXT) | instid1(VALU_DEP_1)
	v_add_nc_u64_e32 v[42:43], v[48:49], v[42:43]
	v_add_co_u32 v3, vcc_lo, v42, v38
	s_delay_alu instid0(VALU_DEP_2) | instskip(NEXT) | instid1(VALU_DEP_4)
	v_add_co_ci_u32_e32 v48, vcc_lo, v43, v39, vcc_lo
	v_add_co_ci_u32_e32 v47, vcc_lo, 0, v47, vcc_lo
	s_delay_alu instid0(VALU_DEP_1) | instskip(NEXT) | instid1(VALU_DEP_1)
	v_add_nc_u64_e32 v[38:39], v[48:49], v[46:47]
	v_mul_u64_e32 v[42:43], s[36:37], v[38:39]
	s_delay_alu instid0(VALU_DEP_1) | instskip(NEXT) | instid1(VALU_DEP_2)
	v_sub_nc_u32_e32 v3, v44, v43
	v_sub_co_u32 v21, vcc_lo, v40, v42
	s_delay_alu instid0(VALU_DEP_1) | instskip(NEXT) | instid1(VALU_DEP_3)
	v_sub_co_ci_u32_e64 v27, null, v44, v43, vcc_lo
	v_subrev_co_ci_u32_e64 v3, null, s37, v3, vcc_lo
	s_delay_alu instid0(VALU_DEP_3) | instskip(SKIP_1) | instid1(VALU_DEP_3)
	v_sub_co_u32 v25, s8, v21, s36
	v_add_nc_u64_e32 v[40:41], 2, v[38:39]
	v_subrev_co_ci_u32_e64 v3, null, 0, v3, s8
	s_delay_alu instid0(VALU_DEP_3) | instskip(SKIP_2) | instid1(VALU_DEP_4)
	v_cmp_le_u32_e32 vcc_lo, s36, v25
	v_add_nc_u64_e32 v[42:43], 1, v[38:39]
	v_cndmask_b32_e64 v25, 0, -1, vcc_lo
	v_cmp_le_u32_e32 vcc_lo, s37, v3
	v_cndmask_b32_e64 v37, 0, -1, vcc_lo
	v_cmp_le_u32_e32 vcc_lo, s36, v21
	v_cndmask_b32_e64 v21, 0, -1, vcc_lo
	v_cmp_le_u32_e32 vcc_lo, s37, v27
	v_cndmask_b32_e64 v44, 0, -1, vcc_lo
	v_cmp_eq_u32_e32 vcc_lo, s37, v3
	v_cndmask_b32_e32 v3, v37, v25, vcc_lo
	v_cmp_eq_u32_e32 vcc_lo, s37, v27
	s_delay_alu instid0(VALU_DEP_4) | instskip(NEXT) | instid1(VALU_DEP_3)
	v_dual_mov_b32 v27, v26 :: v_dual_cndmask_b32 v21, v44, v21, vcc_lo
	v_cmp_ne_u32_e32 vcc_lo, 0, v3
	s_delay_alu instid0(VALU_DEP_2) | instskip(SKIP_1) | instid1(VALU_DEP_1)
	v_cmp_ne_u32_e64 s8, 0, v21
	v_dual_cndmask_b32 v3, v43, v41, vcc_lo :: v_dual_cndmask_b32 v21, v42, v40, vcc_lo
	v_dual_cndmask_b32 v3, v39, v3, s8 :: v_dual_cndmask_b32 v21, v38, v21, s8
	s_delay_alu instid0(VALU_DEP_1) | instskip(NEXT) | instid1(VALU_DEP_2)
	v_xor_b32_e32 v39, v3, v26
	v_xor_b32_e32 v38, v21, v26
	s_delay_alu instid0(VALU_DEP_1)
	v_sub_nc_u64_e32 v[26:27], v[38:39], v[26:27]
.LBB60_12:                              ;   in Loop: Header=BB60_10 Depth=2
	s_and_not1_saveexec_b32 s8, s42
	s_cbranch_execz .LBB60_14
; %bb.13:                               ;   in Loop: Header=BB60_10 Depth=2
	v_cvt_f32_u32_e32 v3, s14
	v_mov_b32_e32 v27, v2
	s_delay_alu instid0(VALU_DEP_2) | instskip(SKIP_1) | instid1(TRANS32_DEP_1)
	v_rcp_iflag_f32_e32 v3, v3
	v_nop
	v_mul_f32_e32 v3, 0x4f7ffffe, v3
	s_delay_alu instid0(VALU_DEP_1) | instskip(NEXT) | instid1(VALU_DEP_1)
	v_cvt_u32_f32_e32 v3, v3
	v_mul_lo_u32 v21, s40, v3
	s_delay_alu instid0(VALU_DEP_1) | instskip(NEXT) | instid1(VALU_DEP_1)
	v_mul_hi_u32 v21, v3, v21
	v_add_nc_u32_e32 v3, v3, v21
	s_delay_alu instid0(VALU_DEP_1) | instskip(NEXT) | instid1(VALU_DEP_1)
	v_mul_hi_u32 v3, v24, v3
	v_mul_lo_u32 v21, v3, s14
	s_delay_alu instid0(VALU_DEP_1) | instskip(NEXT) | instid1(VALU_DEP_1)
	v_sub_nc_u32_e32 v21, v24, v21
	v_subrev_nc_u32_e32 v26, s14, v21
	v_cmp_le_u32_e32 vcc_lo, s14, v21
	s_delay_alu instid0(VALU_DEP_2) | instskip(NEXT) | instid1(VALU_DEP_1)
	v_dual_add_nc_u32 v25, 1, v3 :: v_dual_cndmask_b32 v21, v21, v26, vcc_lo
	v_cndmask_b32_e32 v3, v3, v25, vcc_lo
	s_delay_alu instid0(VALU_DEP_2) | instskip(NEXT) | instid1(VALU_DEP_2)
	v_cmp_le_u32_e32 vcc_lo, s14, v21
	v_add_nc_u32_e32 v25, 1, v3
	s_delay_alu instid0(VALU_DEP_1)
	v_cndmask_b32_e32 v26, v3, v25, vcc_lo
.LBB60_14:                              ;   in Loop: Header=BB60_10 Depth=2
	s_or_b32 exec_lo, exec_lo, s8
	s_delay_alu instid0(VALU_DEP_1) | instskip(SKIP_2) | instid1(SALU_CYCLE_1)
	v_cmp_ne_u64_e64 s8, v[26:27], v[18:19]
	v_cmp_eq_u64_e32 vcc_lo, v[26:27], v[18:19]
	s_and_saveexec_b32 s10, s8
	s_xor_b32 s8, exec_lo, s10
; %bb.15:                               ;   in Loop: Header=BB60_10 Depth=2
	v_min_i64 v[0:1], v[26:27], v[0:1]
                                        ; implicit-def: $vgpr24_vgpr25
                                        ; implicit-def: $vgpr23
; %bb.16:                               ;   in Loop: Header=BB60_10 Depth=2
	s_or_saveexec_b32 s8, s8
	v_mov_b32_e32 v3, v20
	s_xor_b32 exec_lo, exec_lo, s8
	s_cbranch_execz .LBB60_9
; %bb.17:                               ;   in Loop: Header=BB60_10 Depth=2
	v_dual_ashrrev_i32 v21, 31, v20 :: v_dual_sub_nc_u32 v3, v24, v22
	s_delay_alu instid0(VALU_DEP_1) | instskip(NEXT) | instid1(VALU_DEP_2)
	v_lshl_add_u64 v[26:27], v[20:21], 2, s[26:27]
	v_lshl_add_u32 v24, v3, 2, v29
	v_mov_b32_e32 v3, v23
	global_load_b32 v21, v[26:27], off
	ds_store_b8 v2, v35 offset:4096
	s_wait_loadcnt 0x0
	ds_store_b32 v24, v21
	s_branch .LBB60_9
.LBB60_18:                              ;   in Loop: Header=BB60_7 Depth=1
	s_or_b32 exec_lo, exec_lo, s41
.LBB60_19:                              ;   in Loop: Header=BB60_7 Depth=1
	s_delay_alu instid0(SALU_CYCLE_1)
	s_or_b32 exec_lo, exec_lo, s29
	ds_bpermute_b32 v18, v30, v3
	s_wait_dscnt 0x0
	s_barrier_signal -1
	s_barrier_wait -1
	ds_load_u8 v19, v2 offset:4096
	s_mov_b32 s8, 0
	v_min_i32_e32 v3, v18, v3
	ds_bpermute_b32 v18, v31, v3
	s_wait_dscnt 0x0
	v_min_i32_e32 v3, v18, v3
	ds_bpermute_b32 v18, v32, v3
	s_wait_dscnt 0x0
	v_min_i32_e32 v3, v18, v3
	ds_bpermute_b32 v22, v33, v3
	v_and_b32_e32 v3, 1, v19
	s_delay_alu instid0(VALU_DEP_1)
	v_cmp_eq_u32_e32 vcc_lo, 0, v3
	s_cbranch_vccnz .LBB60_37
; %bb.20:                               ;   in Loop: Header=BB60_7 Depth=1
	s_ashr_i32 s29, s28, 31
	v_dual_mov_b32 v3, s28 :: v_dual_add_nc_u32 v24, s18, v36
	s_mul_u64 s[36:37], s[24:25], s[28:29]
	s_delay_alu instid0(SALU_CYCLE_1) | instskip(NEXT) | instid1(VALU_DEP_1)
	s_lshl_b64 s[36:37], s[36:37], 2
	v_ashrrev_i32_e32 v25, 31, v24
	v_add_nc_u64_e32 v[20:21], s[36:37], v[10:11]
	v_add_nc_u64_e32 v[18:19], s[36:37], v[16:17]
	global_store_b64 v3, v[24:25], s[22:23] scale_offset
	s_wait_xcnt 0x0
	s_and_saveexec_b32 s8, s33
	s_cbranch_execz .LBB60_24
; %bb.21:                               ;   in Loop: Header=BB60_7 Depth=1
	ds_load_b32 v3, v5
	s_and_b32 vcc_lo, exec_lo, s19
	s_cbranch_vccz .LBB60_53
; %bb.22:                               ;   in Loop: Header=BB60_7 Depth=1
	v_lshl_add_u64 v[24:25], v[6:7], 2, v[20:21]
	s_wait_dscnt 0x0
	global_store_b32 v[24:25], v3, off
	s_cbranch_execnz .LBB60_24
.LBB60_23:                              ;   in Loop: Header=BB60_7 Depth=1
	s_wait_dscnt 0x0
	global_store_b32 v[18:19], v3, off
.LBB60_24:                              ;   in Loop: Header=BB60_7 Depth=1
	s_wait_xcnt 0x0
	s_or_b32 exec_lo, exec_lo, s8
	s_and_saveexec_b32 s8, s9
	s_cbranch_execz .LBB60_28
; %bb.25:                               ;   in Loop: Header=BB60_7 Depth=1
	s_wait_dscnt 0x0
	ds_load_b32 v3, v5 offset:32
	s_and_not1_b32 vcc_lo, exec_lo, s19
	s_cbranch_vccnz .LBB60_54
; %bb.26:                               ;   in Loop: Header=BB60_7 Depth=1
	v_lshl_add_u64 v[24:25], v[8:9], 2, v[20:21]
	s_wait_dscnt 0x0
	global_store_b32 v[24:25], v3, off
	s_cbranch_execnz .LBB60_28
.LBB60_27:                              ;   in Loop: Header=BB60_7 Depth=1
	s_wait_dscnt 0x0
	global_store_b32 v[18:19], v3, off offset:32
.LBB60_28:                              ;   in Loop: Header=BB60_7 Depth=1
	s_wait_xcnt 0x0
	s_or_b32 exec_lo, exec_lo, s8
	s_and_saveexec_b32 s8, s38
	s_cbranch_execz .LBB60_32
; %bb.29:                               ;   in Loop: Header=BB60_7 Depth=1
	s_wait_dscnt 0x0
	ds_load_b32 v3, v5 offset:64
	s_and_not1_b32 vcc_lo, exec_lo, s19
	s_cbranch_vccnz .LBB60_55
; %bb.30:                               ;   in Loop: Header=BB60_7 Depth=1
	v_lshl_add_u64 v[24:25], v[12:13], 2, v[20:21]
	s_wait_dscnt 0x0
	global_store_b32 v[24:25], v3, off
	s_cbranch_execnz .LBB60_32
.LBB60_31:                              ;   in Loop: Header=BB60_7 Depth=1
	s_wait_dscnt 0x0
	global_store_b32 v[18:19], v3, off offset:64
.LBB60_32:                              ;   in Loop: Header=BB60_7 Depth=1
	s_wait_xcnt 0x0
	s_or_b32 exec_lo, exec_lo, s8
	s_and_saveexec_b32 s8, s39
	s_cbranch_execz .LBB60_36
; %bb.33:                               ;   in Loop: Header=BB60_7 Depth=1
	s_wait_dscnt 0x0
	ds_load_b32 v3, v5 offset:96
	s_and_not1_b32 vcc_lo, exec_lo, s19
	s_cbranch_vccnz .LBB60_56
; %bb.34:                               ;   in Loop: Header=BB60_7 Depth=1
	v_lshl_add_u64 v[20:21], v[14:15], 2, v[20:21]
	s_wait_dscnt 0x0
	global_store_b32 v[20:21], v3, off
	s_cbranch_execnz .LBB60_36
.LBB60_35:                              ;   in Loop: Header=BB60_7 Depth=1
	s_wait_dscnt 0x0
	global_store_b32 v[18:19], v3, off offset:96
.LBB60_36:                              ;   in Loop: Header=BB60_7 Depth=1
	s_wait_xcnt 0x0
	s_or_b32 exec_lo, exec_lo, s8
	s_mov_b32 s8, 1
.LBB60_37:                              ;   in Loop: Header=BB60_7 Depth=1
	s_wait_storecnt_dscnt 0x0
	s_barrier_signal -1
	s_barrier_wait -1
	ds_store_b64 v34, v[0:1]
	s_wait_dscnt 0x0
	s_barrier_signal -1
	s_barrier_wait -1
	s_and_saveexec_b32 s10, s0
	s_cbranch_execz .LBB60_39
; %bb.38:                               ;   in Loop: Header=BB60_7 Depth=1
	ds_load_2addr_stride64_b64 v[18:21], v34 offset1:2
	s_wait_dscnt 0x0
	v_min_i64 v[0:1], v[20:21], v[18:19]
	ds_store_b64 v34, v[0:1]
.LBB60_39:                              ;   in Loop: Header=BB60_7 Depth=1
	s_or_b32 exec_lo, exec_lo, s10
	s_wait_dscnt 0x0
	s_barrier_signal -1
	s_barrier_wait -1
	s_and_saveexec_b32 s10, s1
	s_cbranch_execz .LBB60_41
; %bb.40:                               ;   in Loop: Header=BB60_7 Depth=1
	ds_load_2addr_stride64_b64 v[18:21], v34 offset1:1
	s_wait_dscnt 0x0
	v_min_i64 v[0:1], v[20:21], v[18:19]
	ds_store_b64 v34, v[0:1]
.LBB60_41:                              ;   in Loop: Header=BB60_7 Depth=1
	s_or_b32 exec_lo, exec_lo, s10
	s_wait_dscnt 0x0
	s_barrier_signal -1
	s_barrier_wait -1
	s_and_saveexec_b32 s10, s2
	s_cbranch_execz .LBB60_43
; %bb.42:                               ;   in Loop: Header=BB60_7 Depth=1
	ds_load_2addr_b64 v[18:21], v34 offset1:32
	s_wait_dscnt 0x0
	v_min_i64 v[0:1], v[20:21], v[18:19]
	ds_store_b64 v34, v[0:1]
.LBB60_43:                              ;   in Loop: Header=BB60_7 Depth=1
	s_or_b32 exec_lo, exec_lo, s10
	s_wait_dscnt 0x0
	s_barrier_signal -1
	s_barrier_wait -1
	s_and_saveexec_b32 s10, s3
	s_cbranch_execz .LBB60_45
; %bb.44:                               ;   in Loop: Header=BB60_7 Depth=1
	ds_load_2addr_b64 v[18:21], v34 offset1:16
	s_wait_dscnt 0x0
	v_min_i64 v[0:1], v[20:21], v[18:19]
	ds_store_b64 v34, v[0:1]
.LBB60_45:                              ;   in Loop: Header=BB60_7 Depth=1
	;; [unrolled: 12-line block ×5, first 2 shown]
	s_or_b32 exec_lo, exec_lo, s10
	s_wait_dscnt 0x0
	s_barrier_signal -1
	s_barrier_wait -1
	s_and_saveexec_b32 s10, s7
	s_cbranch_execz .LBB60_6
; %bb.52:                               ;   in Loop: Header=BB60_7 Depth=1
	ds_load_b128 v[18:21], v2
	s_wait_dscnt 0x0
	v_min_i64 v[0:1], v[20:21], v[18:19]
	ds_store_b64 v2, v[0:1]
	s_branch .LBB60_6
.LBB60_53:                              ;   in Loop: Header=BB60_7 Depth=1
	s_branch .LBB60_23
.LBB60_54:                              ;   in Loop: Header=BB60_7 Depth=1
	s_branch .LBB60_27
.LBB60_55:                              ;   in Loop: Header=BB60_7 Depth=1
	s_branch .LBB60_31
.LBB60_56:                              ;   in Loop: Header=BB60_7 Depth=1
	s_branch .LBB60_35
.LBB60_57:
	s_endpgm
	.section	.rodata,"a",@progbits
	.p2align	6, 0x0
	.amdhsa_kernel _ZN9rocsparseL38csr2bsr_block_per_row_multipass_kernelILj256ELj32EfilEEv20rocsparse_direction_T3_S2_S2_S2_S2_21rocsparse_index_base_PKT1_PKT2_PKS2_S3_PS4_PS7_PS2_
		.amdhsa_group_segment_fixed_size 4100
		.amdhsa_private_segment_fixed_size 0
		.amdhsa_kernarg_size 112
		.amdhsa_user_sgpr_count 2
		.amdhsa_user_sgpr_dispatch_ptr 0
		.amdhsa_user_sgpr_queue_ptr 0
		.amdhsa_user_sgpr_kernarg_segment_ptr 1
		.amdhsa_user_sgpr_dispatch_id 0
		.amdhsa_user_sgpr_kernarg_preload_length 0
		.amdhsa_user_sgpr_kernarg_preload_offset 0
		.amdhsa_user_sgpr_private_segment_size 0
		.amdhsa_wavefront_size32 1
		.amdhsa_uses_dynamic_stack 0
		.amdhsa_enable_private_segment 0
		.amdhsa_system_sgpr_workgroup_id_x 1
		.amdhsa_system_sgpr_workgroup_id_y 0
		.amdhsa_system_sgpr_workgroup_id_z 0
		.amdhsa_system_sgpr_workgroup_info 0
		.amdhsa_system_vgpr_workitem_id 0
		.amdhsa_next_free_vgpr 50
		.amdhsa_next_free_sgpr 52
		.amdhsa_named_barrier_count 0
		.amdhsa_reserve_vcc 1
		.amdhsa_float_round_mode_32 0
		.amdhsa_float_round_mode_16_64 0
		.amdhsa_float_denorm_mode_32 3
		.amdhsa_float_denorm_mode_16_64 3
		.amdhsa_fp16_overflow 0
		.amdhsa_memory_ordered 1
		.amdhsa_forward_progress 1
		.amdhsa_inst_pref_size 22
		.amdhsa_round_robin_scheduling 0
		.amdhsa_exception_fp_ieee_invalid_op 0
		.amdhsa_exception_fp_denorm_src 0
		.amdhsa_exception_fp_ieee_div_zero 0
		.amdhsa_exception_fp_ieee_overflow 0
		.amdhsa_exception_fp_ieee_underflow 0
		.amdhsa_exception_fp_ieee_inexact 0
		.amdhsa_exception_int_div_zero 0
	.end_amdhsa_kernel
	.section	.text._ZN9rocsparseL38csr2bsr_block_per_row_multipass_kernelILj256ELj32EfilEEv20rocsparse_direction_T3_S2_S2_S2_S2_21rocsparse_index_base_PKT1_PKT2_PKS2_S3_PS4_PS7_PS2_,"axG",@progbits,_ZN9rocsparseL38csr2bsr_block_per_row_multipass_kernelILj256ELj32EfilEEv20rocsparse_direction_T3_S2_S2_S2_S2_21rocsparse_index_base_PKT1_PKT2_PKS2_S3_PS4_PS7_PS2_,comdat
.Lfunc_end60:
	.size	_ZN9rocsparseL38csr2bsr_block_per_row_multipass_kernelILj256ELj32EfilEEv20rocsparse_direction_T3_S2_S2_S2_S2_21rocsparse_index_base_PKT1_PKT2_PKS2_S3_PS4_PS7_PS2_, .Lfunc_end60-_ZN9rocsparseL38csr2bsr_block_per_row_multipass_kernelILj256ELj32EfilEEv20rocsparse_direction_T3_S2_S2_S2_S2_21rocsparse_index_base_PKT1_PKT2_PKS2_S3_PS4_PS7_PS2_
                                        ; -- End function
	.set _ZN9rocsparseL38csr2bsr_block_per_row_multipass_kernelILj256ELj32EfilEEv20rocsparse_direction_T3_S2_S2_S2_S2_21rocsparse_index_base_PKT1_PKT2_PKS2_S3_PS4_PS7_PS2_.num_vgpr, 50
	.set _ZN9rocsparseL38csr2bsr_block_per_row_multipass_kernelILj256ELj32EfilEEv20rocsparse_direction_T3_S2_S2_S2_S2_21rocsparse_index_base_PKT1_PKT2_PKS2_S3_PS4_PS7_PS2_.num_agpr, 0
	.set _ZN9rocsparseL38csr2bsr_block_per_row_multipass_kernelILj256ELj32EfilEEv20rocsparse_direction_T3_S2_S2_S2_S2_21rocsparse_index_base_PKT1_PKT2_PKS2_S3_PS4_PS7_PS2_.numbered_sgpr, 52
	.set _ZN9rocsparseL38csr2bsr_block_per_row_multipass_kernelILj256ELj32EfilEEv20rocsparse_direction_T3_S2_S2_S2_S2_21rocsparse_index_base_PKT1_PKT2_PKS2_S3_PS4_PS7_PS2_.num_named_barrier, 0
	.set _ZN9rocsparseL38csr2bsr_block_per_row_multipass_kernelILj256ELj32EfilEEv20rocsparse_direction_T3_S2_S2_S2_S2_21rocsparse_index_base_PKT1_PKT2_PKS2_S3_PS4_PS7_PS2_.private_seg_size, 0
	.set _ZN9rocsparseL38csr2bsr_block_per_row_multipass_kernelILj256ELj32EfilEEv20rocsparse_direction_T3_S2_S2_S2_S2_21rocsparse_index_base_PKT1_PKT2_PKS2_S3_PS4_PS7_PS2_.uses_vcc, 1
	.set _ZN9rocsparseL38csr2bsr_block_per_row_multipass_kernelILj256ELj32EfilEEv20rocsparse_direction_T3_S2_S2_S2_S2_21rocsparse_index_base_PKT1_PKT2_PKS2_S3_PS4_PS7_PS2_.uses_flat_scratch, 0
	.set _ZN9rocsparseL38csr2bsr_block_per_row_multipass_kernelILj256ELj32EfilEEv20rocsparse_direction_T3_S2_S2_S2_S2_21rocsparse_index_base_PKT1_PKT2_PKS2_S3_PS4_PS7_PS2_.has_dyn_sized_stack, 0
	.set _ZN9rocsparseL38csr2bsr_block_per_row_multipass_kernelILj256ELj32EfilEEv20rocsparse_direction_T3_S2_S2_S2_S2_21rocsparse_index_base_PKT1_PKT2_PKS2_S3_PS4_PS7_PS2_.has_recursion, 0
	.set _ZN9rocsparseL38csr2bsr_block_per_row_multipass_kernelILj256ELj32EfilEEv20rocsparse_direction_T3_S2_S2_S2_S2_21rocsparse_index_base_PKT1_PKT2_PKS2_S3_PS4_PS7_PS2_.has_indirect_call, 0
	.section	.AMDGPU.csdata,"",@progbits
; Kernel info:
; codeLenInByte = 2744
; TotalNumSgprs: 54
; NumVgprs: 50
; ScratchSize: 0
; MemoryBound: 0
; FloatMode: 240
; IeeeMode: 1
; LDSByteSize: 4100 bytes/workgroup (compile time only)
; SGPRBlocks: 0
; VGPRBlocks: 3
; NumSGPRsForWavesPerEU: 54
; NumVGPRsForWavesPerEU: 50
; NamedBarCnt: 0
; Occupancy: 16
; WaveLimiterHint : 1
; COMPUTE_PGM_RSRC2:SCRATCH_EN: 0
; COMPUTE_PGM_RSRC2:USER_SGPR: 2
; COMPUTE_PGM_RSRC2:TRAP_HANDLER: 0
; COMPUTE_PGM_RSRC2:TGID_X_EN: 1
; COMPUTE_PGM_RSRC2:TGID_Y_EN: 0
; COMPUTE_PGM_RSRC2:TGID_Z_EN: 0
; COMPUTE_PGM_RSRC2:TIDIG_COMP_CNT: 0
	.section	.text._ZN9rocsparseL38csr2bsr_block_per_row_multipass_kernelILj256ELj64EfilEEv20rocsparse_direction_T3_S2_S2_S2_S2_21rocsparse_index_base_PKT1_PKT2_PKS2_S3_PS4_PS7_PS2_,"axG",@progbits,_ZN9rocsparseL38csr2bsr_block_per_row_multipass_kernelILj256ELj64EfilEEv20rocsparse_direction_T3_S2_S2_S2_S2_21rocsparse_index_base_PKT1_PKT2_PKS2_S3_PS4_PS7_PS2_,comdat
	.globl	_ZN9rocsparseL38csr2bsr_block_per_row_multipass_kernelILj256ELj64EfilEEv20rocsparse_direction_T3_S2_S2_S2_S2_21rocsparse_index_base_PKT1_PKT2_PKS2_S3_PS4_PS7_PS2_ ; -- Begin function _ZN9rocsparseL38csr2bsr_block_per_row_multipass_kernelILj256ELj64EfilEEv20rocsparse_direction_T3_S2_S2_S2_S2_21rocsparse_index_base_PKT1_PKT2_PKS2_S3_PS4_PS7_PS2_
	.p2align	8
	.type	_ZN9rocsparseL38csr2bsr_block_per_row_multipass_kernelILj256ELj64EfilEEv20rocsparse_direction_T3_S2_S2_S2_S2_21rocsparse_index_base_PKT1_PKT2_PKS2_S3_PS4_PS7_PS2_,@function
_ZN9rocsparseL38csr2bsr_block_per_row_multipass_kernelILj256ELj64EfilEEv20rocsparse_direction_T3_S2_S2_S2_S2_21rocsparse_index_base_PKT1_PKT2_PKS2_S3_PS4_PS7_PS2_: ; @_ZN9rocsparseL38csr2bsr_block_per_row_multipass_kernelILj256ELj64EfilEEv20rocsparse_direction_T3_S2_S2_S2_S2_21rocsparse_index_base_PKT1_PKT2_PKS2_S3_PS4_PS7_PS2_
; %bb.0:
	s_clause 0x1
	s_load_b128 s[12:15], s[0:1], 0x20
	s_load_b64 s[2:3], s[0:1], 0x8
	s_bfe_u32 s5, ttmp6, 0x4000c
	s_and_b32 s4, ttmp6, 15
	s_add_co_i32 s5, s5, 1
	s_getreg_b32 s6, hwreg(HW_REG_IB_STS2, 6, 4)
	s_mul_i32 s5, ttmp9, s5
	v_dual_mov_b32 v3, 0 :: v_dual_lshrrev_b32 v2, 2, v0
	s_add_co_i32 s4, s4, s5
	s_cmp_eq_u32 s6, 0
	s_clause 0x1
	s_load_b32 s10, s[0:1], 0x30
	s_load_b64 s[6:7], s[0:1], 0x40
	s_cselect_b32 s4, ttmp9, s4
	v_mov_b32_e32 v7, v3
	s_ashr_i32 s5, s4, 31
	s_wait_kmcnt 0x0
	v_mad_nc_u64_u32 v[4:5], s14, s4, v[2:3]
	s_mul_i32 s8, s14, s5
	s_mul_i32 s9, s15, s4
	s_delay_alu instid0(VALU_DEP_1) | instid1(SALU_CYCLE_1)
	v_add3_u32 v5, s8, s9, v5
	s_delay_alu instid0(VALU_DEP_1) | instskip(SKIP_2) | instid1(SALU_CYCLE_1)
	v_cmp_gt_i64_e32 vcc_lo, s[2:3], v[4:5]
	v_cmp_gt_i64_e64 s2, s[14:15], v[2:3]
	s_and_b32 s3, s2, vcc_lo
	s_and_saveexec_b32 s8, s3
	s_cbranch_execnz .LBB61_3
; %bb.1:
	s_or_b32 exec_lo, exec_lo, s8
	s_and_saveexec_b32 s8, s3
	s_cbranch_execnz .LBB61_4
.LBB61_2:
	s_or_b32 exec_lo, exec_lo, s8
	v_cmp_lt_i64_e64 s3, s[12:13], 1
	s_and_b32 vcc_lo, exec_lo, s3
	s_cbranch_vccz .LBB61_5
	s_branch .LBB61_59
.LBB61_3:
	v_lshl_add_u64 v[6:7], v[4:5], 2, s[6:7]
	global_load_b32 v1, v[6:7], off
	s_wait_loadcnt 0x0
	v_subrev_nc_u32_e32 v7, s10, v1
	s_or_b32 exec_lo, exec_lo, s8
	s_and_saveexec_b32 s8, s3
	s_cbranch_execz .LBB61_2
.LBB61_4:
	v_lshl_add_u64 v[4:5], v[4:5], 2, s[6:7]
	global_load_b32 v1, v[4:5], off offset:4
	s_wait_loadcnt 0x0
	v_subrev_nc_u32_e32 v3, s10, v1
	s_or_b32 exec_lo, exec_lo, s8
	v_cmp_lt_i64_e64 s3, s[12:13], 1
	s_and_b32 vcc_lo, exec_lo, s3
	s_cbranch_vccnz .LBB61_59
.LBB61_5:
	s_clause 0x4
	s_load_b128 s[16:19], s[0:1], 0x58
	s_load_b64 s[24:25], s[0:1], 0x68
	s_load_b96 s[20:22], s[0:1], 0x48
	s_load_b64 s[26:27], s[0:1], 0x38
	s_load_b32 s9, s[0:1], 0x0
	s_wait_xcnt 0x0
	s_lshl_b64 s[0:1], s[4:5], 2
	v_cvt_f32_u32_e32 v1, s14
	v_dual_lshlrev_b32 v30, 8, v2 :: v_dual_bitop2_b32 v4, 3, v0 bitop3:0x40
	v_dual_mov_b32 v6, 0 :: v_dual_lshlrev_b32 v31, 3, v0
	s_delay_alu instid0(VALU_DEP_3)
	v_rcp_iflag_f32_e32 v1, v1
	v_cmp_gt_u32_e64 s3, 32, v0
	v_cmp_gt_u32_e64 s4, 16, v0
	v_cmp_gt_u32_e64 s5, 8, v0
	v_cmp_gt_u32_e64 s6, 4, v0
	v_cmp_gt_u32_e64 s7, 2, v0
	v_cmp_eq_u32_e64 s8, 0, v0
	v_mbcnt_lo_u32_b32 v10, -1, 0
	v_mov_b32_e32 v5, v6
	s_wait_kmcnt 0x0
	s_add_nc_u64 s[0:1], s[18:19], s[0:1]
	v_mov_b64_e32 v[18:19], 0
	s_load_b32 s11, s[0:1], 0x0
	s_wait_xcnt 0x0
	v_cmp_gt_u32_e64 s0, 0x80, v0
	v_cmp_gt_u32_e64 s1, 64, v0
	v_dual_mul_f32 v1, 0x4f7ffffe, v1 :: v_dual_lshlrev_b32 v0, 2, v2
	v_xor_b32_e32 v14, 2, v10
	v_dual_mov_b32 v2, 1 :: v_dual_bitop2_b32 v17, 1, v10 bitop3:0x14
	v_lshlrev_b32_e32 v8, 2, v4
	s_delay_alu instid0(VALU_DEP_4) | instskip(NEXT) | instid1(VALU_DEP_4)
	v_cvt_u32_f32_e32 v16, v1
	v_cmp_gt_i32_e32 vcc_lo, 32, v14
	v_mov_b32_e32 v1, v6
	v_lshl_or_b32 v32, v10, 2, 12
	v_dual_mov_b32 v9, v6 :: v_dual_mov_b32 v11, v6
	v_cndmask_b32_e32 v21, v10, v14, vcc_lo
	v_cmp_gt_i32_e32 vcc_lo, 32, v17
	v_dual_mov_b32 v13, v6 :: v_dual_mov_b32 v15, v6
	v_or_b32_e32 v14, 48, v8
	s_wait_kmcnt 0x0
	s_sub_co_i32 s30, s11, s22
	s_cmp_lg_u32 s9, 0
	v_cndmask_b32_e32 v17, v10, v17, vcc_lo
	s_cselect_b32 s23, -1, 0
	s_sub_co_i32 s9, 0, s14
	v_dual_lshlrev_b32 v34, 2, v21 :: v_dual_bitop2_b32 v33, v30, v8 bitop3:0x54
	v_mul_lo_u32 v12, s9, v16
	v_dual_lshlrev_b32 v35, 2, v17 :: v_dual_bitop2_b32 v10, 32, v8 bitop3:0x54
	s_mov_b32 s29, 0
	s_mov_b64 s[18:19], 0xffffffff
	s_mov_b32 s11, s29
	s_lshl_b64 s[34:35], s[14:15], 2
	s_lshl_b64 s[36:37], s[14:15], 6
	s_ashr_i32 s38, s15, 31
	v_mov_b32_e32 v28, 0
	s_delay_alu instid0(VALU_DEP_3) | instskip(SKIP_1) | instid1(VALU_DEP_2)
	v_mul_hi_u32 v20, v16, v12
	v_or_b32_e32 v12, 16, v8
	v_add_nc_u32_e32 v36, v16, v20
	s_branch .LBB61_7
.LBB61_6:                               ;   in Loop: Header=BB61_7 Depth=1
	s_or_b32 exec_lo, exec_lo, s28
	s_wait_dscnt 0x0
	s_barrier_signal -1
	s_barrier_wait -1
	ds_load_b64 v[18:19], v6
	s_add_co_i32 s30, s9, s30
	s_wait_dscnt 0x0
	s_barrier_signal -1
	s_barrier_wait -1
	v_dual_mov_b32 v28, v18 :: v_dual_ashrrev_i32 v19, 31, v18
	s_delay_alu instid0(VALU_DEP_1)
	v_cmp_gt_i64_e32 vcc_lo, s[12:13], v[18:19]
	s_cbranch_vccz .LBB61_59
.LBB61_7:                               ; =>This Loop Header: Depth=1
                                        ;     Child Loop BB61_10 Depth 2
                                        ;     Child Loop BB61_22 Depth 2
	v_mov_b64_e32 v[16:17], s[12:13]
	v_add_nc_u32_e32 v20, v7, v4
	v_mov_b32_e32 v7, v3
	s_mov_b32 s31, exec_lo
	ds_store_b8 v6, v6 offset:16384
	ds_store_2addr_b32 v33, v6, v6 offset1:4
	ds_store_2addr_b32 v33, v6, v6 offset0:8 offset1:12
	ds_store_2addr_b32 v33, v6, v6 offset0:16 offset1:20
	ds_store_2addr_b32 v33, v6, v6 offset0:24 offset1:28
	ds_store_2addr_b32 v33, v6, v6 offset0:32 offset1:36
	ds_store_2addr_b32 v33, v6, v6 offset0:40 offset1:44
	ds_store_2addr_b32 v33, v6, v6 offset0:48 offset1:52
	ds_store_2addr_b32 v33, v6, v6 offset0:56 offset1:60
	s_wait_dscnt 0x0
	s_barrier_signal -1
	s_barrier_wait -1
	v_cmpx_lt_i32_e64 v20, v3
	s_cbranch_execz .LBB61_19
; %bb.8:                                ;   in Loop: Header=BB61_7 Depth=1
	v_mul_u64_e32 v[22:23], s[14:15], v[18:19]
	v_mov_b64_e32 v[16:17], s[12:13]
	v_mov_b32_e32 v23, v3
	s_mov_b32 s33, 0
	s_branch .LBB61_10
.LBB61_9:                               ;   in Loop: Header=BB61_10 Depth=2
	s_wait_xcnt 0x0
	s_or_b32 exec_lo, exec_lo, s9
	v_dual_mov_b32 v23, v7 :: v_dual_add_nc_u32 v20, 4, v20
	s_xor_b32 s28, vcc_lo, -1
	s_delay_alu instid0(VALU_DEP_1) | instskip(SKIP_1) | instid1(SALU_CYCLE_1)
	v_cmp_ge_i32_e64 s9, v20, v3
	s_or_b32 s9, s28, s9
	s_and_b32 s9, exec_lo, s9
	s_delay_alu instid0(SALU_CYCLE_1) | instskip(NEXT) | instid1(SALU_CYCLE_1)
	s_or_b32 s33, s9, s33
	s_and_not1_b32 exec_lo, exec_lo, s33
	s_cbranch_execz .LBB61_18
.LBB61_10:                              ;   Parent Loop BB61_7 Depth=1
                                        ; =>  This Inner Loop Header: Depth=2
	global_load_b64 v[24:25], v20, s[20:21] scale_offset
                                        ; implicit-def: $vgpr26_vgpr27
	s_mov_b32 s9, exec_lo
	s_wait_loadcnt 0x0
	v_sub_nc_u64_e64 v[24:25], v[24:25], s[10:11]
	s_delay_alu instid0(VALU_DEP_1) | instskip(SKIP_1) | instid1(VALU_DEP_1)
	v_or_b32_e32 v7, s15, v25
	s_wait_xcnt 0x0
	v_cmpx_ne_u64_e32 0, v[6:7]
	s_xor_b32 s42, exec_lo, s9
	s_cbranch_execz .LBB61_12
; %bb.11:                               ;   in Loop: Header=BB61_10 Depth=2
	s_mov_b32 s39, s38
	v_dual_mov_b32 v41, v6 :: v_dual_ashrrev_i32 v26, 31, v25
	s_add_nc_u64 s[40:41], s[14:15], s[38:39]
	v_mov_b32_e32 v45, v6
	s_xor_b64 s[40:41], s[40:41], s[38:39]
	s_delay_alu instid0(VALU_DEP_2)
	v_mov_b32_e32 v27, v26
	s_cvt_f32_u32 s9, s40
	s_cvt_f32_u32 s28, s41
	s_sub_nc_u64 s[46:47], 0, s[40:41]
	v_mov_b32_e32 v49, v6
	v_add_nc_u64_e32 v[38:39], v[24:25], v[26:27]
	s_fmamk_f32 s9, s28, 0x4f800000, s9
	s_delay_alu instid0(SALU_CYCLE_3) | instskip(NEXT) | instid1(VALU_DEP_1)
	v_s_rcp_f32 s9, s9
	v_xor_b32_e32 v44, v39, v26
	s_delay_alu instid0(VALU_DEP_2) | instskip(SKIP_1) | instid1(TRANS32_DEP_1)
	v_xor_b32_e32 v40, v38, v26
	v_xor_b32_e32 v26, s38, v26
	s_mul_f32 s9, s9, 0x5f7ffffc
	s_delay_alu instid0(SALU_CYCLE_3) | instskip(NEXT) | instid1(SALU_CYCLE_3)
	s_mul_f32 s28, s9, 0x2f800000
	s_trunc_f32 s28, s28
	s_delay_alu instid0(SALU_CYCLE_3) | instskip(SKIP_1) | instid1(SALU_CYCLE_2)
	s_fmamk_f32 s9, s28, 0xcf800000, s9
	s_cvt_u32_f32 s45, s28
	s_cvt_u32_f32 s44, s9
	s_delay_alu instid0(SALU_CYCLE_3) | instskip(NEXT) | instid1(SALU_CYCLE_1)
	s_mul_u64 s[48:49], s[46:47], s[44:45]
	s_mul_hi_u32 s51, s44, s49
	s_mul_i32 s50, s44, s49
	s_mul_hi_u32 s28, s44, s48
	s_mul_i32 s39, s45, s48
	s_add_nc_u64 s[50:51], s[28:29], s[50:51]
	s_mul_hi_u32 s9, s45, s48
	s_mul_hi_u32 s43, s45, s49
	s_add_co_u32 s28, s50, s39
	s_add_co_ci_u32 s28, s51, s9
	s_mul_i32 s48, s45, s49
	s_add_co_ci_u32 s49, s43, 0
	s_delay_alu instid0(SALU_CYCLE_1) | instskip(NEXT) | instid1(SALU_CYCLE_1)
	s_add_nc_u64 s[48:49], s[28:29], s[48:49]
	s_add_co_u32 s44, s44, s48
	s_cselect_b32 s9, -1, 0
	s_delay_alu instid0(SALU_CYCLE_1) | instskip(SKIP_1) | instid1(SALU_CYCLE_1)
	s_cmp_lg_u32 s9, 0
	s_add_co_ci_u32 s45, s45, s49
	s_mul_u64 s[46:47], s[46:47], s[44:45]
	s_delay_alu instid0(SALU_CYCLE_1)
	s_mul_hi_u32 s49, s44, s47
	s_mul_i32 s48, s44, s47
	s_mul_hi_u32 s28, s44, s46
	s_mul_i32 s39, s45, s46
	s_add_nc_u64 s[48:49], s[28:29], s[48:49]
	s_mul_hi_u32 s9, s45, s46
	s_mul_hi_u32 s43, s45, s47
	s_add_co_u32 s28, s48, s39
	s_add_co_ci_u32 s28, s49, s9
	s_mul_i32 s46, s45, s47
	s_add_co_ci_u32 s47, s43, 0
	s_delay_alu instid0(SALU_CYCLE_1) | instskip(NEXT) | instid1(SALU_CYCLE_1)
	s_add_nc_u64 s[46:47], s[28:29], s[46:47]
	s_add_co_u32 s44, s44, s46
	s_cselect_b32 s9, -1, 0
	v_mul_hi_u32 v48, v40, s44
	s_cmp_lg_u32 s9, 0
	s_add_co_ci_u32 s28, s45, s47
	s_and_b64 s[46:47], s[44:45], s[18:19]
	v_mul_u64_e32 v[42:43], s[28:29], v[40:41]
	v_mul_u64_e32 v[38:39], s[46:47], v[44:45]
	;; [unrolled: 1-line block ×3, first 2 shown]
	s_delay_alu instid0(VALU_DEP_3) | instskip(NEXT) | instid1(VALU_DEP_1)
	v_add_nc_u64_e32 v[42:43], v[48:49], v[42:43]
	v_add_co_u32 v7, vcc_lo, v42, v38
	s_delay_alu instid0(VALU_DEP_2) | instskip(NEXT) | instid1(VALU_DEP_4)
	v_add_co_ci_u32_e32 v48, vcc_lo, v43, v39, vcc_lo
	v_add_co_ci_u32_e32 v47, vcc_lo, 0, v47, vcc_lo
	s_delay_alu instid0(VALU_DEP_1) | instskip(NEXT) | instid1(VALU_DEP_1)
	v_add_nc_u64_e32 v[38:39], v[48:49], v[46:47]
	v_mul_u64_e32 v[42:43], s[40:41], v[38:39]
	s_delay_alu instid0(VALU_DEP_1) | instskip(NEXT) | instid1(VALU_DEP_2)
	v_sub_nc_u32_e32 v7, v44, v43
	v_sub_co_u32 v21, vcc_lo, v40, v42
	s_delay_alu instid0(VALU_DEP_1) | instskip(NEXT) | instid1(VALU_DEP_3)
	v_sub_co_ci_u32_e64 v27, null, v44, v43, vcc_lo
	v_subrev_co_ci_u32_e64 v7, null, s41, v7, vcc_lo
	s_delay_alu instid0(VALU_DEP_3) | instskip(SKIP_1) | instid1(VALU_DEP_3)
	v_sub_co_u32 v25, s9, v21, s40
	v_add_nc_u64_e32 v[40:41], 2, v[38:39]
	v_subrev_co_ci_u32_e64 v7, null, 0, v7, s9
	s_delay_alu instid0(VALU_DEP_3) | instskip(SKIP_2) | instid1(VALU_DEP_4)
	v_cmp_le_u32_e32 vcc_lo, s40, v25
	v_add_nc_u64_e32 v[42:43], 1, v[38:39]
	v_cndmask_b32_e64 v25, 0, -1, vcc_lo
	v_cmp_le_u32_e32 vcc_lo, s41, v7
	v_cndmask_b32_e64 v29, 0, -1, vcc_lo
	v_cmp_le_u32_e32 vcc_lo, s40, v21
	;; [unrolled: 2-line block ×3, first 2 shown]
	v_cndmask_b32_e64 v37, 0, -1, vcc_lo
	v_cmp_eq_u32_e32 vcc_lo, s41, v7
	v_cndmask_b32_e32 v7, v29, v25, vcc_lo
	v_cmp_eq_u32_e32 vcc_lo, s41, v27
	s_delay_alu instid0(VALU_DEP_4) | instskip(NEXT) | instid1(VALU_DEP_3)
	v_dual_mov_b32 v27, v26 :: v_dual_cndmask_b32 v21, v37, v21, vcc_lo
	v_cmp_ne_u32_e32 vcc_lo, 0, v7
	s_delay_alu instid0(VALU_DEP_2) | instskip(SKIP_1) | instid1(VALU_DEP_1)
	v_cmp_ne_u32_e64 s9, 0, v21
	v_dual_cndmask_b32 v7, v43, v41, vcc_lo :: v_dual_cndmask_b32 v21, v42, v40, vcc_lo
	v_dual_cndmask_b32 v7, v39, v7, s9 :: v_dual_cndmask_b32 v21, v38, v21, s9
	s_delay_alu instid0(VALU_DEP_1) | instskip(NEXT) | instid1(VALU_DEP_2)
	v_xor_b32_e32 v39, v7, v26
	v_xor_b32_e32 v38, v21, v26
	s_delay_alu instid0(VALU_DEP_1)
	v_sub_nc_u64_e32 v[26:27], v[38:39], v[26:27]
.LBB61_12:                              ;   in Loop: Header=BB61_10 Depth=2
	s_and_not1_saveexec_b32 s9, s42
	s_cbranch_execz .LBB61_14
; %bb.13:                               ;   in Loop: Header=BB61_10 Depth=2
	v_mul_hi_u32 v7, v24, v36
	v_mov_b32_e32 v27, v6
	s_delay_alu instid0(VALU_DEP_2) | instskip(NEXT) | instid1(VALU_DEP_1)
	v_mul_lo_u32 v21, v7, s14
	v_dual_add_nc_u32 v25, 1, v7 :: v_dual_sub_nc_u32 v21, v24, v21
	s_delay_alu instid0(VALU_DEP_1) | instskip(SKIP_1) | instid1(VALU_DEP_2)
	v_subrev_nc_u32_e32 v26, s14, v21
	v_cmp_le_u32_e32 vcc_lo, s14, v21
	v_dual_cndmask_b32 v21, v21, v26, vcc_lo :: v_dual_cndmask_b32 v7, v7, v25, vcc_lo
	s_delay_alu instid0(VALU_DEP_1) | instskip(NEXT) | instid1(VALU_DEP_2)
	v_cmp_le_u32_e32 vcc_lo, s14, v21
	v_add_nc_u32_e32 v25, 1, v7
	s_delay_alu instid0(VALU_DEP_1)
	v_cndmask_b32_e32 v26, v7, v25, vcc_lo
.LBB61_14:                              ;   in Loop: Header=BB61_10 Depth=2
	s_or_b32 exec_lo, exec_lo, s9
	s_delay_alu instid0(VALU_DEP_1) | instskip(SKIP_2) | instid1(SALU_CYCLE_1)
	v_cmp_ne_u64_e64 s9, v[26:27], v[18:19]
	v_cmp_eq_u64_e32 vcc_lo, v[26:27], v[18:19]
	s_and_saveexec_b32 s28, s9
	s_xor_b32 s9, exec_lo, s28
; %bb.15:                               ;   in Loop: Header=BB61_10 Depth=2
	v_min_i64 v[16:17], v[26:27], v[16:17]
                                        ; implicit-def: $vgpr24_vgpr25
                                        ; implicit-def: $vgpr23
; %bb.16:                               ;   in Loop: Header=BB61_10 Depth=2
	s_or_saveexec_b32 s9, s9
	v_mov_b32_e32 v7, v20
	s_xor_b32 exec_lo, exec_lo, s9
	s_cbranch_execz .LBB61_9
; %bb.17:                               ;   in Loop: Header=BB61_10 Depth=2
	v_dual_ashrrev_i32 v21, 31, v20 :: v_dual_sub_nc_u32 v7, v24, v22
	s_delay_alu instid0(VALU_DEP_1) | instskip(NEXT) | instid1(VALU_DEP_2)
	v_lshl_add_u64 v[26:27], v[20:21], 2, s[26:27]
	v_lshl_add_u32 v24, v7, 2, v30
	v_mov_b32_e32 v7, v23
	global_load_b32 v21, v[26:27], off
	ds_store_b8 v6, v2 offset:16384
	s_wait_loadcnt 0x0
	ds_store_b32 v24, v21
	s_branch .LBB61_9
.LBB61_18:                              ;   in Loop: Header=BB61_7 Depth=1
	s_or_b32 exec_lo, exec_lo, s33
.LBB61_19:                              ;   in Loop: Header=BB61_7 Depth=1
	s_delay_alu instid0(SALU_CYCLE_1)
	s_or_b32 exec_lo, exec_lo, s31
	ds_bpermute_b32 v18, v34, v7
	s_wait_dscnt 0x0
	s_barrier_signal -1
	s_barrier_wait -1
	ds_load_u8 v19, v6 offset:16384
	s_mov_b32 s9, 0
	v_min_i32_e32 v7, v18, v7
	ds_bpermute_b32 v18, v35, v7
	s_wait_dscnt 0x0
	v_min_i32_e32 v7, v18, v7
	v_and_b32_e32 v18, 1, v19
	ds_bpermute_b32 v7, v32, v7
	v_cmp_eq_u32_e32 vcc_lo, 0, v18
	s_cbranch_vccnz .LBB61_43
; %bb.20:                               ;   in Loop: Header=BB61_7 Depth=1
	s_ashr_i32 s31, s30, 31
	v_add_nc_u32_e32 v28, s22, v28
	s_mul_u64 s[40:41], s[34:35], s[30:31]
	v_mov_b32_e32 v37, v33
	v_add_nc_u64_e32 v[38:39], s[40:41], v[10:11]
	v_add_nc_u64_e32 v[40:41], s[40:41], v[12:13]
	;; [unrolled: 1-line block ×5, first 2 shown]
	s_mov_b64 s[40:41], 0
	v_mad_nc_u64_u32 v[18:19], s14, v38, v[0:1]
	v_mad_nc_u64_u32 v[20:21], s14, v40, v[0:1]
	v_mad_nc_u64_u32 v[22:23], s14, v42, v[0:1]
	v_mad_nc_u64_u32 v[24:25], s14, v44, v[8:9]
	v_mad_nc_u64_u32 v[26:27], s14, v46, v[0:1]
	v_mad_u32 v19, s15, v38, v19
	v_mad_u32 v21, s15, v40, v21
	;; [unrolled: 1-line block ×5, first 2 shown]
	v_dual_mov_b32 v38, s30 :: v_dual_ashrrev_i32 v29, 31, v28
	global_store_b64 v38, v[28:29], s[24:25] scale_offset
	v_mad_u32 v19, s14, v39, v19
	v_mad_u32 v21, s14, v41, v21
	;; [unrolled: 1-line block ×5, first 2 shown]
	s_branch .LBB61_22
.LBB61_21:                              ;   in Loop: Header=BB61_22 Depth=2
	s_wait_xcnt 0x0
	s_or_b32 exec_lo, exec_lo, s9
	v_add_nc_u64_e32 v[18:19], s[36:37], v[18:19]
	v_add_nc_u64_e32 v[20:21], s[36:37], v[20:21]
	v_add_nc_u64_e32 v[22:23], s[36:37], v[22:23]
	v_add_nc_u64_e32 v[24:25], 64, v[24:25]
	v_add_nc_u64_e32 v[26:27], s[36:37], v[26:27]
	s_add_nc_u64 s[40:41], s[40:41], 16
	v_add_nc_u32_e32 v37, 64, v37
	s_add_co_i32 s9, s40, -4
	s_delay_alu instid0(SALU_CYCLE_1)
	s_cmp_lt_u32 s9, 60
	s_cbranch_scc0 .LBB61_42
.LBB61_22:                              ;   Parent Loop BB61_7 Depth=1
                                        ; =>  This Inner Loop Header: Depth=2
	s_wait_xcnt 0x0
	s_wait_dscnt 0x0
	v_add_nc_u64_e32 v[28:29], s[40:41], v[4:5]
	s_delay_alu instid0(VALU_DEP_1) | instskip(SKIP_1) | instid1(SALU_CYCLE_1)
	v_cmp_gt_i64_e32 vcc_lo, s[14:15], v[28:29]
	s_and_b32 s28, s2, vcc_lo
	s_and_saveexec_b32 s9, s28
	s_cbranch_execz .LBB61_26
; %bb.23:                               ;   in Loop: Header=BB61_22 Depth=2
	ds_load_b32 v38, v37
	s_and_b32 vcc_lo, exec_lo, s23
	s_cbranch_vccz .LBB61_37
; %bb.24:                               ;   in Loop: Header=BB61_22 Depth=2
	v_add_nc_u64_e32 v[40:41], s[16:17], v[22:23]
	s_wait_dscnt 0x0
	global_store_b32 v[40:41], v38, off
	s_cbranch_execnz .LBB61_26
.LBB61_25:                              ;   in Loop: Header=BB61_22 Depth=2
	s_wait_xcnt 0x0
	v_add_nc_u64_e32 v[40:41], s[16:17], v[24:25]
	s_wait_dscnt 0x0
	global_store_b32 v[40:41], v38, off
.LBB61_26:                              ;   in Loop: Header=BB61_22 Depth=2
	s_wait_xcnt 0x0
	s_or_b32 exec_lo, exec_lo, s9
	s_wait_dscnt 0x0
	v_add_nc_u64_e32 v[38:39], 4, v[28:29]
	s_delay_alu instid0(VALU_DEP_1) | instskip(SKIP_1) | instid1(SALU_CYCLE_1)
	v_cmp_gt_i64_e32 vcc_lo, s[14:15], v[38:39]
	s_and_b32 s28, s2, vcc_lo
	s_and_saveexec_b32 s9, s28
	s_cbranch_execz .LBB61_30
; %bb.27:                               ;   in Loop: Header=BB61_22 Depth=2
	ds_load_b32 v38, v37 offset:16
	s_and_not1_b32 vcc_lo, exec_lo, s23
	s_cbranch_vccnz .LBB61_38
; %bb.28:                               ;   in Loop: Header=BB61_22 Depth=2
	v_add_nc_u64_e32 v[40:41], s[16:17], v[20:21]
	s_wait_dscnt 0x0
	global_store_b32 v[40:41], v38, off
	s_cbranch_execnz .LBB61_30
.LBB61_29:                              ;   in Loop: Header=BB61_22 Depth=2
	s_wait_xcnt 0x0
	v_add_nc_u64_e32 v[40:41], s[16:17], v[24:25]
	s_wait_dscnt 0x0
	global_store_b32 v[40:41], v38, off offset:16
.LBB61_30:                              ;   in Loop: Header=BB61_22 Depth=2
	s_wait_xcnt 0x0
	s_or_b32 exec_lo, exec_lo, s9
	s_wait_dscnt 0x0
	v_add_nc_u64_e32 v[38:39], 8, v[28:29]
	s_delay_alu instid0(VALU_DEP_1) | instskip(SKIP_1) | instid1(SALU_CYCLE_1)
	v_cmp_gt_i64_e32 vcc_lo, s[14:15], v[38:39]
	s_and_b32 s28, s2, vcc_lo
	s_and_saveexec_b32 s9, s28
	s_cbranch_execz .LBB61_34
; %bb.31:                               ;   in Loop: Header=BB61_22 Depth=2
	ds_load_b32 v38, v37 offset:32
	s_and_not1_b32 vcc_lo, exec_lo, s23
	s_cbranch_vccnz .LBB61_39
; %bb.32:                               ;   in Loop: Header=BB61_22 Depth=2
	v_add_nc_u64_e32 v[40:41], s[16:17], v[18:19]
	s_wait_dscnt 0x0
	global_store_b32 v[40:41], v38, off
	s_cbranch_execnz .LBB61_34
.LBB61_33:                              ;   in Loop: Header=BB61_22 Depth=2
	s_wait_xcnt 0x0
	v_add_nc_u64_e32 v[40:41], s[16:17], v[24:25]
	s_wait_dscnt 0x0
	global_store_b32 v[40:41], v38, off offset:32
.LBB61_34:                              ;   in Loop: Header=BB61_22 Depth=2
	s_wait_xcnt 0x0
	s_or_b32 exec_lo, exec_lo, s9
	v_add_nc_u64_e32 v[28:29], 12, v[28:29]
	s_delay_alu instid0(VALU_DEP_1) | instskip(SKIP_1) | instid1(SALU_CYCLE_1)
	v_cmp_gt_i64_e32 vcc_lo, s[14:15], v[28:29]
	s_and_b32 s28, s2, vcc_lo
	s_and_saveexec_b32 s9, s28
	s_cbranch_execz .LBB61_21
; %bb.35:                               ;   in Loop: Header=BB61_22 Depth=2
	ds_load_b32 v28, v37 offset:48
	s_and_not1_b32 vcc_lo, exec_lo, s23
	s_cbranch_vccnz .LBB61_40
; %bb.36:                               ;   in Loop: Header=BB61_22 Depth=2
	s_wait_dscnt 0x1
	v_add_nc_u64_e32 v[38:39], s[16:17], v[26:27]
	s_wait_dscnt 0x0
	global_store_b32 v[38:39], v28, off
	s_cbranch_execnz .LBB61_21
	s_branch .LBB61_41
.LBB61_37:                              ;   in Loop: Header=BB61_22 Depth=2
	s_branch .LBB61_25
.LBB61_38:                              ;   in Loop: Header=BB61_22 Depth=2
	s_branch .LBB61_29
.LBB61_39:                              ;   in Loop: Header=BB61_22 Depth=2
	s_branch .LBB61_33
.LBB61_40:                              ;   in Loop: Header=BB61_22 Depth=2
.LBB61_41:                              ;   in Loop: Header=BB61_22 Depth=2
	s_wait_dscnt 0x1
	s_wait_xcnt 0x0
	v_add_nc_u64_e32 v[38:39], s[16:17], v[24:25]
	s_wait_dscnt 0x0
	global_store_b32 v[38:39], v28, off offset:48
	s_branch .LBB61_21
.LBB61_42:                              ;   in Loop: Header=BB61_7 Depth=1
	s_mov_b32 s9, 1
.LBB61_43:                              ;   in Loop: Header=BB61_7 Depth=1
	s_wait_storecnt_dscnt 0x0
	s_barrier_signal -1
	s_barrier_wait -1
	ds_store_b64 v31, v[16:17]
	s_wait_dscnt 0x0
	s_barrier_signal -1
	s_barrier_wait -1
	s_and_saveexec_b32 s28, s0
	s_cbranch_execz .LBB61_45
; %bb.44:                               ;   in Loop: Header=BB61_7 Depth=1
	ds_load_2addr_stride64_b64 v[16:19], v31 offset1:2
	s_wait_dscnt 0x0
	v_min_i64 v[16:17], v[18:19], v[16:17]
	ds_store_b64 v31, v[16:17]
.LBB61_45:                              ;   in Loop: Header=BB61_7 Depth=1
	s_or_b32 exec_lo, exec_lo, s28
	s_wait_dscnt 0x0
	s_barrier_signal -1
	s_barrier_wait -1
	s_and_saveexec_b32 s28, s1
	s_cbranch_execz .LBB61_47
; %bb.46:                               ;   in Loop: Header=BB61_7 Depth=1
	ds_load_2addr_stride64_b64 v[16:19], v31 offset1:1
	s_wait_dscnt 0x0
	v_min_i64 v[16:17], v[18:19], v[16:17]
	ds_store_b64 v31, v[16:17]
.LBB61_47:                              ;   in Loop: Header=BB61_7 Depth=1
	s_or_b32 exec_lo, exec_lo, s28
	s_wait_dscnt 0x0
	s_barrier_signal -1
	s_barrier_wait -1
	s_and_saveexec_b32 s28, s3
	s_cbranch_execz .LBB61_49
; %bb.48:                               ;   in Loop: Header=BB61_7 Depth=1
	ds_load_2addr_b64 v[16:19], v31 offset1:32
	s_wait_dscnt 0x0
	v_min_i64 v[16:17], v[18:19], v[16:17]
	ds_store_b64 v31, v[16:17]
.LBB61_49:                              ;   in Loop: Header=BB61_7 Depth=1
	s_or_b32 exec_lo, exec_lo, s28
	s_wait_dscnt 0x0
	s_barrier_signal -1
	s_barrier_wait -1
	s_and_saveexec_b32 s28, s4
	s_cbranch_execz .LBB61_51
; %bb.50:                               ;   in Loop: Header=BB61_7 Depth=1
	ds_load_2addr_b64 v[16:19], v31 offset1:16
	s_wait_dscnt 0x0
	v_min_i64 v[16:17], v[18:19], v[16:17]
	ds_store_b64 v31, v[16:17]
.LBB61_51:                              ;   in Loop: Header=BB61_7 Depth=1
	s_or_b32 exec_lo, exec_lo, s28
	s_wait_dscnt 0x0
	s_barrier_signal -1
	s_barrier_wait -1
	s_and_saveexec_b32 s28, s5
	s_cbranch_execz .LBB61_53
; %bb.52:                               ;   in Loop: Header=BB61_7 Depth=1
	ds_load_2addr_b64 v[16:19], v31 offset1:8
	s_wait_dscnt 0x0
	v_min_i64 v[16:17], v[18:19], v[16:17]
	ds_store_b64 v31, v[16:17]
.LBB61_53:                              ;   in Loop: Header=BB61_7 Depth=1
	s_or_b32 exec_lo, exec_lo, s28
	s_wait_dscnt 0x0
	s_barrier_signal -1
	s_barrier_wait -1
	s_and_saveexec_b32 s28, s6
	s_cbranch_execz .LBB61_55
; %bb.54:                               ;   in Loop: Header=BB61_7 Depth=1
	ds_load_2addr_b64 v[16:19], v31 offset1:4
	s_wait_dscnt 0x0
	v_min_i64 v[16:17], v[18:19], v[16:17]
	ds_store_b64 v31, v[16:17]
.LBB61_55:                              ;   in Loop: Header=BB61_7 Depth=1
	s_or_b32 exec_lo, exec_lo, s28
	s_wait_dscnt 0x0
	s_barrier_signal -1
	s_barrier_wait -1
	s_and_saveexec_b32 s28, s7
	s_cbranch_execz .LBB61_57
; %bb.56:                               ;   in Loop: Header=BB61_7 Depth=1
	ds_load_2addr_b64 v[16:19], v31 offset1:2
	s_wait_dscnt 0x0
	v_min_i64 v[16:17], v[18:19], v[16:17]
	ds_store_b64 v31, v[16:17]
.LBB61_57:                              ;   in Loop: Header=BB61_7 Depth=1
	s_or_b32 exec_lo, exec_lo, s28
	s_wait_dscnt 0x0
	s_barrier_signal -1
	s_barrier_wait -1
	s_and_saveexec_b32 s28, s8
	s_cbranch_execz .LBB61_6
; %bb.58:                               ;   in Loop: Header=BB61_7 Depth=1
	ds_load_b128 v[16:19], v6
	s_wait_dscnt 0x0
	v_min_i64 v[16:17], v[18:19], v[16:17]
	ds_store_b64 v6, v[16:17]
	s_branch .LBB61_6
.LBB61_59:
	s_endpgm
	.section	.rodata,"a",@progbits
	.p2align	6, 0x0
	.amdhsa_kernel _ZN9rocsparseL38csr2bsr_block_per_row_multipass_kernelILj256ELj64EfilEEv20rocsparse_direction_T3_S2_S2_S2_S2_21rocsparse_index_base_PKT1_PKT2_PKS2_S3_PS4_PS7_PS2_
		.amdhsa_group_segment_fixed_size 16388
		.amdhsa_private_segment_fixed_size 0
		.amdhsa_kernarg_size 112
		.amdhsa_user_sgpr_count 2
		.amdhsa_user_sgpr_dispatch_ptr 0
		.amdhsa_user_sgpr_queue_ptr 0
		.amdhsa_user_sgpr_kernarg_segment_ptr 1
		.amdhsa_user_sgpr_dispatch_id 0
		.amdhsa_user_sgpr_kernarg_preload_length 0
		.amdhsa_user_sgpr_kernarg_preload_offset 0
		.amdhsa_user_sgpr_private_segment_size 0
		.amdhsa_wavefront_size32 1
		.amdhsa_uses_dynamic_stack 0
		.amdhsa_enable_private_segment 0
		.amdhsa_system_sgpr_workgroup_id_x 1
		.amdhsa_system_sgpr_workgroup_id_y 0
		.amdhsa_system_sgpr_workgroup_id_z 0
		.amdhsa_system_sgpr_workgroup_info 0
		.amdhsa_system_vgpr_workitem_id 0
		.amdhsa_next_free_vgpr 50
		.amdhsa_next_free_sgpr 52
		.amdhsa_named_barrier_count 0
		.amdhsa_reserve_vcc 1
		.amdhsa_float_round_mode_32 0
		.amdhsa_float_round_mode_16_64 0
		.amdhsa_float_denorm_mode_32 3
		.amdhsa_float_denorm_mode_16_64 3
		.amdhsa_fp16_overflow 0
		.amdhsa_memory_ordered 1
		.amdhsa_forward_progress 1
		.amdhsa_inst_pref_size 23
		.amdhsa_round_robin_scheduling 0
		.amdhsa_exception_fp_ieee_invalid_op 0
		.amdhsa_exception_fp_denorm_src 0
		.amdhsa_exception_fp_ieee_div_zero 0
		.amdhsa_exception_fp_ieee_overflow 0
		.amdhsa_exception_fp_ieee_underflow 0
		.amdhsa_exception_fp_ieee_inexact 0
		.amdhsa_exception_int_div_zero 0
	.end_amdhsa_kernel
	.section	.text._ZN9rocsparseL38csr2bsr_block_per_row_multipass_kernelILj256ELj64EfilEEv20rocsparse_direction_T3_S2_S2_S2_S2_21rocsparse_index_base_PKT1_PKT2_PKS2_S3_PS4_PS7_PS2_,"axG",@progbits,_ZN9rocsparseL38csr2bsr_block_per_row_multipass_kernelILj256ELj64EfilEEv20rocsparse_direction_T3_S2_S2_S2_S2_21rocsparse_index_base_PKT1_PKT2_PKS2_S3_PS4_PS7_PS2_,comdat
.Lfunc_end61:
	.size	_ZN9rocsparseL38csr2bsr_block_per_row_multipass_kernelILj256ELj64EfilEEv20rocsparse_direction_T3_S2_S2_S2_S2_21rocsparse_index_base_PKT1_PKT2_PKS2_S3_PS4_PS7_PS2_, .Lfunc_end61-_ZN9rocsparseL38csr2bsr_block_per_row_multipass_kernelILj256ELj64EfilEEv20rocsparse_direction_T3_S2_S2_S2_S2_21rocsparse_index_base_PKT1_PKT2_PKS2_S3_PS4_PS7_PS2_
                                        ; -- End function
	.set _ZN9rocsparseL38csr2bsr_block_per_row_multipass_kernelILj256ELj64EfilEEv20rocsparse_direction_T3_S2_S2_S2_S2_21rocsparse_index_base_PKT1_PKT2_PKS2_S3_PS4_PS7_PS2_.num_vgpr, 50
	.set _ZN9rocsparseL38csr2bsr_block_per_row_multipass_kernelILj256ELj64EfilEEv20rocsparse_direction_T3_S2_S2_S2_S2_21rocsparse_index_base_PKT1_PKT2_PKS2_S3_PS4_PS7_PS2_.num_agpr, 0
	.set _ZN9rocsparseL38csr2bsr_block_per_row_multipass_kernelILj256ELj64EfilEEv20rocsparse_direction_T3_S2_S2_S2_S2_21rocsparse_index_base_PKT1_PKT2_PKS2_S3_PS4_PS7_PS2_.numbered_sgpr, 52
	.set _ZN9rocsparseL38csr2bsr_block_per_row_multipass_kernelILj256ELj64EfilEEv20rocsparse_direction_T3_S2_S2_S2_S2_21rocsparse_index_base_PKT1_PKT2_PKS2_S3_PS4_PS7_PS2_.num_named_barrier, 0
	.set _ZN9rocsparseL38csr2bsr_block_per_row_multipass_kernelILj256ELj64EfilEEv20rocsparse_direction_T3_S2_S2_S2_S2_21rocsparse_index_base_PKT1_PKT2_PKS2_S3_PS4_PS7_PS2_.private_seg_size, 0
	.set _ZN9rocsparseL38csr2bsr_block_per_row_multipass_kernelILj256ELj64EfilEEv20rocsparse_direction_T3_S2_S2_S2_S2_21rocsparse_index_base_PKT1_PKT2_PKS2_S3_PS4_PS7_PS2_.uses_vcc, 1
	.set _ZN9rocsparseL38csr2bsr_block_per_row_multipass_kernelILj256ELj64EfilEEv20rocsparse_direction_T3_S2_S2_S2_S2_21rocsparse_index_base_PKT1_PKT2_PKS2_S3_PS4_PS7_PS2_.uses_flat_scratch, 0
	.set _ZN9rocsparseL38csr2bsr_block_per_row_multipass_kernelILj256ELj64EfilEEv20rocsparse_direction_T3_S2_S2_S2_S2_21rocsparse_index_base_PKT1_PKT2_PKS2_S3_PS4_PS7_PS2_.has_dyn_sized_stack, 0
	.set _ZN9rocsparseL38csr2bsr_block_per_row_multipass_kernelILj256ELj64EfilEEv20rocsparse_direction_T3_S2_S2_S2_S2_21rocsparse_index_base_PKT1_PKT2_PKS2_S3_PS4_PS7_PS2_.has_recursion, 0
	.set _ZN9rocsparseL38csr2bsr_block_per_row_multipass_kernelILj256ELj64EfilEEv20rocsparse_direction_T3_S2_S2_S2_S2_21rocsparse_index_base_PKT1_PKT2_PKS2_S3_PS4_PS7_PS2_.has_indirect_call, 0
	.section	.AMDGPU.csdata,"",@progbits
; Kernel info:
; codeLenInByte = 2920
; TotalNumSgprs: 54
; NumVgprs: 50
; ScratchSize: 0
; MemoryBound: 0
; FloatMode: 240
; IeeeMode: 1
; LDSByteSize: 16388 bytes/workgroup (compile time only)
; SGPRBlocks: 0
; VGPRBlocks: 3
; NumSGPRsForWavesPerEU: 54
; NumVGPRsForWavesPerEU: 50
; NamedBarCnt: 0
; Occupancy: 16
; WaveLimiterHint : 1
; COMPUTE_PGM_RSRC2:SCRATCH_EN: 0
; COMPUTE_PGM_RSRC2:USER_SGPR: 2
; COMPUTE_PGM_RSRC2:TRAP_HANDLER: 0
; COMPUTE_PGM_RSRC2:TGID_X_EN: 1
; COMPUTE_PGM_RSRC2:TGID_Y_EN: 0
; COMPUTE_PGM_RSRC2:TGID_Z_EN: 0
; COMPUTE_PGM_RSRC2:TIDIG_COMP_CNT: 0
	.section	.text._ZN9rocsparseL21csr2bsr_65_inf_kernelILj32EfilEEv20rocsparse_direction_T2_S2_S2_S2_S2_S2_21rocsparse_index_base_PKT0_PKT1_PKS2_S3_PS4_PS7_PS2_SD_SE_SC_,"axG",@progbits,_ZN9rocsparseL21csr2bsr_65_inf_kernelILj32EfilEEv20rocsparse_direction_T2_S2_S2_S2_S2_S2_21rocsparse_index_base_PKT0_PKT1_PKS2_S3_PS4_PS7_PS2_SD_SE_SC_,comdat
	.globl	_ZN9rocsparseL21csr2bsr_65_inf_kernelILj32EfilEEv20rocsparse_direction_T2_S2_S2_S2_S2_S2_21rocsparse_index_base_PKT0_PKT1_PKS2_S3_PS4_PS7_PS2_SD_SE_SC_ ; -- Begin function _ZN9rocsparseL21csr2bsr_65_inf_kernelILj32EfilEEv20rocsparse_direction_T2_S2_S2_S2_S2_S2_21rocsparse_index_base_PKT0_PKT1_PKS2_S3_PS4_PS7_PS2_SD_SE_SC_
	.p2align	8
	.type	_ZN9rocsparseL21csr2bsr_65_inf_kernelILj32EfilEEv20rocsparse_direction_T2_S2_S2_S2_S2_S2_21rocsparse_index_base_PKT0_PKT1_PKS2_S3_PS4_PS7_PS2_SD_SE_SC_,@function
_ZN9rocsparseL21csr2bsr_65_inf_kernelILj32EfilEEv20rocsparse_direction_T2_S2_S2_S2_S2_S2_21rocsparse_index_base_PKT0_PKT1_PKS2_S3_PS4_PS7_PS2_SD_SE_SC_: ; @_ZN9rocsparseL21csr2bsr_65_inf_kernelILj32EfilEEv20rocsparse_direction_T2_S2_S2_S2_S2_S2_21rocsparse_index_base_PKT0_PKT1_PKS2_S3_PS4_PS7_PS2_SD_SE_SC_
; %bb.0:
	s_clause 0x1
	s_load_b64 s[8:9], s[0:1], 0x18
	s_load_b128 s[4:7], s[0:1], 0x8
	s_bfe_u32 s10, ttmp6, 0x4000c
	s_clause 0x1
	s_load_b64 s[2:3], s[0:1], 0x78
	s_load_b32 s12, s[0:1], 0x58
	s_add_co_i32 s10, s10, 1
	s_and_b32 s11, ttmp6, 15
	s_mul_i32 s10, ttmp9, s10
	s_getreg_b32 s13, hwreg(HW_REG_IB_STS2, 6, 4)
	s_add_co_i32 s11, s11, s10
	s_cmp_eq_u32 s13, 0
	s_mov_b32 s21, 0
	s_cselect_b32 s20, ttmp9, s11
	s_mov_b64 s[22:23], 0
	s_wait_kmcnt 0x0
	v_cmp_le_i64_e64 s8, s[8:9], s[20:21]
	s_and_b32 vcc_lo, exec_lo, s8
	s_cbranch_vccnz .LBB62_2
; %bb.1:
	s_load_b64 s[8:9], s[0:1], 0x68
	s_lshl_b64 s[10:11], s[20:21], 2
	s_wait_kmcnt 0x0
	s_add_nc_u64 s[8:9], s[8:9], s[10:11]
	s_load_b32 s8, s[8:9], 0x0
	s_wait_kmcnt 0x0
	s_sub_co_i32 s22, s8, s12
	s_delay_alu instid0(SALU_CYCLE_1)
	s_ashr_i32 s23, s22, 31
.LBB62_2:
	s_clause 0x1
	s_load_b128 s[8:11], s[0:1], 0x28
	s_load_b32 s14, s[0:1], 0x38
	v_mov_b32_e32 v1, 0
	s_wait_kmcnt 0x0
	s_delay_alu instid0(VALU_DEP_1)
	v_mul_u64_e32 v[8:9], s[10:11], v[0:1]
	s_mul_u64 s[16:17], s[20:21], s[10:11]
	s_lshl_b64 s[18:19], s[10:11], 7
	s_lshl_b64 s[16:17], s[16:17], 8
	v_cmp_lt_i64_e64 s13, s[10:11], 1
	s_add_nc_u64 s[2:3], s[2:3], s[16:17]
	v_cmp_gt_i64_e64 s33, s[10:11], 0
	s_add_nc_u64 s[16:17], s[2:3], s[18:19]
	s_and_b32 vcc_lo, exec_lo, s13
	v_lshlrev_b64_e32 v[4:5], 2, v[8:9]
	s_delay_alu instid0(VALU_DEP_1)
	v_add_nc_u64_e32 v[2:3], s[2:3], v[4:5]
	v_add_nc_u64_e32 v[4:5], s[16:17], v[4:5]
	s_cbranch_vccnz .LBB62_7
; %bb.3:
	s_load_b64 s[2:3], s[0:1], 0x48
	s_mul_u64 s[16:17], s[8:9], s[20:21]
	s_delay_alu instid0(VALU_DEP_1)
	v_mov_b64_e32 v[10:11], v[4:5]
	v_add_nc_u64_e32 v[6:7], s[16:17], v[0:1]
	v_mov_b64_e32 v[12:13], v[0:1]
	v_mov_b64_e32 v[14:15], v[2:3]
	s_mov_b64 s[18:19], s[10:11]
	s_wait_kmcnt 0x0
	s_delay_alu instid0(VALU_DEP_3) | instskip(NEXT) | instid1(VALU_DEP_1)
	v_lshl_add_u64 v[6:7], v[6:7], 2, s[2:3]
	v_add_nc_u64_e32 v[6:7], 4, v[6:7]
	s_branch .LBB62_5
.LBB62_4:                               ;   in Loop: Header=BB62_5 Depth=1
	s_wait_xcnt 0x0
	s_or_b32 exec_lo, exec_lo, s2
	v_add_nc_u64_e32 v[14:15], 4, v[14:15]
	v_add_nc_u64_e32 v[6:7], 0x80, v[6:7]
	v_add_nc_u64_e32 v[12:13], 32, v[12:13]
	v_add_nc_u64_e32 v[10:11], 4, v[10:11]
	s_add_nc_u64 s[18:19], s[18:19], -1
	s_delay_alu instid0(SALU_CYCLE_1)
	s_cmp_eq_u64 s[18:19], 0
	s_cbranch_scc1 .LBB62_7
.LBB62_5:                               ; =>This Inner Loop Header: Depth=1
	s_delay_alu instid0(VALU_DEP_2)
	v_add_nc_u64_e32 v[16:17], s[16:17], v[12:13]
	v_cmp_gt_i64_e64 s2, s[8:9], v[12:13]
	global_store_b32 v[14:15], v1, off
	global_store_b32 v[10:11], v1, off
	v_cmp_gt_i64_e32 vcc_lo, s[4:5], v[16:17]
	s_and_b32 s3, vcc_lo, s2
	s_wait_xcnt 0x0
	s_and_saveexec_b32 s2, s3
	s_cbranch_execz .LBB62_4
; %bb.6:                                ;   in Loop: Header=BB62_5 Depth=1
	global_load_b64 v[16:17], v[6:7], off offset:-4
	s_wait_loadcnt 0x0
	v_subrev_nc_u32_e32 v16, s14, v16
	v_subrev_nc_u32_e32 v17, s14, v17
	global_store_b32 v[14:15], v16, off
	global_store_b32 v[10:11], v17, off
	s_branch .LBB62_4
.LBB62_7:
	v_cmp_lt_i64_e64 s2, s[6:7], 1
	s_and_b32 vcc_lo, exec_lo, s2
	s_cbranch_vccnz .LBB62_52
; %bb.8:
	v_mbcnt_lo_u32_b32 v10, -1, 0
	s_clause 0x5
	s_load_b128 s[24:27], s[0:1], 0x80
	s_load_b64 s[28:29], s[0:1], 0x70
	s_load_b64 s[2:3], s[0:1], 0x60
	;; [unrolled: 1-line block ×4, first 2 shown]
	s_load_b32 s18, s[0:1], 0x0
	s_lshl_b64 s[30:31], s[10:11], 5
	v_mov_b64_e32 v[18:19], 0
	v_xor_b32_e32 v15, 1, v10
	v_xor_b32_e32 v13, 2, v10
	v_xor_b32_e32 v12, 4, v10
	v_xor_b32_e32 v11, 8, v10
	v_xor_b32_e32 v6, 16, v10
	s_wait_xcnt 0x0
	s_mul_u64 s[0:1], s[30:31], s[20:21]
	v_mov_b64_e32 v[16:17], 0
	s_lshl_b64 s[20:21], s[0:1], 3
	s_lshl_b64 s[0:1], s[0:1], 2
	v_cmp_gt_i32_e32 vcc_lo, 32, v6
	v_mov_b32_e32 v41, 0x7c
	s_mov_b32 s19, 0
	s_mov_b32 s40, 0
	s_mov_b32 s15, s19
	v_cndmask_b32_e32 v14, v10, v6, vcc_lo
	v_cmp_gt_i32_e32 vcc_lo, 32, v11
	s_wait_kmcnt 0x0
	s_add_nc_u64 s[20:21], s[24:25], s[20:21]
	s_add_nc_u64 s[0:1], s[26:27], s[0:1]
	v_lshl_add_u64 v[6:7], v[8:9], 3, s[20:21]
	v_lshl_add_u64 v[8:9], v[8:9], 2, s[0:1]
	v_cndmask_b32_e32 v11, v10, v11, vcc_lo
	v_cmp_gt_i32_e32 vcc_lo, 32, v12
	v_cmp_eq_u32_e64 s0, 31, v0
	s_lshl_b64 s[20:21], s[22:23], 3
	s_cmp_lg_u32 s18, 0
	v_dual_cndmask_b32 v12, v10, v12 :: v_dual_lshlrev_b32 v37, 2, v11
	v_cmp_gt_i32_e32 vcc_lo, 32, v13
	s_mov_b32 s13, s19
	s_add_nc_u64 s[20:21], s[28:29], s[20:21]
	s_cselect_b32 s38, -1, 0
	v_dual_cndmask_b32 v13, v10, v13 :: v_dual_lshlrev_b32 v38, 2, v12
	v_cmp_gt_i32_e32 vcc_lo, 32, v15
	v_lshlrev_b32_e32 v36, 2, v14
	s_add_nc_u64 s[22:23], s[22:23], -1
	s_lshl_b64 s[24:25], s[8:9], 2
	v_dual_cndmask_b32 v10, v10, v15 :: v_dual_lshlrev_b32 v39, 2, v13
	v_mov_b64_e32 v[14:15], 0
	s_mov_b64 s[26:27], 0xffffffff
	s_lshl_b64 s[28:29], s[8:9], 7
	s_ashr_i32 s30, s9, 31
	v_dual_lshlrev_b32 v40, 2, v10 :: v_dual_mov_b32 v10, 0
	v_lshlrev_b32_e32 v12, 2, v0
	s_sub_co_i32 s39, 0, s8
	s_delay_alu instid0(VALU_DEP_2) | instskip(NEXT) | instid1(VALU_DEP_1)
	v_mov_b32_e32 v13, v10
	v_add_nc_u64_e32 v[12:13], s[2:3], v[12:13]
	s_branch .LBB62_10
.LBB62_9:                               ;   in Loop: Header=BB62_10 Depth=1
	s_wait_dscnt 0x2
	v_add_nc_u64_e32 v[18:19], 1, v[18:19]
	s_delay_alu instid0(VALU_DEP_1) | instskip(SKIP_1) | instid1(SALU_CYCLE_1)
	v_cmp_le_i64_e32 vcc_lo, s[6:7], v[18:19]
	s_or_b32 s40, vcc_lo, s40
	s_and_not1_b32 exec_lo, exec_lo, s40
	s_cbranch_execz .LBB62_52
.LBB62_10:                              ; =>This Loop Header: Depth=1
                                        ;     Child Loop BB62_14 Depth 2
                                        ;       Child Loop BB62_17 Depth 3
                                        ;     Child Loop BB62_33 Depth 2
	v_mov_b64_e32 v[20:21], s[6:7]
	s_and_not1_b32 vcc_lo, exec_lo, s33
	s_cbranch_vccnz .LBB62_23
; %bb.11:                               ;   in Loop: Header=BB62_10 Depth=1
	v_mov_b64_e32 v[20:21], s[6:7]
	s_mov_b64 s[34:35], 0
	s_branch .LBB62_14
.LBB62_12:                              ;   in Loop: Header=BB62_14 Depth=2
	s_wait_xcnt 0x0
	s_or_b32 exec_lo, exec_lo, s18
.LBB62_13:                              ;   in Loop: Header=BB62_14 Depth=2
	s_delay_alu instid0(SALU_CYCLE_1) | instskip(SKIP_1) | instid1(SALU_CYCLE_1)
	s_or_b32 exec_lo, exec_lo, s1
	s_add_nc_u64 s[34:35], s[34:35], 1
	s_cmp_eq_u64 s[34:35], s[10:11]
	s_cbranch_scc1 .LBB62_23
.LBB62_14:                              ;   Parent Loop BB62_10 Depth=1
                                        ; =>  This Loop Header: Depth=2
                                        ;       Child Loop BB62_17 Depth 3
	s_lshl_b64 s[36:37], s[34:35], 2
	v_mov_b64_e32 v[28:29], s[6:7]
	v_add_nc_u64_e32 v[22:23], s[36:37], v[2:3]
	v_add_nc_u64_e32 v[24:25], s[36:37], v[4:5]
	v_lshl_add_u64 v[26:27], s[34:35], 3, v[6:7]
	s_mov_b32 s1, exec_lo
	s_clause 0x1
	global_load_b32 v32, v[22:23], off
	global_load_b32 v11, v[24:25], off
	s_wait_xcnt 0x0
	v_add_nc_u64_e32 v[24:25], s[36:37], v[8:9]
	global_store_b32 v[24:25], v10, off
	global_store_b64 v[26:27], v[28:29], off
	s_wait_loadcnt 0x0
	s_wait_xcnt 0x0
	v_cmpx_lt_i32_e64 v32, v11
	s_cbranch_execz .LBB62_13
; %bb.15:                               ;   in Loop: Header=BB62_14 Depth=2
	v_ashrrev_i32_e32 v33, 31, v32
	s_mov_b32 s18, 0
                                        ; implicit-def: $sgpr31
                                        ; implicit-def: $sgpr37
                                        ; implicit-def: $sgpr36
	s_delay_alu instid0(VALU_DEP_1)
	v_lshl_add_u64 v[34:35], v[32:33], 3, s[4:5]
	s_branch .LBB62_17
.LBB62_16:                              ;   in Loop: Header=BB62_17 Depth=3
	s_or_b32 exec_lo, exec_lo, s41
	s_delay_alu instid0(SALU_CYCLE_1) | instskip(NEXT) | instid1(SALU_CYCLE_1)
	s_and_b32 s41, exec_lo, s37
	s_or_b32 s18, s41, s18
	s_and_not1_b32 s31, s31, exec_lo
	s_and_b32 s41, s36, exec_lo
	s_delay_alu instid0(SALU_CYCLE_1)
	s_or_b32 s31, s31, s41
	s_and_not1_b32 exec_lo, exec_lo, s18
	s_cbranch_execz .LBB62_19
.LBB62_17:                              ;   Parent Loop BB62_10 Depth=1
                                        ;     Parent Loop BB62_14 Depth=2
                                        ; =>    This Inner Loop Header: Depth=3
	global_load_b64 v[28:29], v[34:35], off
	s_or_b32 s36, s36, exec_lo
	s_or_b32 s37, s37, exec_lo
	s_mov_b32 s41, exec_lo
	s_wait_loadcnt 0x0
	v_sub_nc_u64_e64 v[30:31], v[28:29], s[14:15]
	v_mov_b64_e32 v[28:29], v[32:33]
                                        ; implicit-def: $vgpr32_vgpr33
	s_wait_xcnt 0x0
	s_delay_alu instid0(VALU_DEP_2)
	v_cmpx_lt_i64_e64 v[30:31], v[18:19]
	s_cbranch_execz .LBB62_16
; %bb.18:                               ;   in Loop: Header=BB62_17 Depth=3
	s_delay_alu instid0(VALU_DEP_2) | instskip(SKIP_3) | instid1(VALU_DEP_2)
	v_add_nc_u64_e32 v[32:33], 1, v[28:29]
	v_add_nc_u64_e32 v[34:35], 8, v[34:35]
	s_and_not1_b32 s37, s37, exec_lo
	s_and_not1_b32 s36, s36, exec_lo
	v_cmp_ge_i32_e32 vcc_lo, v32, v11
	s_and_b32 s42, vcc_lo, exec_lo
	s_delay_alu instid0(SALU_CYCLE_1)
	s_or_b32 s37, s37, s42
	s_branch .LBB62_16
.LBB62_19:                              ;   in Loop: Header=BB62_14 Depth=2
	s_or_b32 exec_lo, exec_lo, s18
	v_lshl_add_u64 v[32:33], v[28:29], 2, s[16:17]
	s_xor_b32 s18, s31, -1
	s_delay_alu instid0(SALU_CYCLE_1) | instskip(NEXT) | instid1(SALU_CYCLE_1)
	s_and_saveexec_b32 s31, s18
	s_xor_b32 s18, exec_lo, s31
	s_cbranch_execz .LBB62_21
; %bb.20:                               ;   in Loop: Header=BB62_14 Depth=2
	global_load_b32 v11, v[32:33], off
                                        ; implicit-def: $vgpr32_vgpr33
                                        ; implicit-def: $vgpr22_vgpr23
	s_wait_loadcnt 0x0
	global_store_b32 v[24:25], v11, off
	global_store_b64 v[26:27], v[30:31], off
                                        ; implicit-def: $vgpr24_vgpr25
                                        ; implicit-def: $vgpr26_vgpr27
.LBB62_21:                              ;   in Loop: Header=BB62_14 Depth=2
	s_wait_xcnt 0x0
	s_and_not1_saveexec_b32 s18, s18
	s_cbranch_execz .LBB62_12
; %bb.22:                               ;   in Loop: Header=BB62_14 Depth=2
	global_load_b32 v11, v[32:33], off
	v_min_i64 v[20:21], v[30:31], v[20:21]
	global_store_b64 v[26:27], v[30:31], off
	s_wait_loadcnt 0x0
	global_store_b32 v[24:25], v11, off
	global_store_b32 v[22:23], v28, off
	s_branch .LBB62_12
.LBB62_23:                              ;   in Loop: Header=BB62_10 Depth=1
	ds_bpermute_b32 v18, v36, v20
	ds_bpermute_b32 v19, v36, v21
	s_wait_dscnt 0x0
	v_min_i64 v[18:19], v[18:19], v[20:21]
	ds_bpermute_b32 v20, v37, v18
	ds_bpermute_b32 v21, v37, v19
	s_wait_dscnt 0x0
	v_min_i64 v[18:19], v[20:21], v[18:19]
	;; [unrolled: 4-line block ×5, first 2 shown]
	s_delay_alu instid0(VALU_DEP_1) | instskip(SKIP_1) | instid1(SALU_CYCLE_1)
	v_cmp_gt_i64_e32 vcc_lo, s[6:7], v[18:19]
	s_and_b32 s1, s0, vcc_lo
	s_and_saveexec_b32 s36, s1
	s_cbranch_execz .LBB62_29
; %bb.24:                               ;   in Loop: Header=BB62_10 Depth=1
	v_or_b32_e32 v11, s9, v19
                                        ; implicit-def: $vgpr20_vgpr21
	s_mov_b32 s1, exec_lo
	s_delay_alu instid0(VALU_DEP_1)
	v_cmpx_ne_u64_e32 0, v[10:11]
	s_xor_b32 s37, exec_lo, s1
	s_cbranch_execnz .LBB62_50
; %bb.25:                               ;   in Loop: Header=BB62_10 Depth=1
	s_and_not1_saveexec_b32 s1, s37
	s_cbranch_execnz .LBB62_51
.LBB62_26:                              ;   in Loop: Header=BB62_10 Depth=1
	s_or_b32 exec_lo, exec_lo, s1
	s_delay_alu instid0(SALU_CYCLE_1) | instskip(NEXT) | instid1(VALU_DEP_1)
	s_mov_b32 s1, exec_lo
	v_cmpx_ge_i64_e64 v[20:21], v[16:17]
	s_cbranch_execz .LBB62_28
.LBB62_27:                              ;   in Loop: Header=BB62_10 Depth=1
	v_add_nc_u64_e32 v[22:23], s[12:13], v[20:21]
	v_lshl_add_u64 v[24:25], v[14:15], 3, s[20:21]
	v_add_nc_u64_e32 v[14:15], 1, v[14:15]
	v_add_nc_u64_e32 v[16:17], 1, v[20:21]
	global_store_b64 v[24:25], v[22:23], off
.LBB62_28:                              ;   in Loop: Header=BB62_10 Depth=1
	s_wait_xcnt 0x0
	s_or_b32 exec_lo, exec_lo, s1
.LBB62_29:                              ;   in Loop: Header=BB62_10 Depth=1
	s_delay_alu instid0(SALU_CYCLE_1)
	s_or_b32 exec_lo, exec_lo, s36
	ds_bpermute_b32 v18, v41, v18
	ds_bpermute_b32 v19, v41, v19
	;; [unrolled: 1-line block ×4, first 2 shown]
	s_and_not1_b32 vcc_lo, exec_lo, s33
	s_cbranch_vccnz .LBB62_9
; %bb.30:                               ;   in Loop: Header=BB62_10 Depth=1
	s_wait_dscnt 0x0
	v_dual_mov_b32 v11, v15 :: v_dual_mov_b32 v22, v14
	v_mov_b32_e32 v23, v10
	v_mov_b64_e32 v[28:29], v[12:13]
	s_mov_b64 s[34:35], s[10:11]
	s_delay_alu instid0(VALU_DEP_3) | instskip(NEXT) | instid1(VALU_DEP_1)
	v_add_nc_u64_e32 v[20:21], s[22:23], v[10:11]
	v_add_nc_u64_e32 v[24:25], v[20:21], v[22:23]
	;; [unrolled: 1-line block ×3, first 2 shown]
	s_delay_alu instid0(VALU_DEP_2) | instskip(NEXT) | instid1(VALU_DEP_2)
	v_mad_nc_u64_u32 v[26:27], s8, v24, v[0:1]
	v_mul_u64_e32 v[22:23], s[8:9], v[22:23]
	s_delay_alu instid0(VALU_DEP_2) | instskip(NEXT) | instid1(VALU_DEP_3)
	v_mad_u32 v11, s9, v24, v27
	v_mad_nc_u64_u32 v[20:21], s24, v26, s[2:3]
	s_delay_alu instid0(VALU_DEP_2) | instskip(NEXT) | instid1(VALU_DEP_2)
	v_mad_u32 v11, s8, v25, v11
	v_mad_u32 v21, s25, v26, v21
	v_mov_b64_e32 v[24:25], v[6:7]
	v_mov_b64_e32 v[26:27], v[8:9]
	s_delay_alu instid0(VALU_DEP_3)
	v_mad_u32 v21, s24, v11, v21
	s_branch .LBB62_33
.LBB62_31:                              ;   in Loop: Header=BB62_33 Depth=2
	s_or_b32 exec_lo, exec_lo, s1
	global_load_b32 v11, v[26:27], off
	v_lshl_add_u64 v[30:31], v[32:33], 2, v[20:21]
	s_wait_loadcnt 0x0
	global_store_b32 v[30:31], v11, off
.LBB62_32:                              ;   in Loop: Header=BB62_33 Depth=2
	s_wait_xcnt 0x0
	s_or_b32 exec_lo, exec_lo, s41
	v_add_nc_u64_e32 v[20:21], s[28:29], v[20:21]
	v_add_nc_u64_e32 v[28:29], 0x80, v[28:29]
	;; [unrolled: 1-line block ×4, first 2 shown]
	s_add_nc_u64 s[34:35], s[34:35], -1
	s_delay_alu instid0(SALU_CYCLE_1)
	s_cmp_eq_u64 s[34:35], 0
	s_cbranch_scc1 .LBB62_9
.LBB62_33:                              ;   Parent Loop BB62_10 Depth=1
                                        ; =>  This Inner Loop Header: Depth=2
	global_load_b64 v[30:31], v[24:25], off
	s_mov_b32 s41, exec_lo
	s_wait_loadcnt 0x0
	v_cmpx_gt_i64_e64 s[6:7], v[30:31]
	s_cbranch_execz .LBB62_32
; %bb.34:                               ;   in Loop: Header=BB62_33 Depth=2
	v_or_b32_e32 v42, s9, v31
                                        ; implicit-def: $vgpr32_vgpr33
	s_mov_b32 s1, exec_lo
	s_delay_alu instid0(VALU_DEP_1) | instskip(NEXT) | instid1(VALU_DEP_1)
	v_mov_b32_e32 v11, v42
	v_cmpx_ne_u64_e32 0, v[10:11]
	s_xor_b32 s42, exec_lo, s1
	s_cbranch_execz .LBB62_36
; %bb.35:                               ;   in Loop: Header=BB62_33 Depth=2
	s_mov_b32 s31, s30
	v_dual_mov_b32 v45, v10 :: v_dual_ashrrev_i32 v32, 31, v31
	s_add_nc_u64 s[36:37], s[8:9], s[30:31]
	s_delay_alu instid0(SALU_CYCLE_1) | instskip(NEXT) | instid1(VALU_DEP_1)
	s_xor_b64 s[36:37], s[36:37], s[30:31]
	v_mov_b32_e32 v33, v32
	s_cvt_f32_u32 s1, s36
	s_cvt_f32_u32 s18, s37
	s_sub_nc_u64 s[46:47], 0, s[36:37]
	s_delay_alu instid0(VALU_DEP_1) | instskip(NEXT) | instid1(SALU_CYCLE_1)
	v_add_nc_u64_e32 v[34:35], v[30:31], v[32:33]
	s_fmamk_f32 s1, s18, 0x4f800000, s1
	v_mov_b32_e32 v49, v10
	s_delay_alu instid0(SALU_CYCLE_2) | instskip(NEXT) | instid1(VALU_DEP_2)
	v_s_rcp_f32 s1, s1
	v_xor_b32_e32 v44, v34, v32
	s_delay_alu instid0(VALU_DEP_3) | instskip(NEXT) | instid1(TRANS32_DEP_1)
	v_dual_mov_b32 v53, v10 :: v_dual_bitop2_b32 v48, v35, v32 bitop3:0x14
	s_mul_f32 s1, s1, 0x5f7ffffc
	s_delay_alu instid0(SALU_CYCLE_3) | instskip(NEXT) | instid1(SALU_CYCLE_3)
	s_mul_f32 s18, s1, 0x2f800000
	s_trunc_f32 s18, s18
	s_delay_alu instid0(SALU_CYCLE_3) | instskip(SKIP_1) | instid1(SALU_CYCLE_2)
	s_fmamk_f32 s1, s18, 0xcf800000, s1
	s_cvt_u32_f32 s45, s18
	s_cvt_u32_f32 s44, s1
	s_delay_alu instid0(SALU_CYCLE_3) | instskip(NEXT) | instid1(SALU_CYCLE_1)
	s_mul_u64 s[48:49], s[46:47], s[44:45]
	s_mul_hi_u32 s51, s44, s49
	s_mul_i32 s50, s44, s49
	s_mul_hi_u32 s18, s44, s48
	s_mul_i32 s31, s45, s48
	s_add_nc_u64 s[50:51], s[18:19], s[50:51]
	s_mul_hi_u32 s1, s45, s48
	s_mul_hi_u32 s43, s45, s49
	s_add_co_u32 s18, s50, s31
	s_add_co_ci_u32 s18, s51, s1
	s_mul_i32 s48, s45, s49
	s_add_co_ci_u32 s49, s43, 0
	s_delay_alu instid0(SALU_CYCLE_1) | instskip(NEXT) | instid1(SALU_CYCLE_1)
	s_add_nc_u64 s[48:49], s[18:19], s[48:49]
	s_add_co_u32 s44, s44, s48
	s_cselect_b32 s1, -1, 0
	s_delay_alu instid0(SALU_CYCLE_1) | instskip(SKIP_1) | instid1(SALU_CYCLE_1)
	s_cmp_lg_u32 s1, 0
	s_add_co_ci_u32 s45, s45, s49
	s_mul_u64 s[46:47], s[46:47], s[44:45]
	s_delay_alu instid0(SALU_CYCLE_1)
	s_mul_hi_u32 s49, s44, s47
	s_mul_i32 s48, s44, s47
	s_mul_hi_u32 s18, s44, s46
	s_mul_i32 s31, s45, s46
	s_add_nc_u64 s[48:49], s[18:19], s[48:49]
	s_mul_hi_u32 s1, s45, s46
	s_mul_hi_u32 s43, s45, s47
	s_add_co_u32 s18, s48, s31
	s_add_co_ci_u32 s18, s49, s1
	s_mul_i32 s46, s45, s47
	s_add_co_ci_u32 s47, s43, 0
	s_delay_alu instid0(SALU_CYCLE_1) | instskip(NEXT) | instid1(SALU_CYCLE_1)
	s_add_nc_u64 s[46:47], s[18:19], s[46:47]
	s_add_co_u32 s44, s44, s46
	s_cselect_b32 s1, -1, 0
	v_mul_hi_u32 v52, v44, s44
	s_cmp_lg_u32 s1, 0
	s_add_co_ci_u32 s18, s45, s47
	s_and_b64 s[46:47], s[44:45], s[26:27]
	v_mul_u64_e32 v[46:47], s[18:19], v[44:45]
	v_mul_u64_e32 v[34:35], s[46:47], v[48:49]
	v_mul_u64_e32 v[50:51], s[18:19], v[48:49]
	s_delay_alu instid0(VALU_DEP_3) | instskip(NEXT) | instid1(VALU_DEP_1)
	v_add_nc_u64_e32 v[46:47], v[52:53], v[46:47]
	v_add_co_u32 v11, vcc_lo, v46, v34
	s_delay_alu instid0(VALU_DEP_2) | instskip(NEXT) | instid1(VALU_DEP_4)
	v_add_co_ci_u32_e32 v52, vcc_lo, v47, v35, vcc_lo
	v_add_co_ci_u32_e32 v51, vcc_lo, 0, v51, vcc_lo
	s_delay_alu instid0(VALU_DEP_1) | instskip(NEXT) | instid1(VALU_DEP_1)
	v_add_nc_u64_e32 v[34:35], v[52:53], v[50:51]
	v_mul_u64_e32 v[46:47], s[36:37], v[34:35]
	s_delay_alu instid0(VALU_DEP_1) | instskip(NEXT) | instid1(VALU_DEP_2)
	v_sub_nc_u32_e32 v11, v48, v47
	v_sub_co_u32 v33, vcc_lo, v44, v46
	s_delay_alu instid0(VALU_DEP_1) | instskip(NEXT) | instid1(VALU_DEP_3)
	v_sub_co_ci_u32_e64 v48, null, v48, v47, vcc_lo
	v_subrev_co_ci_u32_e64 v11, null, s37, v11, vcc_lo
	s_delay_alu instid0(VALU_DEP_3) | instskip(SKIP_1) | instid1(VALU_DEP_3)
	v_sub_co_u32 v43, s1, v33, s36
	v_add_nc_u64_e32 v[46:47], 1, v[34:35]
	v_subrev_co_ci_u32_e64 v11, null, 0, v11, s1
	s_delay_alu instid0(VALU_DEP_3) | instskip(SKIP_1) | instid1(VALU_DEP_3)
	v_cmp_le_u32_e32 vcc_lo, s36, v43
	v_cndmask_b32_e64 v43, 0, -1, vcc_lo
	v_cmp_le_u32_e32 vcc_lo, s37, v11
	v_cndmask_b32_e64 v44, 0, -1, vcc_lo
	;; [unrolled: 2-line block ×4, first 2 shown]
	v_cmp_eq_u32_e32 vcc_lo, s37, v11
	v_cndmask_b32_e32 v11, v44, v43, vcc_lo
	v_cmp_eq_u32_e32 vcc_lo, s37, v48
	v_add_nc_u64_e32 v[44:45], 2, v[34:35]
	v_cndmask_b32_e32 v33, v49, v33, vcc_lo
	s_delay_alu instid0(VALU_DEP_4) | instskip(NEXT) | instid1(VALU_DEP_2)
	v_cmp_ne_u32_e32 vcc_lo, 0, v11
	v_cmp_ne_u32_e64 s1, 0, v33
	s_delay_alu instid0(VALU_DEP_4) | instskip(NEXT) | instid1(VALU_DEP_1)
	v_dual_cndmask_b32 v11, v47, v45, vcc_lo :: v_dual_cndmask_b32 v33, v46, v44, vcc_lo
	v_dual_cndmask_b32 v11, v35, v11, s1 :: v_dual_bitop2_b32 v32, s30, v32 bitop3:0x14
	s_delay_alu instid0(VALU_DEP_1) | instskip(NEXT) | instid1(VALU_DEP_2)
	v_dual_cndmask_b32 v34, v34, v33, s1 :: v_dual_mov_b32 v33, v32
	v_xor_b32_e32 v35, v11, v32
	s_delay_alu instid0(VALU_DEP_2) | instskip(NEXT) | instid1(VALU_DEP_1)
	v_xor_b32_e32 v34, v34, v32
	v_sub_nc_u64_e32 v[32:33], v[34:35], v[32:33]
.LBB62_36:                              ;   in Loop: Header=BB62_33 Depth=2
	s_and_not1_saveexec_b32 s1, s42
	s_cbranch_execz .LBB62_38
; %bb.37:                               ;   in Loop: Header=BB62_33 Depth=2
	v_cvt_f32_u32_e32 v11, s8
	s_delay_alu instid0(VALU_DEP_1) | instskip(SKIP_1) | instid1(TRANS32_DEP_1)
	v_rcp_iflag_f32_e32 v11, v11
	v_nop
	v_mul_f32_e32 v11, 0x4f7ffffe, v11
	s_delay_alu instid0(VALU_DEP_1) | instskip(NEXT) | instid1(VALU_DEP_1)
	v_cvt_u32_f32_e32 v11, v11
	v_mul_lo_u32 v32, s39, v11
	s_delay_alu instid0(VALU_DEP_1) | instskip(NEXT) | instid1(VALU_DEP_1)
	v_mul_hi_u32 v32, v11, v32
	v_add_nc_u32_e32 v11, v11, v32
	s_delay_alu instid0(VALU_DEP_1) | instskip(NEXT) | instid1(VALU_DEP_1)
	v_mul_hi_u32 v11, v30, v11
	v_mul_lo_u32 v32, v11, s8
	s_delay_alu instid0(VALU_DEP_1) | instskip(NEXT) | instid1(VALU_DEP_1)
	v_dual_add_nc_u32 v33, 1, v11 :: v_dual_sub_nc_u32 v32, v30, v32
	v_subrev_nc_u32_e32 v34, s8, v32
	v_cmp_le_u32_e32 vcc_lo, s8, v32
	s_delay_alu instid0(VALU_DEP_2) | instskip(NEXT) | instid1(VALU_DEP_1)
	v_dual_cndmask_b32 v32, v32, v34 :: v_dual_cndmask_b32 v11, v11, v33
	v_cmp_le_u32_e32 vcc_lo, s8, v32
	s_delay_alu instid0(VALU_DEP_2) | instskip(NEXT) | instid1(VALU_DEP_1)
	v_add_nc_u32_e32 v33, 1, v11
	v_dual_cndmask_b32 v32, v11, v33 :: v_dual_mov_b32 v33, v10
.LBB62_38:                              ;   in Loop: Header=BB62_33 Depth=2
	s_or_b32 exec_lo, exec_lo, s1
	v_or_b32_e32 v11, s9, v19
                                        ; implicit-def: $vgpr34_vgpr35
	s_mov_b32 s1, exec_lo
	s_delay_alu instid0(VALU_DEP_1)
	v_cmpx_ne_u64_e32 0, v[10:11]
	s_xor_b32 s42, exec_lo, s1
	s_cbranch_execnz .LBB62_41
; %bb.39:                               ;   in Loop: Header=BB62_33 Depth=2
	s_and_not1_saveexec_b32 s1, s42
	s_cbranch_execnz .LBB62_42
.LBB62_40:                              ;   in Loop: Header=BB62_33 Depth=2
	s_or_b32 exec_lo, exec_lo, s1
	s_delay_alu instid0(VALU_DEP_1)
	v_cmp_eq_u64_e32 vcc_lo, v[32:33], v[34:35]
	s_and_b32 exec_lo, exec_lo, vcc_lo
	s_cbranch_execz .LBB62_32
	s_branch .LBB62_43
.LBB62_41:                              ;   in Loop: Header=BB62_33 Depth=2
	s_mov_b32 s31, s30
	v_dual_mov_b32 v47, v10 :: v_dual_ashrrev_i32 v34, 31, v19
	s_add_nc_u64 s[36:37], s[8:9], s[30:31]
	v_mov_b32_e32 v55, v10
	s_xor_b64 s[36:37], s[36:37], s[30:31]
	s_delay_alu instid0(VALU_DEP_2) | instskip(SKIP_3) | instid1(VALU_DEP_1)
	v_mov_b32_e32 v35, v34
	s_cvt_f32_u32 s1, s36
	s_cvt_f32_u32 s18, s37
	s_sub_nc_u64 s[46:47], 0, s[36:37]
	v_add_nc_u64_e32 v[44:45], v[18:19], v[34:35]
	s_delay_alu instid0(SALU_CYCLE_1) | instskip(SKIP_1) | instid1(SALU_CYCLE_2)
	s_fmamk_f32 s1, s18, 0x4f800000, s1
	v_mov_b32_e32 v51, v10
	v_s_rcp_f32 s1, s1
	s_delay_alu instid0(VALU_DEP_2) | instskip(NEXT) | instid1(VALU_DEP_3)
	v_xor_b32_e32 v46, v44, v34
	v_xor_b32_e32 v50, v45, v34
	;; [unrolled: 1-line block ×3, first 2 shown]
	s_delay_alu instid0(TRANS32_DEP_1) | instskip(NEXT) | instid1(SALU_CYCLE_3)
	s_mul_f32 s1, s1, 0x5f7ffffc
	s_mul_f32 s18, s1, 0x2f800000
	s_delay_alu instid0(SALU_CYCLE_3) | instskip(NEXT) | instid1(SALU_CYCLE_3)
	s_trunc_f32 s18, s18
	s_fmamk_f32 s1, s18, 0xcf800000, s1
	s_cvt_u32_f32 s45, s18
	s_delay_alu instid0(SALU_CYCLE_2) | instskip(NEXT) | instid1(SALU_CYCLE_3)
	s_cvt_u32_f32 s44, s1
	s_mul_u64 s[48:49], s[46:47], s[44:45]
	s_delay_alu instid0(SALU_CYCLE_1)
	s_mul_hi_u32 s51, s44, s49
	s_mul_i32 s50, s44, s49
	s_mul_hi_u32 s18, s44, s48
	s_mul_i32 s31, s45, s48
	s_add_nc_u64 s[50:51], s[18:19], s[50:51]
	s_mul_hi_u32 s1, s45, s48
	s_mul_hi_u32 s43, s45, s49
	s_add_co_u32 s18, s50, s31
	s_add_co_ci_u32 s18, s51, s1
	s_mul_i32 s48, s45, s49
	s_add_co_ci_u32 s49, s43, 0
	s_delay_alu instid0(SALU_CYCLE_1) | instskip(NEXT) | instid1(SALU_CYCLE_1)
	s_add_nc_u64 s[48:49], s[18:19], s[48:49]
	s_add_co_u32 s44, s44, s48
	s_cselect_b32 s1, -1, 0
	s_delay_alu instid0(SALU_CYCLE_1) | instskip(SKIP_1) | instid1(SALU_CYCLE_1)
	s_cmp_lg_u32 s1, 0
	s_add_co_ci_u32 s45, s45, s49
	s_mul_u64 s[46:47], s[46:47], s[44:45]
	s_delay_alu instid0(SALU_CYCLE_1)
	s_mul_hi_u32 s49, s44, s47
	s_mul_i32 s48, s44, s47
	s_mul_hi_u32 s18, s44, s46
	s_mul_i32 s31, s45, s46
	s_add_nc_u64 s[48:49], s[18:19], s[48:49]
	s_mul_hi_u32 s1, s45, s46
	s_mul_hi_u32 s43, s45, s47
	s_add_co_u32 s18, s48, s31
	s_add_co_ci_u32 s18, s49, s1
	s_mul_i32 s46, s45, s47
	s_add_co_ci_u32 s47, s43, 0
	s_delay_alu instid0(SALU_CYCLE_1) | instskip(NEXT) | instid1(SALU_CYCLE_1)
	s_add_nc_u64 s[46:47], s[18:19], s[46:47]
	s_add_co_u32 s44, s44, s46
	s_cselect_b32 s1, -1, 0
	v_mul_hi_u32 v54, v46, s44
	s_cmp_lg_u32 s1, 0
	s_add_co_ci_u32 s18, s45, s47
	s_and_b64 s[46:47], s[44:45], s[26:27]
	v_mul_u64_e32 v[48:49], s[18:19], v[46:47]
	v_mul_u64_e32 v[44:45], s[46:47], v[50:51]
	;; [unrolled: 1-line block ×3, first 2 shown]
	s_delay_alu instid0(VALU_DEP_3) | instskip(NEXT) | instid1(VALU_DEP_1)
	v_add_nc_u64_e32 v[48:49], v[54:55], v[48:49]
	v_add_co_u32 v11, vcc_lo, v48, v44
	s_delay_alu instid0(VALU_DEP_2) | instskip(NEXT) | instid1(VALU_DEP_4)
	v_add_co_ci_u32_e32 v54, vcc_lo, v49, v45, vcc_lo
	v_add_co_ci_u32_e32 v53, vcc_lo, 0, v53, vcc_lo
	s_delay_alu instid0(VALU_DEP_1) | instskip(NEXT) | instid1(VALU_DEP_1)
	v_add_nc_u64_e32 v[44:45], v[54:55], v[52:53]
	v_mul_u64_e32 v[48:49], s[36:37], v[44:45]
	s_delay_alu instid0(VALU_DEP_1) | instskip(NEXT) | instid1(VALU_DEP_2)
	v_sub_nc_u32_e32 v11, v50, v49
	v_sub_co_u32 v35, vcc_lo, v46, v48
	s_delay_alu instid0(VALU_DEP_1) | instskip(NEXT) | instid1(VALU_DEP_3)
	v_sub_co_ci_u32_e64 v50, null, v50, v49, vcc_lo
	v_subrev_co_ci_u32_e64 v11, null, s37, v11, vcc_lo
	s_delay_alu instid0(VALU_DEP_3) | instskip(SKIP_1) | instid1(VALU_DEP_3)
	v_sub_co_u32 v43, s1, v35, s36
	v_add_nc_u64_e32 v[48:49], 1, v[44:45]
	v_subrev_co_ci_u32_e64 v11, null, 0, v11, s1
	s_delay_alu instid0(VALU_DEP_3) | instskip(SKIP_1) | instid1(VALU_DEP_3)
	v_cmp_le_u32_e32 vcc_lo, s36, v43
	v_cndmask_b32_e64 v43, 0, -1, vcc_lo
	v_cmp_le_u32_e32 vcc_lo, s37, v11
	v_cndmask_b32_e64 v46, 0, -1, vcc_lo
	;; [unrolled: 2-line block ×4, first 2 shown]
	v_cmp_eq_u32_e32 vcc_lo, s37, v11
	v_cndmask_b32_e32 v11, v46, v43, vcc_lo
	v_cmp_eq_u32_e32 vcc_lo, s37, v50
	v_add_nc_u64_e32 v[46:47], 2, v[44:45]
	v_cndmask_b32_e32 v35, v51, v35, vcc_lo
	s_delay_alu instid0(VALU_DEP_4) | instskip(NEXT) | instid1(VALU_DEP_2)
	v_cmp_ne_u32_e32 vcc_lo, 0, v11
	v_cmp_ne_u32_e64 s1, 0, v35
	s_delay_alu instid0(VALU_DEP_4) | instskip(NEXT) | instid1(VALU_DEP_1)
	v_dual_cndmask_b32 v11, v49, v47, vcc_lo :: v_dual_cndmask_b32 v35, v48, v46, vcc_lo
	v_dual_cndmask_b32 v43, v44, v35, s1 :: v_dual_mov_b32 v35, v34
	s_delay_alu instid0(VALU_DEP_1) | instskip(NEXT) | instid1(VALU_DEP_1)
	v_dual_cndmask_b32 v11, v45, v11, s1 :: v_dual_bitop2_b32 v44, v43, v34 bitop3:0x14
	v_xor_b32_e32 v45, v11, v34
	s_delay_alu instid0(VALU_DEP_1)
	v_sub_nc_u64_e32 v[34:35], v[44:45], v[34:35]
	s_and_not1_saveexec_b32 s1, s42
	s_cbranch_execz .LBB62_40
.LBB62_42:                              ;   in Loop: Header=BB62_33 Depth=2
	v_cvt_f32_u32_e32 v11, s8
	s_delay_alu instid0(VALU_DEP_1) | instskip(SKIP_1) | instid1(TRANS32_DEP_1)
	v_rcp_iflag_f32_e32 v11, v11
	v_nop
	v_mul_f32_e32 v11, 0x4f7ffffe, v11
	s_delay_alu instid0(VALU_DEP_1) | instskip(NEXT) | instid1(VALU_DEP_1)
	v_cvt_u32_f32_e32 v11, v11
	v_mul_lo_u32 v34, s39, v11
	s_delay_alu instid0(VALU_DEP_1) | instskip(NEXT) | instid1(VALU_DEP_1)
	v_mul_hi_u32 v34, v11, v34
	v_add_nc_u32_e32 v11, v11, v34
	s_delay_alu instid0(VALU_DEP_1) | instskip(NEXT) | instid1(VALU_DEP_1)
	v_mul_hi_u32 v11, v18, v11
	v_mul_lo_u32 v34, v11, s8
	s_delay_alu instid0(VALU_DEP_1) | instskip(NEXT) | instid1(VALU_DEP_1)
	v_dual_add_nc_u32 v35, 1, v11 :: v_dual_sub_nc_u32 v34, v18, v34
	v_subrev_nc_u32_e32 v43, s8, v34
	v_cmp_le_u32_e32 vcc_lo, s8, v34
	s_delay_alu instid0(VALU_DEP_2) | instskip(NEXT) | instid1(VALU_DEP_4)
	v_cndmask_b32_e32 v34, v34, v43, vcc_lo
	v_cndmask_b32_e32 v11, v11, v35, vcc_lo
	s_delay_alu instid0(VALU_DEP_2) | instskip(NEXT) | instid1(VALU_DEP_2)
	v_cmp_le_u32_e32 vcc_lo, s8, v34
	v_add_nc_u32_e32 v35, 1, v11
	s_delay_alu instid0(VALU_DEP_1) | instskip(SKIP_1) | instid1(VALU_DEP_1)
	v_dual_cndmask_b32 v34, v11, v35 :: v_dual_mov_b32 v35, v10
	s_or_b32 exec_lo, exec_lo, s1
	v_cmp_eq_u64_e32 vcc_lo, v[32:33], v[34:35]
	s_and_b32 exec_lo, exec_lo, vcc_lo
	s_cbranch_execz .LBB62_32
.LBB62_43:                              ;   in Loop: Header=BB62_33 Depth=2
	s_and_b32 vcc_lo, exec_lo, s38
	s_cbranch_vccz .LBB62_45
; %bb.44:                               ;   in Loop: Header=BB62_33 Depth=2
	global_load_b32 v11, v[26:27], off
	v_mul_u64_e32 v[32:33], s[8:9], v[32:33]
	s_delay_alu instid0(VALU_DEP_1) | instskip(NEXT) | instid1(VALU_DEP_1)
	v_sub_nc_u64_e32 v[32:33], v[30:31], v[32:33]
	v_add_nc_u64_e32 v[32:33], v[32:33], v[22:23]
	s_delay_alu instid0(VALU_DEP_1) | instskip(NEXT) | instid1(VALU_DEP_1)
	v_mad_nc_u64_u32 v[34:35], s24, v32, v[28:29]
	v_mad_u32 v32, s25, v32, v35
	s_delay_alu instid0(VALU_DEP_1)
	v_mad_u32 v35, s24, v33, v32
	s_wait_loadcnt 0x0
	global_store_b32 v[34:35], v11, off
	s_cbranch_execnz .LBB62_32
	s_branch .LBB62_46
.LBB62_45:                              ;   in Loop: Header=BB62_33 Depth=2
.LBB62_46:                              ;   in Loop: Header=BB62_33 Depth=2
	s_wait_xcnt 0x0
	v_mov_b32_e32 v11, v42
                                        ; implicit-def: $vgpr32_vgpr33
	s_mov_b32 s1, exec_lo
	s_delay_alu instid0(VALU_DEP_1)
	v_cmpx_ne_u64_e32 0, v[10:11]
	s_xor_b32 s42, exec_lo, s1
	s_cbranch_execz .LBB62_48
; %bb.47:                               ;   in Loop: Header=BB62_33 Depth=2
	s_mov_b32 s31, s30
	v_dual_mov_b32 v35, v10 :: v_dual_ashrrev_i32 v32, 31, v31
	s_add_nc_u64 s[36:37], s[8:9], s[30:31]
	s_delay_alu instid0(SALU_CYCLE_1) | instskip(NEXT) | instid1(VALU_DEP_1)
	s_xor_b64 s[36:37], s[36:37], s[30:31]
	v_mov_b32_e32 v33, v32
	s_cvt_f32_u32 s1, s36
	s_cvt_f32_u32 s18, s37
	s_sub_nc_u64 s[46:47], 0, s[36:37]
	s_delay_alu instid0(VALU_DEP_1) | instskip(NEXT) | instid1(SALU_CYCLE_1)
	v_add_nc_u64_e32 v[30:31], v[30:31], v[32:33]
	s_fmamk_f32 s1, s18, 0x4f800000, s1
	v_mov_b32_e32 v45, v10
	s_delay_alu instid0(SALU_CYCLE_2) | instskip(NEXT) | instid1(VALU_DEP_2)
	v_s_rcp_f32 s1, s1
	v_xor_b32_e32 v34, v30, v32
	s_delay_alu instid0(VALU_DEP_3) | instskip(NEXT) | instid1(TRANS32_DEP_1)
	v_dual_mov_b32 v49, v10 :: v_dual_bitop2_b32 v44, v31, v32 bitop3:0x14
	s_mul_f32 s1, s1, 0x5f7ffffc
	s_delay_alu instid0(SALU_CYCLE_3) | instskip(NEXT) | instid1(SALU_CYCLE_3)
	s_mul_f32 s18, s1, 0x2f800000
	s_trunc_f32 s18, s18
	s_delay_alu instid0(SALU_CYCLE_3) | instskip(SKIP_1) | instid1(SALU_CYCLE_2)
	s_fmamk_f32 s1, s18, 0xcf800000, s1
	s_cvt_u32_f32 s45, s18
	s_cvt_u32_f32 s44, s1
	s_delay_alu instid0(SALU_CYCLE_3) | instskip(NEXT) | instid1(SALU_CYCLE_1)
	s_mul_u64 s[48:49], s[46:47], s[44:45]
	s_mul_hi_u32 s51, s44, s49
	s_mul_i32 s50, s44, s49
	s_mul_hi_u32 s18, s44, s48
	s_mul_i32 s31, s45, s48
	s_add_nc_u64 s[50:51], s[18:19], s[50:51]
	s_mul_hi_u32 s1, s45, s48
	s_mul_hi_u32 s43, s45, s49
	s_add_co_u32 s18, s50, s31
	s_add_co_ci_u32 s18, s51, s1
	s_mul_i32 s48, s45, s49
	s_add_co_ci_u32 s49, s43, 0
	s_delay_alu instid0(SALU_CYCLE_1) | instskip(NEXT) | instid1(SALU_CYCLE_1)
	s_add_nc_u64 s[48:49], s[18:19], s[48:49]
	s_add_co_u32 s44, s44, s48
	s_cselect_b32 s1, -1, 0
	s_delay_alu instid0(SALU_CYCLE_1) | instskip(SKIP_1) | instid1(SALU_CYCLE_1)
	s_cmp_lg_u32 s1, 0
	s_add_co_ci_u32 s45, s45, s49
	s_mul_u64 s[46:47], s[46:47], s[44:45]
	s_delay_alu instid0(SALU_CYCLE_1)
	s_mul_hi_u32 s49, s44, s47
	s_mul_i32 s48, s44, s47
	s_mul_hi_u32 s18, s44, s46
	s_mul_i32 s31, s45, s46
	s_add_nc_u64 s[48:49], s[18:19], s[48:49]
	s_mul_hi_u32 s1, s45, s46
	s_mul_hi_u32 s43, s45, s47
	s_add_co_u32 s18, s48, s31
	s_add_co_ci_u32 s18, s49, s1
	s_mul_i32 s46, s45, s47
	s_add_co_ci_u32 s47, s43, 0
	s_delay_alu instid0(SALU_CYCLE_1) | instskip(NEXT) | instid1(SALU_CYCLE_1)
	s_add_nc_u64 s[46:47], s[18:19], s[46:47]
	s_add_co_u32 s44, s44, s46
	s_cselect_b32 s1, -1, 0
	v_mul_hi_u32 v48, v34, s44
	s_cmp_lg_u32 s1, 0
	s_add_co_ci_u32 s18, s45, s47
	s_and_b64 s[46:47], s[44:45], s[26:27]
	v_mul_u64_e32 v[42:43], s[18:19], v[34:35]
	v_mul_u64_e32 v[30:31], s[46:47], v[44:45]
	;; [unrolled: 1-line block ×3, first 2 shown]
	s_delay_alu instid0(VALU_DEP_3) | instskip(NEXT) | instid1(VALU_DEP_1)
	v_add_nc_u64_e32 v[42:43], v[48:49], v[42:43]
	v_add_co_u32 v11, vcc_lo, v42, v30
	s_delay_alu instid0(VALU_DEP_2) | instskip(NEXT) | instid1(VALU_DEP_4)
	v_add_co_ci_u32_e32 v48, vcc_lo, v43, v31, vcc_lo
	v_add_co_ci_u32_e32 v47, vcc_lo, 0, v47, vcc_lo
	s_delay_alu instid0(VALU_DEP_1) | instskip(NEXT) | instid1(VALU_DEP_1)
	v_add_nc_u64_e32 v[30:31], v[48:49], v[46:47]
	v_mul_u64_e32 v[30:31], s[36:37], v[30:31]
	s_delay_alu instid0(VALU_DEP_1) | instskip(NEXT) | instid1(VALU_DEP_2)
	v_sub_nc_u32_e32 v11, v44, v31
	v_sub_co_u32 v30, vcc_lo, v34, v30
	s_delay_alu instid0(VALU_DEP_1) | instskip(NEXT) | instid1(VALU_DEP_3)
	v_sub_co_ci_u32_e64 v31, null, v44, v31, vcc_lo
	v_subrev_co_ci_u32_e64 v11, null, s37, v11, vcc_lo
	s_delay_alu instid0(VALU_DEP_3) | instskip(SKIP_1) | instid1(VALU_DEP_3)
	v_sub_co_u32 v34, vcc_lo, v30, s36
	v_cmp_le_u32_e64 s1, s36, v30
	v_subrev_co_ci_u32_e64 v35, null, 0, v11, vcc_lo
	v_subrev_co_ci_u32_e64 v11, null, s37, v11, vcc_lo
	s_delay_alu instid0(VALU_DEP_3) | instskip(SKIP_2) | instid1(VALU_DEP_2)
	v_cndmask_b32_e64 v42, 0, -1, s1
	v_cmp_le_u32_e64 s1, s36, v34
	v_cmp_le_u32_e32 vcc_lo, s37, v31
	v_cndmask_b32_e64 v43, 0, -1, s1
	v_cmp_le_u32_e64 s1, s37, v35
	v_cndmask_b32_e64 v45, 0, -1, vcc_lo
	v_cmp_eq_u32_e32 vcc_lo, s37, v35
	s_delay_alu instid0(VALU_DEP_3) | instskip(SKIP_1) | instid1(VALU_DEP_1)
	v_cndmask_b32_e64 v44, 0, -1, s1
	v_cmp_eq_u32_e64 s1, s37, v31
	v_dual_cndmask_b32 v43, v44, v43, vcc_lo :: v_dual_cndmask_b32 v42, v45, v42, s1
	v_sub_co_u32 v44, vcc_lo, v34, s36
	s_delay_alu instid0(VALU_DEP_1) | instskip(NEXT) | instid1(VALU_DEP_3)
	v_subrev_co_ci_u32_e64 v11, null, 0, v11, vcc_lo
	v_cmp_ne_u32_e32 vcc_lo, 0, v43
	s_delay_alu instid0(VALU_DEP_2) | instskip(SKIP_1) | instid1(VALU_DEP_2)
	v_dual_cndmask_b32 v11, v35, v11 :: v_dual_cndmask_b32 v34, v34, v44
	v_cmp_ne_u32_e32 vcc_lo, 0, v42
	v_dual_cndmask_b32 v11, v31, v11 :: v_dual_cndmask_b32 v30, v30, v34
	s_delay_alu instid0(VALU_DEP_1) | instskip(NEXT) | instid1(VALU_DEP_2)
	v_xor_b32_e32 v31, v11, v32
	v_xor_b32_e32 v30, v30, v32
	s_delay_alu instid0(VALU_DEP_1)
	v_sub_nc_u64_e32 v[32:33], v[30:31], v[32:33]
                                        ; implicit-def: $vgpr30_vgpr31
.LBB62_48:                              ;   in Loop: Header=BB62_33 Depth=2
	s_and_not1_saveexec_b32 s1, s42
	s_cbranch_execz .LBB62_31
; %bb.49:                               ;   in Loop: Header=BB62_33 Depth=2
	v_cvt_f32_u32_e32 v11, s8
	v_mov_b32_e32 v33, v10
	s_delay_alu instid0(VALU_DEP_2) | instskip(SKIP_1) | instid1(TRANS32_DEP_1)
	v_rcp_iflag_f32_e32 v11, v11
	v_nop
	v_mul_f32_e32 v11, 0x4f7ffffe, v11
	s_delay_alu instid0(VALU_DEP_1) | instskip(NEXT) | instid1(VALU_DEP_1)
	v_cvt_u32_f32_e32 v11, v11
	v_mul_lo_u32 v31, s39, v11
	s_delay_alu instid0(VALU_DEP_1) | instskip(NEXT) | instid1(VALU_DEP_1)
	v_mul_hi_u32 v31, v11, v31
	v_add_nc_u32_e32 v11, v11, v31
	s_delay_alu instid0(VALU_DEP_1) | instskip(NEXT) | instid1(VALU_DEP_1)
	v_mul_hi_u32 v11, v30, v11
	v_mul_lo_u32 v11, v11, s8
	s_delay_alu instid0(VALU_DEP_1) | instskip(NEXT) | instid1(VALU_DEP_1)
	v_sub_nc_u32_e32 v11, v30, v11
	v_subrev_nc_u32_e32 v30, s8, v11
	v_cmp_le_u32_e32 vcc_lo, s8, v11
	s_delay_alu instid0(VALU_DEP_2) | instskip(NEXT) | instid1(VALU_DEP_1)
	v_cndmask_b32_e32 v11, v11, v30, vcc_lo
	v_subrev_nc_u32_e32 v30, s8, v11
	v_cmp_le_u32_e32 vcc_lo, s8, v11
	s_delay_alu instid0(VALU_DEP_2)
	v_cndmask_b32_e32 v32, v11, v30, vcc_lo
	s_branch .LBB62_31
.LBB62_50:                              ;   in Loop: Header=BB62_10 Depth=1
	s_mov_b32 s31, s30
	v_dual_mov_b32 v25, v10 :: v_dual_ashrrev_i32 v20, 31, v19
	s_add_nc_u64 s[34:35], s[8:9], s[30:31]
	s_delay_alu instid0(SALU_CYCLE_1) | instskip(NEXT) | instid1(VALU_DEP_1)
	s_xor_b64 s[34:35], s[34:35], s[30:31]
	v_mov_b32_e32 v21, v20
	s_cvt_f32_u32 s1, s34
	s_cvt_f32_u32 s18, s35
	s_sub_nc_u64 s[44:45], 0, s[34:35]
	s_delay_alu instid0(VALU_DEP_1) | instskip(NEXT) | instid1(SALU_CYCLE_1)
	v_add_nc_u64_e32 v[22:23], v[18:19], v[20:21]
	s_fmamk_f32 s1, s18, 0x4f800000, s1
	v_mov_b32_e32 v29, v10
	s_delay_alu instid0(SALU_CYCLE_2) | instskip(NEXT) | instid1(VALU_DEP_2)
	v_s_rcp_f32 s1, s1
	v_xor_b32_e32 v24, v22, v20
	s_delay_alu instid0(VALU_DEP_3) | instskip(SKIP_1) | instid1(TRANS32_DEP_1)
	v_dual_mov_b32 v33, v10 :: v_dual_bitop2_b32 v28, v23, v20 bitop3:0x14
	v_xor_b32_e32 v20, s30, v20
	s_mul_f32 s1, s1, 0x5f7ffffc
	s_delay_alu instid0(SALU_CYCLE_3) | instskip(NEXT) | instid1(SALU_CYCLE_3)
	s_mul_f32 s18, s1, 0x2f800000
	s_trunc_f32 s18, s18
	s_delay_alu instid0(SALU_CYCLE_3) | instskip(SKIP_1) | instid1(SALU_CYCLE_2)
	s_fmamk_f32 s1, s18, 0xcf800000, s1
	s_cvt_u32_f32 s43, s18
	s_cvt_u32_f32 s42, s1
	s_delay_alu instid0(SALU_CYCLE_3) | instskip(NEXT) | instid1(SALU_CYCLE_1)
	s_mul_u64 s[46:47], s[44:45], s[42:43]
	s_mul_hi_u32 s49, s42, s47
	s_mul_i32 s48, s42, s47
	s_mul_hi_u32 s18, s42, s46
	s_mul_i32 s31, s43, s46
	s_add_nc_u64 s[48:49], s[18:19], s[48:49]
	s_mul_hi_u32 s1, s43, s46
	s_mul_hi_u32 s41, s43, s47
	s_add_co_u32 s18, s48, s31
	s_add_co_ci_u32 s18, s49, s1
	s_mul_i32 s46, s43, s47
	s_add_co_ci_u32 s47, s41, 0
	s_delay_alu instid0(SALU_CYCLE_1) | instskip(NEXT) | instid1(SALU_CYCLE_1)
	s_add_nc_u64 s[46:47], s[18:19], s[46:47]
	s_add_co_u32 s42, s42, s46
	s_cselect_b32 s1, -1, 0
	s_delay_alu instid0(SALU_CYCLE_1) | instskip(SKIP_1) | instid1(SALU_CYCLE_1)
	s_cmp_lg_u32 s1, 0
	s_add_co_ci_u32 s43, s43, s47
	s_mul_u64 s[44:45], s[44:45], s[42:43]
	s_delay_alu instid0(SALU_CYCLE_1)
	s_mul_hi_u32 s47, s42, s45
	s_mul_i32 s46, s42, s45
	s_mul_hi_u32 s18, s42, s44
	s_mul_i32 s31, s43, s44
	s_add_nc_u64 s[46:47], s[18:19], s[46:47]
	s_mul_hi_u32 s1, s43, s44
	s_mul_hi_u32 s41, s43, s45
	s_add_co_u32 s18, s46, s31
	s_add_co_ci_u32 s18, s47, s1
	s_mul_i32 s44, s43, s45
	s_add_co_ci_u32 s45, s41, 0
	s_delay_alu instid0(SALU_CYCLE_1) | instskip(NEXT) | instid1(SALU_CYCLE_1)
	s_add_nc_u64 s[44:45], s[18:19], s[44:45]
	s_add_co_u32 s42, s42, s44
	s_cselect_b32 s1, -1, 0
	v_mul_hi_u32 v32, v24, s42
	s_cmp_lg_u32 s1, 0
	s_add_co_ci_u32 s18, s43, s45
	s_and_b64 s[44:45], s[42:43], s[26:27]
	v_mul_u64_e32 v[26:27], s[18:19], v[24:25]
	v_mul_u64_e32 v[22:23], s[44:45], v[28:29]
	;; [unrolled: 1-line block ×3, first 2 shown]
	s_delay_alu instid0(VALU_DEP_3) | instskip(NEXT) | instid1(VALU_DEP_1)
	v_add_nc_u64_e32 v[26:27], v[32:33], v[26:27]
	v_add_co_u32 v11, vcc_lo, v26, v22
	s_delay_alu instid0(VALU_DEP_2) | instskip(NEXT) | instid1(VALU_DEP_4)
	v_add_co_ci_u32_e32 v32, vcc_lo, v27, v23, vcc_lo
	v_add_co_ci_u32_e32 v31, vcc_lo, 0, v31, vcc_lo
	s_delay_alu instid0(VALU_DEP_1) | instskip(NEXT) | instid1(VALU_DEP_1)
	v_add_nc_u64_e32 v[22:23], v[32:33], v[30:31]
	v_mul_u64_e32 v[26:27], s[34:35], v[22:23]
	s_delay_alu instid0(VALU_DEP_1) | instskip(NEXT) | instid1(VALU_DEP_2)
	v_sub_nc_u32_e32 v11, v28, v27
	v_sub_co_u32 v21, vcc_lo, v24, v26
	s_delay_alu instid0(VALU_DEP_1) | instskip(NEXT) | instid1(VALU_DEP_3)
	v_sub_co_ci_u32_e64 v28, null, v28, v27, vcc_lo
	v_subrev_co_ci_u32_e64 v11, null, s35, v11, vcc_lo
	s_delay_alu instid0(VALU_DEP_3) | instskip(SKIP_1) | instid1(VALU_DEP_3)
	v_sub_co_u32 v24, s1, v21, s34
	v_add_nc_u64_e32 v[26:27], 1, v[22:23]
	v_subrev_co_ci_u32_e64 v11, null, 0, v11, s1
	s_delay_alu instid0(VALU_DEP_3) | instskip(SKIP_1) | instid1(VALU_DEP_3)
	v_cmp_le_u32_e32 vcc_lo, s34, v24
	v_cndmask_b32_e64 v24, 0, -1, vcc_lo
	v_cmp_le_u32_e32 vcc_lo, s35, v11
	v_cndmask_b32_e64 v25, 0, -1, vcc_lo
	;; [unrolled: 2-line block ×4, first 2 shown]
	v_cmp_eq_u32_e32 vcc_lo, s35, v11
	v_cndmask_b32_e32 v11, v25, v24, vcc_lo
	v_cmp_eq_u32_e32 vcc_lo, s35, v28
	v_add_nc_u64_e32 v[24:25], 2, v[22:23]
	v_cndmask_b32_e32 v21, v29, v21, vcc_lo
	s_delay_alu instid0(VALU_DEP_4) | instskip(NEXT) | instid1(VALU_DEP_2)
	v_cmp_ne_u32_e32 vcc_lo, 0, v11
	v_cmp_ne_u32_e64 s1, 0, v21
	s_delay_alu instid0(VALU_DEP_4) | instskip(NEXT) | instid1(VALU_DEP_1)
	v_dual_cndmask_b32 v11, v27, v25, vcc_lo :: v_dual_cndmask_b32 v21, v26, v24, vcc_lo
	v_dual_cndmask_b32 v22, v22, v21, s1 :: v_dual_mov_b32 v21, v20
	s_delay_alu instid0(VALU_DEP_1) | instskip(NEXT) | instid1(VALU_DEP_1)
	v_dual_cndmask_b32 v11, v23, v11, s1 :: v_dual_bitop2_b32 v22, v22, v20 bitop3:0x14
	v_xor_b32_e32 v23, v11, v20
	s_delay_alu instid0(VALU_DEP_1)
	v_sub_nc_u64_e32 v[20:21], v[22:23], v[20:21]
	s_and_not1_saveexec_b32 s1, s37
	s_cbranch_execz .LBB62_26
.LBB62_51:                              ;   in Loop: Header=BB62_10 Depth=1
	v_cvt_f32_u32_e32 v11, s8
	s_delay_alu instid0(VALU_DEP_1) | instskip(SKIP_1) | instid1(TRANS32_DEP_1)
	v_rcp_iflag_f32_e32 v11, v11
	v_nop
	v_mul_f32_e32 v11, 0x4f7ffffe, v11
	s_delay_alu instid0(VALU_DEP_1) | instskip(NEXT) | instid1(VALU_DEP_1)
	v_cvt_u32_f32_e32 v11, v11
	v_mul_lo_u32 v20, s39, v11
	s_delay_alu instid0(VALU_DEP_1) | instskip(NEXT) | instid1(VALU_DEP_1)
	v_mul_hi_u32 v20, v11, v20
	v_add_nc_u32_e32 v11, v11, v20
	s_delay_alu instid0(VALU_DEP_1) | instskip(NEXT) | instid1(VALU_DEP_1)
	v_mul_hi_u32 v11, v18, v11
	v_mul_lo_u32 v20, v11, s8
	s_delay_alu instid0(VALU_DEP_1) | instskip(NEXT) | instid1(VALU_DEP_1)
	v_dual_add_nc_u32 v21, 1, v11 :: v_dual_sub_nc_u32 v20, v18, v20
	v_subrev_nc_u32_e32 v22, s8, v20
	v_cmp_le_u32_e32 vcc_lo, s8, v20
	s_delay_alu instid0(VALU_DEP_2) | instskip(NEXT) | instid1(VALU_DEP_1)
	v_dual_cndmask_b32 v20, v20, v22 :: v_dual_cndmask_b32 v11, v11, v21
	v_cmp_le_u32_e32 vcc_lo, s8, v20
	s_delay_alu instid0(VALU_DEP_2) | instskip(NEXT) | instid1(VALU_DEP_1)
	v_add_nc_u32_e32 v21, 1, v11
	v_dual_cndmask_b32 v20, v11, v21 :: v_dual_mov_b32 v21, v10
	s_or_b32 exec_lo, exec_lo, s1
	s_delay_alu instid0(SALU_CYCLE_1) | instskip(NEXT) | instid1(VALU_DEP_1)
	s_mov_b32 s1, exec_lo
	v_cmpx_ge_i64_e64 v[20:21], v[16:17]
	s_cbranch_execnz .LBB62_27
	s_branch .LBB62_28
.LBB62_52:
	s_endpgm
	.section	.rodata,"a",@progbits
	.p2align	6, 0x0
	.amdhsa_kernel _ZN9rocsparseL21csr2bsr_65_inf_kernelILj32EfilEEv20rocsparse_direction_T2_S2_S2_S2_S2_S2_21rocsparse_index_base_PKT0_PKT1_PKS2_S3_PS4_PS7_PS2_SD_SE_SC_
		.amdhsa_group_segment_fixed_size 0
		.amdhsa_private_segment_fixed_size 0
		.amdhsa_kernarg_size 144
		.amdhsa_user_sgpr_count 2
		.amdhsa_user_sgpr_dispatch_ptr 0
		.amdhsa_user_sgpr_queue_ptr 0
		.amdhsa_user_sgpr_kernarg_segment_ptr 1
		.amdhsa_user_sgpr_dispatch_id 0
		.amdhsa_user_sgpr_kernarg_preload_length 0
		.amdhsa_user_sgpr_kernarg_preload_offset 0
		.amdhsa_user_sgpr_private_segment_size 0
		.amdhsa_wavefront_size32 1
		.amdhsa_uses_dynamic_stack 0
		.amdhsa_enable_private_segment 0
		.amdhsa_system_sgpr_workgroup_id_x 1
		.amdhsa_system_sgpr_workgroup_id_y 0
		.amdhsa_system_sgpr_workgroup_id_z 0
		.amdhsa_system_sgpr_workgroup_info 0
		.amdhsa_system_vgpr_workitem_id 0
		.amdhsa_next_free_vgpr 56
		.amdhsa_next_free_sgpr 52
		.amdhsa_named_barrier_count 0
		.amdhsa_reserve_vcc 1
		.amdhsa_float_round_mode_32 0
		.amdhsa_float_round_mode_16_64 0
		.amdhsa_float_denorm_mode_32 3
		.amdhsa_float_denorm_mode_16_64 3
		.amdhsa_fp16_overflow 0
		.amdhsa_memory_ordered 1
		.amdhsa_forward_progress 1
		.amdhsa_inst_pref_size 39
		.amdhsa_round_robin_scheduling 0
		.amdhsa_exception_fp_ieee_invalid_op 0
		.amdhsa_exception_fp_denorm_src 0
		.amdhsa_exception_fp_ieee_div_zero 0
		.amdhsa_exception_fp_ieee_overflow 0
		.amdhsa_exception_fp_ieee_underflow 0
		.amdhsa_exception_fp_ieee_inexact 0
		.amdhsa_exception_int_div_zero 0
	.end_amdhsa_kernel
	.section	.text._ZN9rocsparseL21csr2bsr_65_inf_kernelILj32EfilEEv20rocsparse_direction_T2_S2_S2_S2_S2_S2_21rocsparse_index_base_PKT0_PKT1_PKS2_S3_PS4_PS7_PS2_SD_SE_SC_,"axG",@progbits,_ZN9rocsparseL21csr2bsr_65_inf_kernelILj32EfilEEv20rocsparse_direction_T2_S2_S2_S2_S2_S2_21rocsparse_index_base_PKT0_PKT1_PKS2_S3_PS4_PS7_PS2_SD_SE_SC_,comdat
.Lfunc_end62:
	.size	_ZN9rocsparseL21csr2bsr_65_inf_kernelILj32EfilEEv20rocsparse_direction_T2_S2_S2_S2_S2_S2_21rocsparse_index_base_PKT0_PKT1_PKS2_S3_PS4_PS7_PS2_SD_SE_SC_, .Lfunc_end62-_ZN9rocsparseL21csr2bsr_65_inf_kernelILj32EfilEEv20rocsparse_direction_T2_S2_S2_S2_S2_S2_21rocsparse_index_base_PKT0_PKT1_PKS2_S3_PS4_PS7_PS2_SD_SE_SC_
                                        ; -- End function
	.set _ZN9rocsparseL21csr2bsr_65_inf_kernelILj32EfilEEv20rocsparse_direction_T2_S2_S2_S2_S2_S2_21rocsparse_index_base_PKT0_PKT1_PKS2_S3_PS4_PS7_PS2_SD_SE_SC_.num_vgpr, 56
	.set _ZN9rocsparseL21csr2bsr_65_inf_kernelILj32EfilEEv20rocsparse_direction_T2_S2_S2_S2_S2_S2_21rocsparse_index_base_PKT0_PKT1_PKS2_S3_PS4_PS7_PS2_SD_SE_SC_.num_agpr, 0
	.set _ZN9rocsparseL21csr2bsr_65_inf_kernelILj32EfilEEv20rocsparse_direction_T2_S2_S2_S2_S2_S2_21rocsparse_index_base_PKT0_PKT1_PKS2_S3_PS4_PS7_PS2_SD_SE_SC_.numbered_sgpr, 52
	.set _ZN9rocsparseL21csr2bsr_65_inf_kernelILj32EfilEEv20rocsparse_direction_T2_S2_S2_S2_S2_S2_21rocsparse_index_base_PKT0_PKT1_PKS2_S3_PS4_PS7_PS2_SD_SE_SC_.num_named_barrier, 0
	.set _ZN9rocsparseL21csr2bsr_65_inf_kernelILj32EfilEEv20rocsparse_direction_T2_S2_S2_S2_S2_S2_21rocsparse_index_base_PKT0_PKT1_PKS2_S3_PS4_PS7_PS2_SD_SE_SC_.private_seg_size, 0
	.set _ZN9rocsparseL21csr2bsr_65_inf_kernelILj32EfilEEv20rocsparse_direction_T2_S2_S2_S2_S2_S2_21rocsparse_index_base_PKT0_PKT1_PKS2_S3_PS4_PS7_PS2_SD_SE_SC_.uses_vcc, 1
	.set _ZN9rocsparseL21csr2bsr_65_inf_kernelILj32EfilEEv20rocsparse_direction_T2_S2_S2_S2_S2_S2_21rocsparse_index_base_PKT0_PKT1_PKS2_S3_PS4_PS7_PS2_SD_SE_SC_.uses_flat_scratch, 0
	.set _ZN9rocsparseL21csr2bsr_65_inf_kernelILj32EfilEEv20rocsparse_direction_T2_S2_S2_S2_S2_S2_21rocsparse_index_base_PKT0_PKT1_PKS2_S3_PS4_PS7_PS2_SD_SE_SC_.has_dyn_sized_stack, 0
	.set _ZN9rocsparseL21csr2bsr_65_inf_kernelILj32EfilEEv20rocsparse_direction_T2_S2_S2_S2_S2_S2_21rocsparse_index_base_PKT0_PKT1_PKS2_S3_PS4_PS7_PS2_SD_SE_SC_.has_recursion, 0
	.set _ZN9rocsparseL21csr2bsr_65_inf_kernelILj32EfilEEv20rocsparse_direction_T2_S2_S2_S2_S2_S2_21rocsparse_index_base_PKT0_PKT1_PKS2_S3_PS4_PS7_PS2_SD_SE_SC_.has_indirect_call, 0
	.section	.AMDGPU.csdata,"",@progbits
; Kernel info:
; codeLenInByte = 4900
; TotalNumSgprs: 54
; NumVgprs: 56
; ScratchSize: 0
; MemoryBound: 0
; FloatMode: 240
; IeeeMode: 1
; LDSByteSize: 0 bytes/workgroup (compile time only)
; SGPRBlocks: 0
; VGPRBlocks: 3
; NumSGPRsForWavesPerEU: 54
; NumVGPRsForWavesPerEU: 56
; NamedBarCnt: 0
; Occupancy: 16
; WaveLimiterHint : 1
; COMPUTE_PGM_RSRC2:SCRATCH_EN: 0
; COMPUTE_PGM_RSRC2:USER_SGPR: 2
; COMPUTE_PGM_RSRC2:TRAP_HANDLER: 0
; COMPUTE_PGM_RSRC2:TGID_X_EN: 1
; COMPUTE_PGM_RSRC2:TGID_Y_EN: 0
; COMPUTE_PGM_RSRC2:TGID_Z_EN: 0
; COMPUTE_PGM_RSRC2:TIDIG_COMP_CNT: 0
	.section	.text._ZN9rocsparseL35csr2bsr_block_dim_equals_one_kernelILj256EfllEEvT2_S1_S1_S1_21rocsparse_index_base_PKT0_PKT1_PKS1_S2_PS3_PS6_PS1_,"axG",@progbits,_ZN9rocsparseL35csr2bsr_block_dim_equals_one_kernelILj256EfllEEvT2_S1_S1_S1_21rocsparse_index_base_PKT0_PKT1_PKS1_S2_PS3_PS6_PS1_,comdat
	.globl	_ZN9rocsparseL35csr2bsr_block_dim_equals_one_kernelILj256EfllEEvT2_S1_S1_S1_21rocsparse_index_base_PKT0_PKT1_PKS1_S2_PS3_PS6_PS1_ ; -- Begin function _ZN9rocsparseL35csr2bsr_block_dim_equals_one_kernelILj256EfllEEvT2_S1_S1_S1_21rocsparse_index_base_PKT0_PKT1_PKS1_S2_PS3_PS6_PS1_
	.p2align	8
	.type	_ZN9rocsparseL35csr2bsr_block_dim_equals_one_kernelILj256EfllEEvT2_S1_S1_S1_21rocsparse_index_base_PKT0_PKT1_PKS1_S2_PS3_PS6_PS1_,@function
_ZN9rocsparseL35csr2bsr_block_dim_equals_one_kernelILj256EfllEEvT2_S1_S1_S1_21rocsparse_index_base_PKT0_PKT1_PKS1_S2_PS3_PS6_PS1_: ; @_ZN9rocsparseL35csr2bsr_block_dim_equals_one_kernelILj256EfllEEvT2_S1_S1_S1_21rocsparse_index_base_PKT0_PKT1_PKS1_S2_PS3_PS6_PS1_
; %bb.0:
	s_clause 0x1
	s_load_b64 s[2:3], s[0:1], 0x0
	s_load_b128 s[4:7], s[0:1], 0x28
	s_bfe_u32 s8, ttmp6, 0x4000c
	s_and_b32 s9, ttmp6, 15
	s_add_co_i32 s8, s8, 1
	s_getreg_b32 s10, hwreg(HW_REG_IB_STS2, 6, 4)
	s_mul_i32 s8, ttmp9, s8
	v_mov_b32_e32 v1, 0
	s_add_co_i32 s9, s9, s8
	s_cmp_eq_u32 s10, 0
	s_cselect_b32 s12, ttmp9, s9
	s_delay_alu instid0(SALU_CYCLE_1) | instskip(SKIP_2) | instid1(SALU_CYCLE_1)
	v_lshl_or_b32 v0, s12, 8, v0
	s_wait_kmcnt 0x0
	s_lshl_b64 s[2:3], s[2:3], 3
	s_add_nc_u64 s[2:3], s[6:7], s[2:3]
	s_clause 0x1
	s_load_b64 s[8:9], s[2:3], 0x0
	s_load_b64 s[10:11], s[6:7], 0x0
	s_wait_xcnt 0x0
	s_mov_b32 s7, 0
	s_mov_b32 s6, exec_lo
	s_wait_kmcnt 0x0
	s_sub_nc_u64 s[2:3], s[8:9], s[10:11]
	s_delay_alu instid0(SALU_CYCLE_1)
	v_cmpx_gt_i64_e64 s[2:3], v[0:1]
	s_cbranch_execz .LBB63_3
; %bb.1:
	s_clause 0x3
	s_load_b96 s[8:10], s[0:1], 0x38
	s_load_b64 s[16:17], s[0:1], 0x48
	s_load_b32 s6, s[0:1], 0x20
	s_load_b96 s[12:14], s[0:1], 0x58
	v_lshlrev_b64_e32 v[2:3], 2, v[0:1]
	v_lshlrev_b64_e32 v[4:5], 3, v[0:1]
	s_wait_xcnt 0x0
	s_mov_b32 s1, s7
	s_mov_b32 s18, s7
	s_wait_kmcnt 0x0
	s_mov_b32 s0, s10
	s_delay_alu instid0(SALU_CYCLE_1) | instskip(SKIP_1) | instid1(SALU_CYCLE_1)
	s_sub_nc_u64 s[0:1], s[0:1], s[6:7]
	s_lshl_b32 s6, s14, 8
	s_lshl_b64 s[10:11], s[6:7], 2
	s_lshl_b64 s[14:15], s[6:7], 3
.LBB63_2:                               ; =>This Inner Loop Header: Depth=1
	v_add_nc_u64_e32 v[6:7], s[8:9], v[4:5]
	v_add_nc_u64_e32 v[8:9], s[4:5], v[2:3]
	;; [unrolled: 1-line block ×3, first 2 shown]
	global_load_b64 v[10:11], v[6:7], off
	global_load_b32 v12, v[8:9], off
	s_wait_xcnt 0x1
	v_add_nc_u64_e32 v[6:7], s[12:13], v[4:5]
	v_cmp_le_i64_e32 vcc_lo, s[2:3], v[0:1]
	s_wait_xcnt 0x0
	v_add_nc_u64_e32 v[8:9], s[16:17], v[2:3]
	v_add_nc_u64_e32 v[2:3], s[10:11], v[2:3]
	;; [unrolled: 1-line block ×3, first 2 shown]
	s_or_b32 s18, vcc_lo, s18
	s_wait_loadcnt 0x1
	v_add_nc_u64_e32 v[10:11], s[0:1], v[10:11]
	s_wait_loadcnt 0x0
	global_store_b32 v[8:9], v12, off
	global_store_b64 v[6:7], v[10:11], off
	s_wait_xcnt 0x0
	s_and_not1_b32 exec_lo, exec_lo, s18
	s_cbranch_execnz .LBB63_2
.LBB63_3:
	s_endpgm
	.section	.rodata,"a",@progbits
	.p2align	6, 0x0
	.amdhsa_kernel _ZN9rocsparseL35csr2bsr_block_dim_equals_one_kernelILj256EfllEEvT2_S1_S1_S1_21rocsparse_index_base_PKT0_PKT1_PKS1_S2_PS3_PS6_PS1_
		.amdhsa_group_segment_fixed_size 0
		.amdhsa_private_segment_fixed_size 0
		.amdhsa_kernarg_size 352
		.amdhsa_user_sgpr_count 2
		.amdhsa_user_sgpr_dispatch_ptr 0
		.amdhsa_user_sgpr_queue_ptr 0
		.amdhsa_user_sgpr_kernarg_segment_ptr 1
		.amdhsa_user_sgpr_dispatch_id 0
		.amdhsa_user_sgpr_kernarg_preload_length 0
		.amdhsa_user_sgpr_kernarg_preload_offset 0
		.amdhsa_user_sgpr_private_segment_size 0
		.amdhsa_wavefront_size32 1
		.amdhsa_uses_dynamic_stack 0
		.amdhsa_enable_private_segment 0
		.amdhsa_system_sgpr_workgroup_id_x 1
		.amdhsa_system_sgpr_workgroup_id_y 0
		.amdhsa_system_sgpr_workgroup_id_z 0
		.amdhsa_system_sgpr_workgroup_info 0
		.amdhsa_system_vgpr_workitem_id 0
		.amdhsa_next_free_vgpr 13
		.amdhsa_next_free_sgpr 19
		.amdhsa_named_barrier_count 0
		.amdhsa_reserve_vcc 1
		.amdhsa_float_round_mode_32 0
		.amdhsa_float_round_mode_16_64 0
		.amdhsa_float_denorm_mode_32 3
		.amdhsa_float_denorm_mode_16_64 3
		.amdhsa_fp16_overflow 0
		.amdhsa_memory_ordered 1
		.amdhsa_forward_progress 1
		.amdhsa_inst_pref_size 3
		.amdhsa_round_robin_scheduling 0
		.amdhsa_exception_fp_ieee_invalid_op 0
		.amdhsa_exception_fp_denorm_src 0
		.amdhsa_exception_fp_ieee_div_zero 0
		.amdhsa_exception_fp_ieee_overflow 0
		.amdhsa_exception_fp_ieee_underflow 0
		.amdhsa_exception_fp_ieee_inexact 0
		.amdhsa_exception_int_div_zero 0
	.end_amdhsa_kernel
	.section	.text._ZN9rocsparseL35csr2bsr_block_dim_equals_one_kernelILj256EfllEEvT2_S1_S1_S1_21rocsparse_index_base_PKT0_PKT1_PKS1_S2_PS3_PS6_PS1_,"axG",@progbits,_ZN9rocsparseL35csr2bsr_block_dim_equals_one_kernelILj256EfllEEvT2_S1_S1_S1_21rocsparse_index_base_PKT0_PKT1_PKS1_S2_PS3_PS6_PS1_,comdat
.Lfunc_end63:
	.size	_ZN9rocsparseL35csr2bsr_block_dim_equals_one_kernelILj256EfllEEvT2_S1_S1_S1_21rocsparse_index_base_PKT0_PKT1_PKS1_S2_PS3_PS6_PS1_, .Lfunc_end63-_ZN9rocsparseL35csr2bsr_block_dim_equals_one_kernelILj256EfllEEvT2_S1_S1_S1_21rocsparse_index_base_PKT0_PKT1_PKS1_S2_PS3_PS6_PS1_
                                        ; -- End function
	.set _ZN9rocsparseL35csr2bsr_block_dim_equals_one_kernelILj256EfllEEvT2_S1_S1_S1_21rocsparse_index_base_PKT0_PKT1_PKS1_S2_PS3_PS6_PS1_.num_vgpr, 13
	.set _ZN9rocsparseL35csr2bsr_block_dim_equals_one_kernelILj256EfllEEvT2_S1_S1_S1_21rocsparse_index_base_PKT0_PKT1_PKS1_S2_PS3_PS6_PS1_.num_agpr, 0
	.set _ZN9rocsparseL35csr2bsr_block_dim_equals_one_kernelILj256EfllEEvT2_S1_S1_S1_21rocsparse_index_base_PKT0_PKT1_PKS1_S2_PS3_PS6_PS1_.numbered_sgpr, 19
	.set _ZN9rocsparseL35csr2bsr_block_dim_equals_one_kernelILj256EfllEEvT2_S1_S1_S1_21rocsparse_index_base_PKT0_PKT1_PKS1_S2_PS3_PS6_PS1_.num_named_barrier, 0
	.set _ZN9rocsparseL35csr2bsr_block_dim_equals_one_kernelILj256EfllEEvT2_S1_S1_S1_21rocsparse_index_base_PKT0_PKT1_PKS1_S2_PS3_PS6_PS1_.private_seg_size, 0
	.set _ZN9rocsparseL35csr2bsr_block_dim_equals_one_kernelILj256EfllEEvT2_S1_S1_S1_21rocsparse_index_base_PKT0_PKT1_PKS1_S2_PS3_PS6_PS1_.uses_vcc, 1
	.set _ZN9rocsparseL35csr2bsr_block_dim_equals_one_kernelILj256EfllEEvT2_S1_S1_S1_21rocsparse_index_base_PKT0_PKT1_PKS1_S2_PS3_PS6_PS1_.uses_flat_scratch, 0
	.set _ZN9rocsparseL35csr2bsr_block_dim_equals_one_kernelILj256EfllEEvT2_S1_S1_S1_21rocsparse_index_base_PKT0_PKT1_PKS1_S2_PS3_PS6_PS1_.has_dyn_sized_stack, 0
	.set _ZN9rocsparseL35csr2bsr_block_dim_equals_one_kernelILj256EfllEEvT2_S1_S1_S1_21rocsparse_index_base_PKT0_PKT1_PKS1_S2_PS3_PS6_PS1_.has_recursion, 0
	.set _ZN9rocsparseL35csr2bsr_block_dim_equals_one_kernelILj256EfllEEvT2_S1_S1_S1_21rocsparse_index_base_PKT0_PKT1_PKS1_S2_PS3_PS6_PS1_.has_indirect_call, 0
	.section	.AMDGPU.csdata,"",@progbits
; Kernel info:
; codeLenInByte = 344
; TotalNumSgprs: 21
; NumVgprs: 13
; ScratchSize: 0
; MemoryBound: 0
; FloatMode: 240
; IeeeMode: 1
; LDSByteSize: 0 bytes/workgroup (compile time only)
; SGPRBlocks: 0
; VGPRBlocks: 0
; NumSGPRsForWavesPerEU: 21
; NumVGPRsForWavesPerEU: 13
; NamedBarCnt: 0
; Occupancy: 16
; WaveLimiterHint : 0
; COMPUTE_PGM_RSRC2:SCRATCH_EN: 0
; COMPUTE_PGM_RSRC2:USER_SGPR: 2
; COMPUTE_PGM_RSRC2:TRAP_HANDLER: 0
; COMPUTE_PGM_RSRC2:TGID_X_EN: 1
; COMPUTE_PGM_RSRC2:TGID_Y_EN: 0
; COMPUTE_PGM_RSRC2:TGID_Z_EN: 0
; COMPUTE_PGM_RSRC2:TIDIG_COMP_CNT: 0
	.section	.text._ZN9rocsparseL42csr2bsr_wavefront_per_row_multipass_kernelILj256ELj16ELj4EfllEEv20rocsparse_direction_T4_S2_S2_S2_S2_21rocsparse_index_base_PKT2_PKT3_PKS2_S3_PS4_PS7_PS2_,"axG",@progbits,_ZN9rocsparseL42csr2bsr_wavefront_per_row_multipass_kernelILj256ELj16ELj4EfllEEv20rocsparse_direction_T4_S2_S2_S2_S2_21rocsparse_index_base_PKT2_PKT3_PKS2_S3_PS4_PS7_PS2_,comdat
	.globl	_ZN9rocsparseL42csr2bsr_wavefront_per_row_multipass_kernelILj256ELj16ELj4EfllEEv20rocsparse_direction_T4_S2_S2_S2_S2_21rocsparse_index_base_PKT2_PKT3_PKS2_S3_PS4_PS7_PS2_ ; -- Begin function _ZN9rocsparseL42csr2bsr_wavefront_per_row_multipass_kernelILj256ELj16ELj4EfllEEv20rocsparse_direction_T4_S2_S2_S2_S2_21rocsparse_index_base_PKT2_PKT3_PKS2_S3_PS4_PS7_PS2_
	.p2align	8
	.type	_ZN9rocsparseL42csr2bsr_wavefront_per_row_multipass_kernelILj256ELj16ELj4EfllEEv20rocsparse_direction_T4_S2_S2_S2_S2_21rocsparse_index_base_PKT2_PKT3_PKS2_S3_PS4_PS7_PS2_,@function
_ZN9rocsparseL42csr2bsr_wavefront_per_row_multipass_kernelILj256ELj16ELj4EfllEEv20rocsparse_direction_T4_S2_S2_S2_S2_21rocsparse_index_base_PKT2_PKT3_PKS2_S3_PS4_PS7_PS2_: ; @_ZN9rocsparseL42csr2bsr_wavefront_per_row_multipass_kernelILj256ELj16ELj4EfllEEv20rocsparse_direction_T4_S2_S2_S2_S2_21rocsparse_index_base_PKT2_PKT3_PKS2_S3_PS4_PS7_PS2_
; %bb.0:
	s_bfe_u32 s2, ttmp6, 0x4000c
	s_clause 0x1
	s_load_b96 s[8:10], s[0:1], 0x28
	s_load_b64 s[12:13], s[0:1], 0x40
	s_add_co_i32 s2, s2, 1
	s_and_b32 s3, ttmp6, 15
	s_mul_i32 s2, ttmp9, s2
	s_getreg_b32 s4, hwreg(HW_REG_IB_STS2, 6, 4)
	s_add_co_i32 s3, s3, s2
	s_cmp_eq_u32 s4, 0
	v_dual_mov_b32 v11, 0 :: v_dual_lshrrev_b32 v30, 4, v0
	s_cselect_b32 s14, ttmp9, s3
	v_bfe_u32 v10, v0, 2, 2
	s_ashr_i32 s15, s14, 31
	v_mov_b64_e32 v[16:17], 0
	s_lshl_b64 s[2:3], s[14:15], 4
	s_mov_b32 s11, 0
	v_or_b32_e32 v1, s2, v30
	s_load_b128 s[4:7], s[0:1], 0x18
	s_wait_kmcnt 0x0
	s_delay_alu instid0(VALU_DEP_1) | instskip(NEXT) | instid1(VALU_DEP_1)
	v_mad_nc_u64_u32 v[4:5], v1, s8, v[10:11]
	v_mad_u32 v2, s3, s8, v5
	s_load_b64 s[2:3], s[0:1], 0x8
	s_delay_alu instid0(VALU_DEP_1) | instskip(SKIP_2) | instid1(VALU_DEP_2)
	v_mad_u32 v5, v1, s9, v2
	v_mov_b64_e32 v[2:3], 0
	s_wait_kmcnt 0x0
	v_cmp_gt_i64_e32 vcc_lo, s[2:3], v[4:5]
	v_cmp_gt_i64_e64 s2, s[8:9], v[10:11]
	s_and_b32 s3, s2, vcc_lo
	s_delay_alu instid0(SALU_CYCLE_1)
	s_and_saveexec_b32 s15, s3
	s_cbranch_execz .LBB64_2
; %bb.1:
	v_lshl_add_u64 v[6:7], v[4:5], 3, s[12:13]
	global_load_b64 v[6:7], v[6:7], off
	s_wait_loadcnt 0x0
	v_sub_nc_u64_e64 v[16:17], v[6:7], s[10:11]
.LBB64_2:
	s_or_b32 exec_lo, exec_lo, s15
	s_and_saveexec_b32 s15, s3
	s_cbranch_execz .LBB64_4
; %bb.3:
	v_lshl_add_u64 v[2:3], v[4:5], 3, s[12:13]
	global_load_b64 v[2:3], v[2:3], off offset:8
	s_wait_loadcnt 0x0
	v_sub_nc_u64_e64 v[2:3], v[2:3], s[10:11]
.LBB64_4:
	s_or_b32 exec_lo, exec_lo, s15
	s_load_b32 s12, s[0:1], 0x50
	v_mov_b64_e32 v[4:5], 0
	v_lshl_or_b32 v6, s14, 4, v30
	v_mov_b32_e32 v7, 0
	s_mov_b32 s3, exec_lo
	s_delay_alu instid0(VALU_DEP_1)
	v_cmpx_gt_i64_e64 s[4:5], v[6:7]
	s_cbranch_execz .LBB64_6
; %bb.5:
	s_load_b64 s[4:5], s[0:1], 0x60
	s_mov_b32 s13, 0
	s_wait_kmcnt 0x0
	v_lshl_add_u64 v[4:5], v[6:7], 3, s[4:5]
	global_load_b64 v[4:5], v[4:5], off
	s_wait_loadcnt 0x0
	v_sub_nc_u64_e64 v[4:5], v[4:5], s[12:13]
.LBB64_6:
	s_or_b32 exec_lo, exec_lo, s3
	v_cmp_lt_i64_e64 s3, s[6:7], 1
	s_and_b32 vcc_lo, exec_lo, s3
	s_cbranch_vccnz .LBB64_28
; %bb.7:
	v_dual_mov_b32 v6, 0 :: v_dual_bitop2_b32 v8, 3, v0 bitop3:0x40
	v_mul_u64_e32 v[12:13], s[8:9], v[10:11]
	v_mbcnt_lo_u32_b32 v7, -1, 0
	v_and_b32_e32 v0, 0x3f0, v0
	s_delay_alu instid0(VALU_DEP_4)
	v_dual_mov_b32 v9, v6 :: v_dual_lshlrev_b32 v1, 4, v10
	s_clause 0x3
	s_load_b64 s[20:21], s[0:1], 0x58
	s_load_b64 s[16:17], s[0:1], 0x48
	;; [unrolled: 1-line block ×3, first 2 shown]
	s_load_b32 s3, s[0:1], 0x0
	v_dual_lshlrev_b32 v20, 2, v7 :: v_dual_bitop2_b32 v18, 2, v7 bitop3:0x14
	v_mul_u64_e32 v[14:15], s[8:9], v[8:9]
	v_lshl_or_b32 v31, v0, 2, v1
	v_dual_mov_b32 v1, v6 :: v_dual_bitop2_b32 v21, 8, v7 bitop3:0x14
	v_dual_mov_b32 v11, v6 :: v_dual_bitop2_b32 v19, 1, v7 bitop3:0x14
	v_cmp_gt_i32_e32 vcc_lo, 32, v18
	s_load_b64 s[4:5], s[0:1], 0x68
	v_xor_b32_e32 v22, 4, v7
	s_wait_xcnt 0x0
	v_cmp_gt_i32_e64 s0, 32, v21
	v_dual_lshlrev_b32 v10, 2, v10 :: v_dual_lshlrev_b32 v0, 2, v8
	v_cndmask_b32_e32 v18, v7, v18, vcc_lo
	v_cmp_gt_i32_e32 vcc_lo, 32, v19
	s_delay_alu instid0(VALU_DEP_4) | instskip(SKIP_1) | instid1(VALU_DEP_4)
	v_cndmask_b32_e64 v21, v7, v21, s0
	v_cmp_gt_i32_e64 s0, 32, v22
	v_dual_lshlrev_b32 v34, 2, v18 :: v_dual_bitop2_b32 v32, v31, v0 bitop3:0x54
	v_dual_cndmask_b32 v19, v7, v19, vcc_lo :: v_dual_bitop2_b32 v33, 12, v20 bitop3:0x54
	v_cmp_gt_i64_e32 vcc_lo, s[8:9], v[8:9]
	s_delay_alu instid0(VALU_DEP_4) | instskip(NEXT) | instid1(VALU_DEP_3)
	v_dual_cndmask_b32 v7, v7, v22, s0 :: v_dual_lshlrev_b32 v36, 2, v21
	v_lshlrev_b32_e32 v35, 2, v19
	s_wait_kmcnt 0x0
	v_lshl_add_u64 v[12:13], v[12:13], 2, s[20:21]
	s_delay_alu instid0(VALU_DEP_3) | instskip(SKIP_2) | instid1(VALU_DEP_3)
	v_dual_lshlrev_b32 v37, 2, v7 :: v_dual_bitop2_b32 v38, 60, v20 bitop3:0x54
	s_and_b32 s24, s2, vcc_lo
	v_mov_b32_e32 v39, 1
	v_add_nc_u64_e32 v[0:1], v[12:13], v[0:1]
	s_mov_b32 s1, 0
	s_cmp_lg_u32 s3, 0
	v_lshl_add_u64 v[14:15], v[14:15], 2, s[20:21]
	s_mul_u64 s[14:15], s[8:9], s[8:9]
	s_mov_b32 s11, s1
	s_mov_b32 s13, s1
	s_cselect_b32 s25, -1, 0
	v_add_nc_u64_e32 v[10:11], v[14:15], v[10:11]
	v_mov_b64_e32 v[14:15], 0
	s_mov_b64 s[2:3], 0xffffffff
	s_ashr_i32 s20, s9, 31
	s_sub_co_i32 s26, 0, s8
	s_mov_b32 s27, 0
	s_branch .LBB64_10
.LBB64_8:                               ;   in Loop: Header=BB64_10 Depth=1
	s_wait_xcnt 0x0
	s_or_b32 exec_lo, exec_lo, s21
	v_mov_b64_e32 v[18:19], 1
.LBB64_9:                               ;   in Loop: Header=BB64_10 Depth=1
	s_or_b32 exec_lo, exec_lo, s0
	ds_bpermute_b32 v14, v36, v12
	ds_bpermute_b32 v15, v36, v13
	v_add_nc_u64_e32 v[4:5], v[18:19], v[4:5]
	s_wait_storecnt_dscnt 0x0
	v_min_i64 v[12:13], v[14:15], v[12:13]
	ds_bpermute_b32 v14, v37, v12
	ds_bpermute_b32 v15, v37, v13
	s_wait_dscnt 0x0
	v_min_i64 v[12:13], v[14:15], v[12:13]
	ds_bpermute_b32 v14, v34, v12
	ds_bpermute_b32 v15, v34, v13
	s_wait_dscnt 0x0
	;; [unrolled: 4-line block ×4, first 2 shown]
	v_cmp_le_i64_e32 vcc_lo, s[6:7], v[14:15]
	s_or_b32 s27, vcc_lo, s27
	s_delay_alu instid0(SALU_CYCLE_1)
	s_and_not1_b32 exec_lo, exec_lo, s27
	s_cbranch_execz .LBB64_28
.LBB64_10:                              ; =>This Loop Header: Depth=1
                                        ;     Child Loop BB64_13 Depth 2
	v_add_nc_u64_e32 v[16:17], v[16:17], v[8:9]
	v_mov_b64_e32 v[12:13], s[6:7]
	v_mov_b64_e32 v[28:29], v[2:3]
	s_mov_b32 s28, exec_lo
	ds_store_b8 v30, v6 offset:1024
	ds_store_b32 v32, v6
	s_wait_dscnt 0x0
	v_cmpx_lt_i64_e64 v[16:17], v[2:3]
	s_cbranch_execz .LBB64_22
; %bb.11:                               ;   in Loop: Header=BB64_10 Depth=1
	v_mul_u64_e32 v[18:19], s[8:9], v[14:15]
	v_mov_b64_e32 v[12:13], s[6:7]
	v_mov_b64_e32 v[24:25], v[2:3]
	v_lshl_add_u64 v[20:21], v[16:17], 2, s[18:19]
	v_lshl_add_u64 v[22:23], v[16:17], 3, s[16:17]
	s_mov_b32 s29, 0
	s_branch .LBB64_13
.LBB64_12:                              ;   in Loop: Header=BB64_13 Depth=2
	s_wait_xcnt 0x0
	s_or_b32 exec_lo, exec_lo, s0
	v_add_nc_u64_e32 v[16:17], 4, v[16:17]
	s_xor_b32 s21, vcc_lo, -1
	v_add_nc_u64_e32 v[20:21], 16, v[20:21]
	v_add_nc_u64_e32 v[22:23], 32, v[22:23]
	v_mov_b64_e32 v[24:25], v[28:29]
	s_delay_alu instid0(VALU_DEP_4) | instskip(SKIP_1) | instid1(SALU_CYCLE_1)
	v_cmp_ge_i64_e64 s0, v[16:17], v[2:3]
	s_or_b32 s0, s21, s0
	s_and_b32 s0, exec_lo, s0
	s_delay_alu instid0(SALU_CYCLE_1) | instskip(NEXT) | instid1(SALU_CYCLE_1)
	s_or_b32 s29, s0, s29
	s_and_not1_b32 exec_lo, exec_lo, s29
	s_cbranch_execz .LBB64_21
.LBB64_13:                              ;   Parent Loop BB64_10 Depth=1
                                        ; =>  This Inner Loop Header: Depth=2
	global_load_b64 v[26:27], v[22:23], off
                                        ; implicit-def: $vgpr28_vgpr29
	s_mov_b32 s0, exec_lo
	s_wait_loadcnt 0x0
	v_sub_nc_u64_e64 v[26:27], v[26:27], s[10:11]
	s_delay_alu instid0(VALU_DEP_1) | instskip(SKIP_1) | instid1(VALU_DEP_1)
	v_or_b32_e32 v7, s9, v27
	s_wait_xcnt 0x0
	v_cmpx_ne_u64_e32 0, v[6:7]
	s_xor_b32 s30, exec_lo, s0
	s_cbranch_execz .LBB64_15
; %bb.14:                               ;   in Loop: Header=BB64_13 Depth=2
	s_mov_b32 s21, s20
	v_dual_mov_b32 v43, v6 :: v_dual_ashrrev_i32 v28, 31, v27
	s_add_nc_u64 s[22:23], s[8:9], s[20:21]
	v_mov_b32_e32 v47, v6
	s_xor_b64 s[22:23], s[22:23], s[20:21]
	s_delay_alu instid0(VALU_DEP_2)
	v_mov_b32_e32 v29, v28
	s_cvt_f32_u32 s0, s22
	s_cvt_f32_u32 s21, s23
	s_sub_nc_u64 s[36:37], 0, s[22:23]
	v_mov_b32_e32 v51, v6
	v_add_nc_u64_e32 v[40:41], v[26:27], v[28:29]
	s_fmamk_f32 s0, s21, 0x4f800000, s0
	s_delay_alu instid0(SALU_CYCLE_3) | instskip(NEXT) | instid1(VALU_DEP_1)
	v_s_rcp_f32 s0, s0
	v_xor_b32_e32 v42, v40, v28
	s_delay_alu instid0(VALU_DEP_2) | instskip(NEXT) | instid1(TRANS32_DEP_1)
	v_xor_b32_e32 v46, v41, v28
	s_mul_f32 s0, s0, 0x5f7ffffc
	s_delay_alu instid0(SALU_CYCLE_3) | instskip(NEXT) | instid1(SALU_CYCLE_3)
	s_mul_f32 s21, s0, 0x2f800000
	s_trunc_f32 s21, s21
	s_delay_alu instid0(SALU_CYCLE_3) | instskip(SKIP_1) | instid1(SALU_CYCLE_2)
	s_fmamk_f32 s0, s21, 0xcf800000, s0
	s_cvt_u32_f32 s35, s21
	s_cvt_u32_f32 s34, s0
	s_delay_alu instid0(SALU_CYCLE_3) | instskip(NEXT) | instid1(SALU_CYCLE_1)
	s_mul_u64 s[38:39], s[36:37], s[34:35]
	s_mul_hi_u32 s41, s34, s39
	s_mul_i32 s40, s34, s39
	s_mul_hi_u32 s0, s34, s38
	s_mul_i32 s31, s35, s38
	s_add_nc_u64 s[40:41], s[0:1], s[40:41]
	s_mul_hi_u32 s21, s35, s38
	s_mul_hi_u32 s33, s35, s39
	s_add_co_u32 s0, s40, s31
	s_add_co_ci_u32 s0, s41, s21
	s_mul_i32 s38, s35, s39
	s_add_co_ci_u32 s39, s33, 0
	s_delay_alu instid0(SALU_CYCLE_1) | instskip(NEXT) | instid1(SALU_CYCLE_1)
	s_add_nc_u64 s[38:39], s[0:1], s[38:39]
	s_add_co_u32 s34, s34, s38
	s_cselect_b32 s0, -1, 0
	s_delay_alu instid0(SALU_CYCLE_1) | instskip(SKIP_1) | instid1(SALU_CYCLE_1)
	s_cmp_lg_u32 s0, 0
	s_add_co_ci_u32 s35, s35, s39
	s_mul_u64 s[36:37], s[36:37], s[34:35]
	s_delay_alu instid0(SALU_CYCLE_1)
	s_mul_hi_u32 s39, s34, s37
	s_mul_i32 s38, s34, s37
	s_mul_hi_u32 s0, s34, s36
	s_mul_i32 s31, s35, s36
	s_add_nc_u64 s[38:39], s[0:1], s[38:39]
	s_mul_hi_u32 s21, s35, s36
	s_mul_hi_u32 s33, s35, s37
	s_add_co_u32 s0, s38, s31
	s_add_co_ci_u32 s0, s39, s21
	s_mul_i32 s36, s35, s37
	s_add_co_ci_u32 s37, s33, 0
	s_delay_alu instid0(SALU_CYCLE_1) | instskip(NEXT) | instid1(SALU_CYCLE_1)
	s_add_nc_u64 s[36:37], s[0:1], s[36:37]
	s_add_co_u32 s34, s34, s36
	s_cselect_b32 s0, -1, 0
	v_mul_hi_u32 v50, v42, s34
	s_cmp_lg_u32 s0, 0
	s_add_co_ci_u32 s0, s35, s37
	s_and_b64 s[36:37], s[34:35], s[2:3]
	v_mul_u64_e32 v[44:45], s[0:1], v[42:43]
	v_mul_u64_e32 v[40:41], s[36:37], v[46:47]
	;; [unrolled: 1-line block ×3, first 2 shown]
	s_delay_alu instid0(VALU_DEP_3) | instskip(NEXT) | instid1(VALU_DEP_1)
	v_add_nc_u64_e32 v[44:45], v[50:51], v[44:45]
	v_add_co_u32 v7, vcc_lo, v44, v40
	s_delay_alu instid0(VALU_DEP_2) | instskip(NEXT) | instid1(VALU_DEP_4)
	v_add_co_ci_u32_e32 v50, vcc_lo, v45, v41, vcc_lo
	v_add_co_ci_u32_e32 v49, vcc_lo, 0, v49, vcc_lo
	s_delay_alu instid0(VALU_DEP_1) | instskip(NEXT) | instid1(VALU_DEP_1)
	v_add_nc_u64_e32 v[40:41], v[50:51], v[48:49]
	v_mul_u64_e32 v[44:45], s[22:23], v[40:41]
	s_delay_alu instid0(VALU_DEP_1) | instskip(NEXT) | instid1(VALU_DEP_2)
	v_sub_nc_u32_e32 v7, v46, v45
	v_sub_co_u32 v19, vcc_lo, v42, v44
	s_delay_alu instid0(VALU_DEP_1) | instskip(NEXT) | instid1(VALU_DEP_3)
	v_sub_co_ci_u32_e64 v29, null, v46, v45, vcc_lo
	v_subrev_co_ci_u32_e64 v7, null, s23, v7, vcc_lo
	s_delay_alu instid0(VALU_DEP_3) | instskip(SKIP_1) | instid1(VALU_DEP_3)
	v_sub_co_u32 v27, s0, v19, s22
	v_add_nc_u64_e32 v[44:45], 1, v[40:41]
	v_subrev_co_ci_u32_e64 v7, null, 0, v7, s0
	s_delay_alu instid0(VALU_DEP_3) | instskip(SKIP_1) | instid1(VALU_DEP_3)
	v_cmp_le_u32_e32 vcc_lo, s22, v27
	v_cndmask_b32_e64 v27, 0, -1, vcc_lo
	v_cmp_le_u32_e32 vcc_lo, s23, v7
	v_cndmask_b32_e64 v42, 0, -1, vcc_lo
	;; [unrolled: 2-line block ×4, first 2 shown]
	v_cmp_eq_u32_e32 vcc_lo, s23, v7
	v_cndmask_b32_e32 v7, v42, v27, vcc_lo
	v_cmp_eq_u32_e32 vcc_lo, s23, v29
	v_add_nc_u64_e32 v[42:43], 2, v[40:41]
	v_cndmask_b32_e32 v19, v46, v19, vcc_lo
	s_delay_alu instid0(VALU_DEP_4) | instskip(NEXT) | instid1(VALU_DEP_2)
	v_cmp_ne_u32_e32 vcc_lo, 0, v7
	v_cmp_ne_u32_e64 s0, 0, v19
	s_delay_alu instid0(VALU_DEP_4) | instskip(NEXT) | instid1(VALU_DEP_1)
	v_dual_cndmask_b32 v7, v45, v43, vcc_lo :: v_dual_cndmask_b32 v19, v44, v42, vcc_lo
	v_dual_cndmask_b32 v7, v41, v7, s0 :: v_dual_bitop2_b32 v28, s20, v28 bitop3:0x14
	s_delay_alu instid0(VALU_DEP_1) | instskip(NEXT) | instid1(VALU_DEP_1)
	v_dual_cndmask_b32 v19, v40, v19, s0 :: v_dual_bitop2_b32 v41, v7, v28 bitop3:0x14
	v_dual_mov_b32 v29, v28 :: v_dual_bitop2_b32 v40, v19, v28 bitop3:0x14
	s_delay_alu instid0(VALU_DEP_1)
	v_sub_nc_u64_e32 v[28:29], v[40:41], v[28:29]
.LBB64_15:                              ;   in Loop: Header=BB64_13 Depth=2
	s_and_not1_saveexec_b32 s0, s30
	s_cbranch_execz .LBB64_17
; %bb.16:                               ;   in Loop: Header=BB64_13 Depth=2
	v_cvt_f32_u32_e32 v7, s8
	v_mov_b32_e32 v29, v6
	s_delay_alu instid0(VALU_DEP_2) | instskip(SKIP_1) | instid1(TRANS32_DEP_1)
	v_rcp_iflag_f32_e32 v7, v7
	v_nop
	v_mul_f32_e32 v7, 0x4f7ffffe, v7
	s_delay_alu instid0(VALU_DEP_1) | instskip(NEXT) | instid1(VALU_DEP_1)
	v_cvt_u32_f32_e32 v7, v7
	v_mul_lo_u32 v19, s26, v7
	s_delay_alu instid0(VALU_DEP_1) | instskip(NEXT) | instid1(VALU_DEP_1)
	v_mul_hi_u32 v19, v7, v19
	v_add_nc_u32_e32 v7, v7, v19
	s_delay_alu instid0(VALU_DEP_1) | instskip(NEXT) | instid1(VALU_DEP_1)
	v_mul_hi_u32 v7, v26, v7
	v_mul_lo_u32 v19, v7, s8
	s_delay_alu instid0(VALU_DEP_1) | instskip(NEXT) | instid1(VALU_DEP_1)
	v_sub_nc_u32_e32 v19, v26, v19
	v_subrev_nc_u32_e32 v28, s8, v19
	v_cmp_le_u32_e32 vcc_lo, s8, v19
	s_delay_alu instid0(VALU_DEP_2) | instskip(NEXT) | instid1(VALU_DEP_1)
	v_dual_add_nc_u32 v27, 1, v7 :: v_dual_cndmask_b32 v19, v19, v28, vcc_lo
	v_cndmask_b32_e32 v7, v7, v27, vcc_lo
	s_delay_alu instid0(VALU_DEP_2) | instskip(NEXT) | instid1(VALU_DEP_2)
	v_cmp_le_u32_e32 vcc_lo, s8, v19
	v_add_nc_u32_e32 v27, 1, v7
	s_delay_alu instid0(VALU_DEP_1)
	v_cndmask_b32_e32 v28, v7, v27, vcc_lo
.LBB64_17:                              ;   in Loop: Header=BB64_13 Depth=2
	s_or_b32 exec_lo, exec_lo, s0
	s_delay_alu instid0(VALU_DEP_1) | instskip(SKIP_2) | instid1(SALU_CYCLE_1)
	v_cmp_ne_u64_e64 s0, v[28:29], v[14:15]
	v_cmp_eq_u64_e32 vcc_lo, v[28:29], v[14:15]
	s_and_saveexec_b32 s21, s0
	s_xor_b32 s0, exec_lo, s21
; %bb.18:                               ;   in Loop: Header=BB64_13 Depth=2
	v_min_i64 v[12:13], v[28:29], v[12:13]
                                        ; implicit-def: $vgpr26_vgpr27
                                        ; implicit-def: $vgpr24_vgpr25
; %bb.19:                               ;   in Loop: Header=BB64_13 Depth=2
	s_or_saveexec_b32 s0, s0
	v_mov_b64_e32 v[28:29], v[16:17]
	s_xor_b32 exec_lo, exec_lo, s0
	s_cbranch_execz .LBB64_12
; %bb.20:                               ;   in Loop: Header=BB64_13 Depth=2
	global_load_b32 v7, v[20:21], off
	v_sub_nc_u32_e32 v19, v26, v18
	v_mov_b64_e32 v[28:29], v[24:25]
	s_delay_alu instid0(VALU_DEP_2)
	v_lshl_add_u32 v19, v19, 2, v31
	ds_store_b8 v30, v39 offset:1024
	s_wait_loadcnt 0x0
	ds_store_b32 v19, v7
	s_branch .LBB64_12
.LBB64_21:                              ;   in Loop: Header=BB64_10 Depth=1
	s_or_b32 exec_lo, exec_lo, s29
.LBB64_22:                              ;   in Loop: Header=BB64_10 Depth=1
	s_delay_alu instid0(SALU_CYCLE_1)
	s_or_b32 exec_lo, exec_lo, s28
	ds_bpermute_b32 v16, v34, v28
	ds_bpermute_b32 v17, v34, v29
	s_wait_dscnt 0x0
	ds_load_u8 v7, v30 offset:1024
	s_mov_b32 s0, exec_lo
	v_min_i64 v[16:17], v[16:17], v[28:29]
	s_wait_dscnt 0x0
	v_and_b32_e32 v7, 1, v7
	ds_bpermute_b32 v18, v35, v16
	ds_bpermute_b32 v19, v35, v17
	s_wait_dscnt 0x0
	v_min_i64 v[16:17], v[18:19], v[16:17]
	v_mov_b64_e32 v[18:19], 0
	ds_bpermute_b32 v16, v33, v16
	ds_bpermute_b32 v17, v33, v17
	v_cmpx_eq_u32_e32 1, v7
	s_cbranch_execz .LBB64_9
; %bb.23:                               ;   in Loop: Header=BB64_10 Depth=1
	v_add_nc_u64_e32 v[14:15], s[12:13], v[14:15]
	v_lshl_add_u64 v[18:19], v[4:5], 3, s[4:5]
	global_store_b64 v[18:19], v[14:15], off
	s_wait_xcnt 0x0
	s_and_saveexec_b32 s21, s24
	s_cbranch_execz .LBB64_8
; %bb.24:                               ;   in Loop: Header=BB64_10 Depth=1
	v_mul_u64_e32 v[14:15], s[14:15], v[4:5]
	ds_load_b32 v7, v32
	s_and_b32 vcc_lo, exec_lo, s25
	s_cbranch_vccz .LBB64_26
; %bb.25:                               ;   in Loop: Header=BB64_10 Depth=1
	v_lshl_add_u64 v[18:19], v[14:15], 2, v[10:11]
	s_wait_dscnt 0x0
	global_store_b32 v[18:19], v7, off
	s_cbranch_execnz .LBB64_8
	s_branch .LBB64_27
.LBB64_26:                              ;   in Loop: Header=BB64_10 Depth=1
.LBB64_27:                              ;   in Loop: Header=BB64_10 Depth=1
	v_lshl_add_u64 v[14:15], v[14:15], 2, v[0:1]
	s_wait_dscnt 0x0
	global_store_b32 v[14:15], v7, off
	s_branch .LBB64_8
.LBB64_28:
	s_endpgm
	.section	.rodata,"a",@progbits
	.p2align	6, 0x0
	.amdhsa_kernel _ZN9rocsparseL42csr2bsr_wavefront_per_row_multipass_kernelILj256ELj16ELj4EfllEEv20rocsparse_direction_T4_S2_S2_S2_S2_21rocsparse_index_base_PKT2_PKT3_PKS2_S3_PS4_PS7_PS2_
		.amdhsa_group_segment_fixed_size 1040
		.amdhsa_private_segment_fixed_size 0
		.amdhsa_kernarg_size 112
		.amdhsa_user_sgpr_count 2
		.amdhsa_user_sgpr_dispatch_ptr 0
		.amdhsa_user_sgpr_queue_ptr 0
		.amdhsa_user_sgpr_kernarg_segment_ptr 1
		.amdhsa_user_sgpr_dispatch_id 0
		.amdhsa_user_sgpr_kernarg_preload_length 0
		.amdhsa_user_sgpr_kernarg_preload_offset 0
		.amdhsa_user_sgpr_private_segment_size 0
		.amdhsa_wavefront_size32 1
		.amdhsa_uses_dynamic_stack 0
		.amdhsa_enable_private_segment 0
		.amdhsa_system_sgpr_workgroup_id_x 1
		.amdhsa_system_sgpr_workgroup_id_y 0
		.amdhsa_system_sgpr_workgroup_id_z 0
		.amdhsa_system_sgpr_workgroup_info 0
		.amdhsa_system_vgpr_workitem_id 0
		.amdhsa_next_free_vgpr 52
		.amdhsa_next_free_sgpr 42
		.amdhsa_named_barrier_count 0
		.amdhsa_reserve_vcc 1
		.amdhsa_float_round_mode_32 0
		.amdhsa_float_round_mode_16_64 0
		.amdhsa_float_denorm_mode_32 3
		.amdhsa_float_denorm_mode_16_64 3
		.amdhsa_fp16_overflow 0
		.amdhsa_memory_ordered 1
		.amdhsa_forward_progress 1
		.amdhsa_inst_pref_size 17
		.amdhsa_round_robin_scheduling 0
		.amdhsa_exception_fp_ieee_invalid_op 0
		.amdhsa_exception_fp_denorm_src 0
		.amdhsa_exception_fp_ieee_div_zero 0
		.amdhsa_exception_fp_ieee_overflow 0
		.amdhsa_exception_fp_ieee_underflow 0
		.amdhsa_exception_fp_ieee_inexact 0
		.amdhsa_exception_int_div_zero 0
	.end_amdhsa_kernel
	.section	.text._ZN9rocsparseL42csr2bsr_wavefront_per_row_multipass_kernelILj256ELj16ELj4EfllEEv20rocsparse_direction_T4_S2_S2_S2_S2_21rocsparse_index_base_PKT2_PKT3_PKS2_S3_PS4_PS7_PS2_,"axG",@progbits,_ZN9rocsparseL42csr2bsr_wavefront_per_row_multipass_kernelILj256ELj16ELj4EfllEEv20rocsparse_direction_T4_S2_S2_S2_S2_21rocsparse_index_base_PKT2_PKT3_PKS2_S3_PS4_PS7_PS2_,comdat
.Lfunc_end64:
	.size	_ZN9rocsparseL42csr2bsr_wavefront_per_row_multipass_kernelILj256ELj16ELj4EfllEEv20rocsparse_direction_T4_S2_S2_S2_S2_21rocsparse_index_base_PKT2_PKT3_PKS2_S3_PS4_PS7_PS2_, .Lfunc_end64-_ZN9rocsparseL42csr2bsr_wavefront_per_row_multipass_kernelILj256ELj16ELj4EfllEEv20rocsparse_direction_T4_S2_S2_S2_S2_21rocsparse_index_base_PKT2_PKT3_PKS2_S3_PS4_PS7_PS2_
                                        ; -- End function
	.set _ZN9rocsparseL42csr2bsr_wavefront_per_row_multipass_kernelILj256ELj16ELj4EfllEEv20rocsparse_direction_T4_S2_S2_S2_S2_21rocsparse_index_base_PKT2_PKT3_PKS2_S3_PS4_PS7_PS2_.num_vgpr, 52
	.set _ZN9rocsparseL42csr2bsr_wavefront_per_row_multipass_kernelILj256ELj16ELj4EfllEEv20rocsparse_direction_T4_S2_S2_S2_S2_21rocsparse_index_base_PKT2_PKT3_PKS2_S3_PS4_PS7_PS2_.num_agpr, 0
	.set _ZN9rocsparseL42csr2bsr_wavefront_per_row_multipass_kernelILj256ELj16ELj4EfllEEv20rocsparse_direction_T4_S2_S2_S2_S2_21rocsparse_index_base_PKT2_PKT3_PKS2_S3_PS4_PS7_PS2_.numbered_sgpr, 42
	.set _ZN9rocsparseL42csr2bsr_wavefront_per_row_multipass_kernelILj256ELj16ELj4EfllEEv20rocsparse_direction_T4_S2_S2_S2_S2_21rocsparse_index_base_PKT2_PKT3_PKS2_S3_PS4_PS7_PS2_.num_named_barrier, 0
	.set _ZN9rocsparseL42csr2bsr_wavefront_per_row_multipass_kernelILj256ELj16ELj4EfllEEv20rocsparse_direction_T4_S2_S2_S2_S2_21rocsparse_index_base_PKT2_PKT3_PKS2_S3_PS4_PS7_PS2_.private_seg_size, 0
	.set _ZN9rocsparseL42csr2bsr_wavefront_per_row_multipass_kernelILj256ELj16ELj4EfllEEv20rocsparse_direction_T4_S2_S2_S2_S2_21rocsparse_index_base_PKT2_PKT3_PKS2_S3_PS4_PS7_PS2_.uses_vcc, 1
	.set _ZN9rocsparseL42csr2bsr_wavefront_per_row_multipass_kernelILj256ELj16ELj4EfllEEv20rocsparse_direction_T4_S2_S2_S2_S2_21rocsparse_index_base_PKT2_PKT3_PKS2_S3_PS4_PS7_PS2_.uses_flat_scratch, 0
	.set _ZN9rocsparseL42csr2bsr_wavefront_per_row_multipass_kernelILj256ELj16ELj4EfllEEv20rocsparse_direction_T4_S2_S2_S2_S2_21rocsparse_index_base_PKT2_PKT3_PKS2_S3_PS4_PS7_PS2_.has_dyn_sized_stack, 0
	.set _ZN9rocsparseL42csr2bsr_wavefront_per_row_multipass_kernelILj256ELj16ELj4EfllEEv20rocsparse_direction_T4_S2_S2_S2_S2_21rocsparse_index_base_PKT2_PKT3_PKS2_S3_PS4_PS7_PS2_.has_recursion, 0
	.set _ZN9rocsparseL42csr2bsr_wavefront_per_row_multipass_kernelILj256ELj16ELj4EfllEEv20rocsparse_direction_T4_S2_S2_S2_S2_21rocsparse_index_base_PKT2_PKT3_PKS2_S3_PS4_PS7_PS2_.has_indirect_call, 0
	.section	.AMDGPU.csdata,"",@progbits
; Kernel info:
; codeLenInByte = 2144
; TotalNumSgprs: 44
; NumVgprs: 52
; ScratchSize: 0
; MemoryBound: 0
; FloatMode: 240
; IeeeMode: 1
; LDSByteSize: 1040 bytes/workgroup (compile time only)
; SGPRBlocks: 0
; VGPRBlocks: 3
; NumSGPRsForWavesPerEU: 44
; NumVGPRsForWavesPerEU: 52
; NamedBarCnt: 0
; Occupancy: 16
; WaveLimiterHint : 0
; COMPUTE_PGM_RSRC2:SCRATCH_EN: 0
; COMPUTE_PGM_RSRC2:USER_SGPR: 2
; COMPUTE_PGM_RSRC2:TRAP_HANDLER: 0
; COMPUTE_PGM_RSRC2:TGID_X_EN: 1
; COMPUTE_PGM_RSRC2:TGID_Y_EN: 0
; COMPUTE_PGM_RSRC2:TGID_Z_EN: 0
; COMPUTE_PGM_RSRC2:TIDIG_COMP_CNT: 0
	.section	.text._ZN9rocsparseL42csr2bsr_wavefront_per_row_multipass_kernelILj256ELj64ELj8EfllEEv20rocsparse_direction_T4_S2_S2_S2_S2_21rocsparse_index_base_PKT2_PKT3_PKS2_S3_PS4_PS7_PS2_,"axG",@progbits,_ZN9rocsparseL42csr2bsr_wavefront_per_row_multipass_kernelILj256ELj64ELj8EfllEEv20rocsparse_direction_T4_S2_S2_S2_S2_21rocsparse_index_base_PKT2_PKT3_PKS2_S3_PS4_PS7_PS2_,comdat
	.globl	_ZN9rocsparseL42csr2bsr_wavefront_per_row_multipass_kernelILj256ELj64ELj8EfllEEv20rocsparse_direction_T4_S2_S2_S2_S2_21rocsparse_index_base_PKT2_PKT3_PKS2_S3_PS4_PS7_PS2_ ; -- Begin function _ZN9rocsparseL42csr2bsr_wavefront_per_row_multipass_kernelILj256ELj64ELj8EfllEEv20rocsparse_direction_T4_S2_S2_S2_S2_21rocsparse_index_base_PKT2_PKT3_PKS2_S3_PS4_PS7_PS2_
	.p2align	8
	.type	_ZN9rocsparseL42csr2bsr_wavefront_per_row_multipass_kernelILj256ELj64ELj8EfllEEv20rocsparse_direction_T4_S2_S2_S2_S2_21rocsparse_index_base_PKT2_PKT3_PKS2_S3_PS4_PS7_PS2_,@function
_ZN9rocsparseL42csr2bsr_wavefront_per_row_multipass_kernelILj256ELj64ELj8EfllEEv20rocsparse_direction_T4_S2_S2_S2_S2_21rocsparse_index_base_PKT2_PKT3_PKS2_S3_PS4_PS7_PS2_: ; @_ZN9rocsparseL42csr2bsr_wavefront_per_row_multipass_kernelILj256ELj64ELj8EfllEEv20rocsparse_direction_T4_S2_S2_S2_S2_21rocsparse_index_base_PKT2_PKT3_PKS2_S3_PS4_PS7_PS2_
; %bb.0:
	s_bfe_u32 s2, ttmp6, 0x4000c
	s_clause 0x1
	s_load_b96 s[8:10], s[0:1], 0x28
	s_load_b64 s[12:13], s[0:1], 0x40
	s_add_co_i32 s2, s2, 1
	s_and_b32 s3, ttmp6, 15
	s_mul_i32 s2, ttmp9, s2
	s_getreg_b32 s4, hwreg(HW_REG_IB_STS2, 6, 4)
	s_add_co_i32 s3, s3, s2
	s_cmp_eq_u32 s4, 0
	v_dual_mov_b32 v11, 0 :: v_dual_lshrrev_b32 v30, 6, v0
	s_cselect_b32 s14, ttmp9, s3
	v_bfe_u32 v10, v0, 3, 3
	s_ashr_i32 s15, s14, 31
	v_mov_b64_e32 v[16:17], 0
	s_lshl_b64 s[2:3], s[14:15], 2
	s_mov_b32 s11, 0
	v_or_b32_e32 v1, s2, v30
	s_load_b128 s[4:7], s[0:1], 0x18
	s_wait_kmcnt 0x0
	s_delay_alu instid0(VALU_DEP_1) | instskip(NEXT) | instid1(VALU_DEP_1)
	v_mad_nc_u64_u32 v[4:5], v1, s8, v[10:11]
	v_mad_u32 v2, s3, s8, v5
	s_load_b64 s[2:3], s[0:1], 0x8
	s_delay_alu instid0(VALU_DEP_1) | instskip(SKIP_2) | instid1(VALU_DEP_2)
	v_mad_u32 v5, v1, s9, v2
	v_mov_b64_e32 v[2:3], 0
	s_wait_kmcnt 0x0
	v_cmp_gt_i64_e32 vcc_lo, s[2:3], v[4:5]
	v_cmp_gt_i64_e64 s2, s[8:9], v[10:11]
	s_and_b32 s3, s2, vcc_lo
	s_delay_alu instid0(SALU_CYCLE_1)
	s_and_saveexec_b32 s15, s3
	s_cbranch_execz .LBB65_2
; %bb.1:
	v_lshl_add_u64 v[6:7], v[4:5], 3, s[12:13]
	global_load_b64 v[6:7], v[6:7], off
	s_wait_loadcnt 0x0
	v_sub_nc_u64_e64 v[16:17], v[6:7], s[10:11]
.LBB65_2:
	s_or_b32 exec_lo, exec_lo, s15
	s_and_saveexec_b32 s15, s3
	s_cbranch_execz .LBB65_4
; %bb.3:
	v_lshl_add_u64 v[2:3], v[4:5], 3, s[12:13]
	global_load_b64 v[2:3], v[2:3], off offset:8
	s_wait_loadcnt 0x0
	v_sub_nc_u64_e64 v[2:3], v[2:3], s[10:11]
.LBB65_4:
	s_or_b32 exec_lo, exec_lo, s15
	s_load_b32 s12, s[0:1], 0x50
	v_mov_b64_e32 v[4:5], 0
	v_lshl_or_b32 v6, s14, 2, v30
	v_mov_b32_e32 v7, 0
	s_mov_b32 s3, exec_lo
	s_delay_alu instid0(VALU_DEP_1)
	v_cmpx_gt_i64_e64 s[4:5], v[6:7]
	s_cbranch_execz .LBB65_6
; %bb.5:
	s_load_b64 s[4:5], s[0:1], 0x60
	s_mov_b32 s13, 0
	s_wait_kmcnt 0x0
	v_lshl_add_u64 v[4:5], v[6:7], 3, s[4:5]
	global_load_b64 v[4:5], v[4:5], off
	s_wait_loadcnt 0x0
	v_sub_nc_u64_e64 v[4:5], v[4:5], s[12:13]
.LBB65_6:
	s_or_b32 exec_lo, exec_lo, s3
	v_cmp_lt_i64_e64 s3, s[6:7], 1
	s_and_b32 vcc_lo, exec_lo, s3
	s_cbranch_vccnz .LBB65_28
; %bb.7:
	v_dual_mov_b32 v6, 0 :: v_dual_bitop2_b32 v8, 7, v0 bitop3:0x40
	v_and_b32_e32 v1, 0x3c0, v0
	v_mbcnt_lo_u32_b32 v18, -1, 0
	v_mul_u64_e32 v[12:13], s[8:9], v[10:11]
	s_delay_alu instid0(VALU_DEP_4)
	v_dual_mov_b32 v9, v6 :: v_dual_lshlrev_b32 v7, 5, v10
	s_clause 0x4
	s_load_b64 s[4:5], s[0:1], 0x68
	s_load_b64 s[20:21], s[0:1], 0x58
	;; [unrolled: 1-line block ×4, first 2 shown]
	s_load_b32 s3, s[0:1], 0x0
	v_dual_lshlrev_b32 v0, 2, v10 :: v_dual_lshlrev_b32 v10, 2, v8
	v_lshl_or_b32 v31, v1, 2, v7
	v_dual_mov_b32 v1, v6 :: v_dual_bitop2_b32 v7, 4, v18 bitop3:0x14
	v_mul_u64_e32 v[14:15], s[8:9], v[8:9]
	v_lshl_or_b32 v32, v18, 2, 28
	v_bfrev_b32_e32 v40, 0.5
	s_delay_alu instid0(VALU_DEP_4)
	v_cmp_gt_i32_e32 vcc_lo, 32, v7
	v_xor_b32_e32 v11, 2, v18
	s_wait_xcnt 0x0
	s_mov_b32 s1, 0
	s_mul_u64 s[14:15], s[8:9], s[8:9]
	s_mov_b32 s11, s1
	v_cndmask_b32_e32 v7, v18, v7, vcc_lo
	v_cmp_gt_i32_e64 s0, 32, v11
	v_xor_b32_e32 v19, 1, v18
	v_cmp_gt_i64_e32 vcc_lo, s[8:9], v[8:9]
	s_delay_alu instid0(VALU_DEP_4) | instskip(NEXT) | instid1(VALU_DEP_4)
	v_dual_lshlrev_b32 v34, 2, v7 :: v_dual_bitop2_b32 v21, 16, v18 bitop3:0x14
	v_cndmask_b32_e64 v11, v18, v11, s0
	s_delay_alu instid0(VALU_DEP_4)
	v_cmp_gt_i32_e64 s0, 32, v19
	v_or_b32_e32 v20, 32, v18
	v_or_b32_e32 v33, v31, v10
	s_and_b32 s24, s2, vcc_lo
	v_lshlrev_b32_e32 v35, 2, v11
	v_cndmask_b32_e64 v19, v18, v19, s0
	v_cmp_gt_i32_e32 vcc_lo, 32, v20
	v_xor_b32_e32 v7, 8, v18
	s_wait_kmcnt 0x0
	v_lshl_add_u64 v[12:13], v[12:13], 2, s[20:21]
	v_dual_mov_b32 v11, v6 :: v_dual_lshlrev_b32 v36, 2, v19
	v_cndmask_b32_e32 v19, v18, v20, vcc_lo
	v_cmp_gt_i32_e32 vcc_lo, 32, v21
	s_cmp_lg_u32 s3, 0
	s_delay_alu instid0(VALU_DEP_3)
	v_add_nc_u64_e32 v[10:11], v[12:13], v[10:11]
	s_mov_b32 s13, s1
	s_cselect_b32 s25, -1, 0
	v_cndmask_b32_e32 v20, v18, v21, vcc_lo
	v_cmp_gt_i32_e32 vcc_lo, 32, v7
	v_lshl_add_u64 v[14:15], v[14:15], 2, s[20:21]
	s_mov_b64 s[2:3], 0xffffffff
	v_mov_b32_e32 v41, 1
	s_ashr_i32 s20, s9, 31
	v_cndmask_b32_e32 v7, v18, v7, vcc_lo
	v_add_nc_u64_e32 v[0:1], v[14:15], v[0:1]
	v_mov_b64_e32 v[14:15], 0
	v_dual_lshlrev_b32 v37, 2, v19 :: v_dual_lshlrev_b32 v38, 2, v20
	s_delay_alu instid0(VALU_DEP_4)
	v_lshlrev_b32_e32 v39, 2, v7
	s_sub_co_i32 s26, 0, s8
	s_mov_b32 s27, 0
	s_branch .LBB65_10
.LBB65_8:                               ;   in Loop: Header=BB65_10 Depth=1
	s_wait_xcnt 0x0
	s_or_b32 exec_lo, exec_lo, s21
	v_mov_b64_e32 v[18:19], 1
.LBB65_9:                               ;   in Loop: Header=BB65_10 Depth=1
	s_or_b32 exec_lo, exec_lo, s0
	ds_bpermute_b32 v14, v37, v12
	ds_bpermute_b32 v15, v37, v13
	v_add_nc_u64_e32 v[4:5], v[18:19], v[4:5]
	s_wait_storecnt_dscnt 0x0
	v_min_i64 v[12:13], v[14:15], v[12:13]
	ds_bpermute_b32 v14, v38, v12
	ds_bpermute_b32 v15, v38, v13
	s_wait_dscnt 0x0
	v_min_i64 v[12:13], v[14:15], v[12:13]
	ds_bpermute_b32 v14, v39, v12
	ds_bpermute_b32 v15, v39, v13
	s_wait_dscnt 0x0
	;; [unrolled: 4-line block ×6, first 2 shown]
	v_cmp_le_i64_e32 vcc_lo, s[6:7], v[14:15]
	s_or_b32 s27, vcc_lo, s27
	s_delay_alu instid0(SALU_CYCLE_1)
	s_and_not1_b32 exec_lo, exec_lo, s27
	s_cbranch_execz .LBB65_28
.LBB65_10:                              ; =>This Loop Header: Depth=1
                                        ;     Child Loop BB65_13 Depth 2
	v_add_nc_u64_e32 v[16:17], v[16:17], v[8:9]
	v_mov_b64_e32 v[12:13], s[6:7]
	v_mov_b64_e32 v[28:29], v[2:3]
	s_mov_b32 s28, exec_lo
	ds_store_b8 v30, v6 offset:1024
	ds_store_b32 v33, v6
	s_wait_dscnt 0x0
	v_cmpx_lt_i64_e64 v[16:17], v[2:3]
	s_cbranch_execz .LBB65_22
; %bb.11:                               ;   in Loop: Header=BB65_10 Depth=1
	v_mul_u64_e32 v[18:19], s[8:9], v[14:15]
	v_mov_b64_e32 v[12:13], s[6:7]
	v_mov_b64_e32 v[24:25], v[2:3]
	v_lshl_add_u64 v[20:21], v[16:17], 2, s[18:19]
	v_lshl_add_u64 v[22:23], v[16:17], 3, s[16:17]
	s_mov_b32 s29, 0
	s_branch .LBB65_13
.LBB65_12:                              ;   in Loop: Header=BB65_13 Depth=2
	s_wait_xcnt 0x0
	s_or_b32 exec_lo, exec_lo, s0
	v_add_nc_u64_e32 v[16:17], 8, v[16:17]
	s_xor_b32 s21, vcc_lo, -1
	v_add_nc_u64_e32 v[20:21], 32, v[20:21]
	v_add_nc_u64_e32 v[22:23], 64, v[22:23]
	v_mov_b64_e32 v[24:25], v[28:29]
	s_delay_alu instid0(VALU_DEP_4) | instskip(SKIP_1) | instid1(SALU_CYCLE_1)
	v_cmp_ge_i64_e64 s0, v[16:17], v[2:3]
	s_or_b32 s0, s21, s0
	s_and_b32 s0, exec_lo, s0
	s_delay_alu instid0(SALU_CYCLE_1) | instskip(NEXT) | instid1(SALU_CYCLE_1)
	s_or_b32 s29, s0, s29
	s_and_not1_b32 exec_lo, exec_lo, s29
	s_cbranch_execz .LBB65_21
.LBB65_13:                              ;   Parent Loop BB65_10 Depth=1
                                        ; =>  This Inner Loop Header: Depth=2
	global_load_b64 v[26:27], v[22:23], off
                                        ; implicit-def: $vgpr28_vgpr29
	s_mov_b32 s0, exec_lo
	s_wait_loadcnt 0x0
	v_sub_nc_u64_e64 v[26:27], v[26:27], s[10:11]
	s_delay_alu instid0(VALU_DEP_1) | instskip(SKIP_1) | instid1(VALU_DEP_1)
	v_or_b32_e32 v7, s9, v27
	s_wait_xcnt 0x0
	v_cmpx_ne_u64_e32 0, v[6:7]
	s_xor_b32 s30, exec_lo, s0
	s_cbranch_execz .LBB65_15
; %bb.14:                               ;   in Loop: Header=BB65_13 Depth=2
	s_mov_b32 s21, s20
	v_dual_mov_b32 v45, v6 :: v_dual_ashrrev_i32 v28, 31, v27
	s_add_nc_u64 s[22:23], s[8:9], s[20:21]
	s_delay_alu instid0(SALU_CYCLE_1) | instskip(NEXT) | instid1(VALU_DEP_1)
	s_xor_b64 s[22:23], s[22:23], s[20:21]
	v_mov_b32_e32 v29, v28
	s_cvt_f32_u32 s0, s22
	s_cvt_f32_u32 s21, s23
	s_sub_nc_u64 s[36:37], 0, s[22:23]
	s_delay_alu instid0(VALU_DEP_1) | instskip(NEXT) | instid1(SALU_CYCLE_1)
	v_add_nc_u64_e32 v[42:43], v[26:27], v[28:29]
	s_fmamk_f32 s0, s21, 0x4f800000, s0
	v_mov_b32_e32 v49, v6
	s_delay_alu instid0(SALU_CYCLE_2) | instskip(NEXT) | instid1(VALU_DEP_2)
	v_s_rcp_f32 s0, s0
	v_xor_b32_e32 v44, v42, v28
	s_delay_alu instid0(VALU_DEP_3) | instskip(NEXT) | instid1(TRANS32_DEP_1)
	v_dual_mov_b32 v53, v6 :: v_dual_bitop2_b32 v48, v43, v28 bitop3:0x14
	s_mul_f32 s0, s0, 0x5f7ffffc
	s_delay_alu instid0(SALU_CYCLE_3) | instskip(NEXT) | instid1(SALU_CYCLE_3)
	s_mul_f32 s21, s0, 0x2f800000
	s_trunc_f32 s21, s21
	s_delay_alu instid0(SALU_CYCLE_3) | instskip(SKIP_1) | instid1(SALU_CYCLE_2)
	s_fmamk_f32 s0, s21, 0xcf800000, s0
	s_cvt_u32_f32 s35, s21
	s_cvt_u32_f32 s34, s0
	s_delay_alu instid0(SALU_CYCLE_3) | instskip(NEXT) | instid1(SALU_CYCLE_1)
	s_mul_u64 s[38:39], s[36:37], s[34:35]
	s_mul_hi_u32 s41, s34, s39
	s_mul_i32 s40, s34, s39
	s_mul_hi_u32 s0, s34, s38
	s_mul_i32 s31, s35, s38
	s_add_nc_u64 s[40:41], s[0:1], s[40:41]
	s_mul_hi_u32 s21, s35, s38
	s_mul_hi_u32 s33, s35, s39
	s_add_co_u32 s0, s40, s31
	s_add_co_ci_u32 s0, s41, s21
	s_mul_i32 s38, s35, s39
	s_add_co_ci_u32 s39, s33, 0
	s_delay_alu instid0(SALU_CYCLE_1) | instskip(NEXT) | instid1(SALU_CYCLE_1)
	s_add_nc_u64 s[38:39], s[0:1], s[38:39]
	s_add_co_u32 s34, s34, s38
	s_cselect_b32 s0, -1, 0
	s_delay_alu instid0(SALU_CYCLE_1) | instskip(SKIP_1) | instid1(SALU_CYCLE_1)
	s_cmp_lg_u32 s0, 0
	s_add_co_ci_u32 s35, s35, s39
	s_mul_u64 s[36:37], s[36:37], s[34:35]
	s_delay_alu instid0(SALU_CYCLE_1)
	s_mul_hi_u32 s39, s34, s37
	s_mul_i32 s38, s34, s37
	s_mul_hi_u32 s0, s34, s36
	s_mul_i32 s31, s35, s36
	s_add_nc_u64 s[38:39], s[0:1], s[38:39]
	s_mul_hi_u32 s21, s35, s36
	s_mul_hi_u32 s33, s35, s37
	s_add_co_u32 s0, s38, s31
	s_add_co_ci_u32 s0, s39, s21
	s_mul_i32 s36, s35, s37
	s_add_co_ci_u32 s37, s33, 0
	s_delay_alu instid0(SALU_CYCLE_1) | instskip(NEXT) | instid1(SALU_CYCLE_1)
	s_add_nc_u64 s[36:37], s[0:1], s[36:37]
	s_add_co_u32 s34, s34, s36
	s_cselect_b32 s0, -1, 0
	v_mul_hi_u32 v52, v44, s34
	s_cmp_lg_u32 s0, 0
	s_add_co_ci_u32 s0, s35, s37
	s_and_b64 s[36:37], s[34:35], s[2:3]
	v_mul_u64_e32 v[46:47], s[0:1], v[44:45]
	v_mul_u64_e32 v[42:43], s[36:37], v[48:49]
	;; [unrolled: 1-line block ×3, first 2 shown]
	s_delay_alu instid0(VALU_DEP_3) | instskip(NEXT) | instid1(VALU_DEP_1)
	v_add_nc_u64_e32 v[46:47], v[52:53], v[46:47]
	v_add_co_u32 v7, vcc_lo, v46, v42
	s_delay_alu instid0(VALU_DEP_2) | instskip(NEXT) | instid1(VALU_DEP_4)
	v_add_co_ci_u32_e32 v52, vcc_lo, v47, v43, vcc_lo
	v_add_co_ci_u32_e32 v51, vcc_lo, 0, v51, vcc_lo
	s_delay_alu instid0(VALU_DEP_1) | instskip(NEXT) | instid1(VALU_DEP_1)
	v_add_nc_u64_e32 v[42:43], v[52:53], v[50:51]
	v_mul_u64_e32 v[46:47], s[22:23], v[42:43]
	s_delay_alu instid0(VALU_DEP_1) | instskip(NEXT) | instid1(VALU_DEP_2)
	v_sub_nc_u32_e32 v7, v48, v47
	v_sub_co_u32 v19, vcc_lo, v44, v46
	s_delay_alu instid0(VALU_DEP_1) | instskip(NEXT) | instid1(VALU_DEP_3)
	v_sub_co_ci_u32_e64 v29, null, v48, v47, vcc_lo
	v_subrev_co_ci_u32_e64 v7, null, s23, v7, vcc_lo
	s_delay_alu instid0(VALU_DEP_3) | instskip(SKIP_1) | instid1(VALU_DEP_3)
	v_sub_co_u32 v27, s0, v19, s22
	v_add_nc_u64_e32 v[46:47], 1, v[42:43]
	v_subrev_co_ci_u32_e64 v7, null, 0, v7, s0
	s_delay_alu instid0(VALU_DEP_3) | instskip(SKIP_1) | instid1(VALU_DEP_3)
	v_cmp_le_u32_e32 vcc_lo, s22, v27
	v_cndmask_b32_e64 v27, 0, -1, vcc_lo
	v_cmp_le_u32_e32 vcc_lo, s23, v7
	v_cndmask_b32_e64 v44, 0, -1, vcc_lo
	;; [unrolled: 2-line block ×4, first 2 shown]
	v_cmp_eq_u32_e32 vcc_lo, s23, v7
	v_cndmask_b32_e32 v7, v44, v27, vcc_lo
	v_cmp_eq_u32_e32 vcc_lo, s23, v29
	v_add_nc_u64_e32 v[44:45], 2, v[42:43]
	v_cndmask_b32_e32 v19, v48, v19, vcc_lo
	s_delay_alu instid0(VALU_DEP_4) | instskip(NEXT) | instid1(VALU_DEP_3)
	v_cmp_ne_u32_e32 vcc_lo, 0, v7
	v_cndmask_b32_e32 v7, v47, v45, vcc_lo
	s_delay_alu instid0(VALU_DEP_3) | instskip(SKIP_1) | instid1(VALU_DEP_2)
	v_cmp_ne_u32_e64 s0, 0, v19
	v_cndmask_b32_e32 v19, v46, v44, vcc_lo
	v_dual_cndmask_b32 v7, v43, v7, s0 :: v_dual_bitop2_b32 v28, s20, v28 bitop3:0x14
	s_delay_alu instid0(VALU_DEP_1) | instskip(NEXT) | instid1(VALU_DEP_2)
	v_dual_cndmask_b32 v19, v42, v19, s0 :: v_dual_mov_b32 v29, v28
	v_xor_b32_e32 v43, v7, v28
	s_delay_alu instid0(VALU_DEP_2) | instskip(NEXT) | instid1(VALU_DEP_1)
	v_xor_b32_e32 v42, v19, v28
	v_sub_nc_u64_e32 v[28:29], v[42:43], v[28:29]
.LBB65_15:                              ;   in Loop: Header=BB65_13 Depth=2
	s_and_not1_saveexec_b32 s0, s30
	s_cbranch_execz .LBB65_17
; %bb.16:                               ;   in Loop: Header=BB65_13 Depth=2
	v_cvt_f32_u32_e32 v7, s8
	v_mov_b32_e32 v29, v6
	s_delay_alu instid0(VALU_DEP_2) | instskip(SKIP_1) | instid1(TRANS32_DEP_1)
	v_rcp_iflag_f32_e32 v7, v7
	v_nop
	v_mul_f32_e32 v7, 0x4f7ffffe, v7
	s_delay_alu instid0(VALU_DEP_1) | instskip(NEXT) | instid1(VALU_DEP_1)
	v_cvt_u32_f32_e32 v7, v7
	v_mul_lo_u32 v19, s26, v7
	s_delay_alu instid0(VALU_DEP_1) | instskip(NEXT) | instid1(VALU_DEP_1)
	v_mul_hi_u32 v19, v7, v19
	v_add_nc_u32_e32 v7, v7, v19
	s_delay_alu instid0(VALU_DEP_1) | instskip(NEXT) | instid1(VALU_DEP_1)
	v_mul_hi_u32 v7, v26, v7
	v_mul_lo_u32 v19, v7, s8
	s_delay_alu instid0(VALU_DEP_1) | instskip(NEXT) | instid1(VALU_DEP_1)
	v_sub_nc_u32_e32 v19, v26, v19
	v_subrev_nc_u32_e32 v28, s8, v19
	v_cmp_le_u32_e32 vcc_lo, s8, v19
	s_delay_alu instid0(VALU_DEP_2) | instskip(NEXT) | instid1(VALU_DEP_1)
	v_dual_add_nc_u32 v27, 1, v7 :: v_dual_cndmask_b32 v19, v19, v28, vcc_lo
	v_cndmask_b32_e32 v7, v7, v27, vcc_lo
	s_delay_alu instid0(VALU_DEP_2) | instskip(NEXT) | instid1(VALU_DEP_2)
	v_cmp_le_u32_e32 vcc_lo, s8, v19
	v_add_nc_u32_e32 v27, 1, v7
	s_delay_alu instid0(VALU_DEP_1)
	v_cndmask_b32_e32 v28, v7, v27, vcc_lo
.LBB65_17:                              ;   in Loop: Header=BB65_13 Depth=2
	s_or_b32 exec_lo, exec_lo, s0
	s_delay_alu instid0(VALU_DEP_1) | instskip(SKIP_2) | instid1(SALU_CYCLE_1)
	v_cmp_ne_u64_e64 s0, v[28:29], v[14:15]
	v_cmp_eq_u64_e32 vcc_lo, v[28:29], v[14:15]
	s_and_saveexec_b32 s21, s0
	s_xor_b32 s0, exec_lo, s21
; %bb.18:                               ;   in Loop: Header=BB65_13 Depth=2
	v_min_i64 v[12:13], v[28:29], v[12:13]
                                        ; implicit-def: $vgpr26_vgpr27
                                        ; implicit-def: $vgpr24_vgpr25
; %bb.19:                               ;   in Loop: Header=BB65_13 Depth=2
	s_or_saveexec_b32 s0, s0
	v_mov_b64_e32 v[28:29], v[16:17]
	s_xor_b32 exec_lo, exec_lo, s0
	s_cbranch_execz .LBB65_12
; %bb.20:                               ;   in Loop: Header=BB65_13 Depth=2
	global_load_b32 v7, v[20:21], off
	v_sub_nc_u32_e32 v19, v26, v18
	v_mov_b64_e32 v[28:29], v[24:25]
	s_delay_alu instid0(VALU_DEP_2)
	v_lshl_add_u32 v19, v19, 2, v31
	ds_store_b8 v30, v41 offset:1024
	s_wait_loadcnt 0x0
	ds_store_b32 v19, v7
	s_branch .LBB65_12
.LBB65_21:                              ;   in Loop: Header=BB65_10 Depth=1
	s_or_b32 exec_lo, exec_lo, s29
.LBB65_22:                              ;   in Loop: Header=BB65_10 Depth=1
	s_delay_alu instid0(SALU_CYCLE_1)
	s_or_b32 exec_lo, exec_lo, s28
	ds_bpermute_b32 v16, v34, v28
	ds_bpermute_b32 v17, v34, v29
	s_wait_dscnt 0x0
	ds_load_u8 v7, v30 offset:1024
	s_mov_b32 s0, exec_lo
	v_min_i64 v[16:17], v[16:17], v[28:29]
	s_wait_dscnt 0x0
	v_and_b32_e32 v7, 1, v7
	ds_bpermute_b32 v18, v35, v16
	ds_bpermute_b32 v19, v35, v17
	s_wait_dscnt 0x0
	v_min_i64 v[16:17], v[18:19], v[16:17]
	ds_bpermute_b32 v18, v36, v16
	ds_bpermute_b32 v19, v36, v17
	s_wait_dscnt 0x0
	v_min_i64 v[16:17], v[18:19], v[16:17]
	v_mov_b64_e32 v[18:19], 0
	ds_bpermute_b32 v16, v32, v16
	ds_bpermute_b32 v17, v32, v17
	v_cmpx_eq_u32_e32 1, v7
	s_cbranch_execz .LBB65_9
; %bb.23:                               ;   in Loop: Header=BB65_10 Depth=1
	v_add_nc_u64_e32 v[14:15], s[12:13], v[14:15]
	v_lshl_add_u64 v[18:19], v[4:5], 3, s[4:5]
	global_store_b64 v[18:19], v[14:15], off
	s_wait_xcnt 0x0
	s_and_saveexec_b32 s21, s24
	s_cbranch_execz .LBB65_8
; %bb.24:                               ;   in Loop: Header=BB65_10 Depth=1
	v_mul_u64_e32 v[14:15], s[14:15], v[4:5]
	ds_load_b32 v7, v33
	s_and_b32 vcc_lo, exec_lo, s25
	s_cbranch_vccz .LBB65_26
; %bb.25:                               ;   in Loop: Header=BB65_10 Depth=1
	v_lshl_add_u64 v[18:19], v[14:15], 2, v[0:1]
	s_wait_dscnt 0x0
	global_store_b32 v[18:19], v7, off
	s_cbranch_execnz .LBB65_8
	s_branch .LBB65_27
.LBB65_26:                              ;   in Loop: Header=BB65_10 Depth=1
.LBB65_27:                              ;   in Loop: Header=BB65_10 Depth=1
	v_lshl_add_u64 v[14:15], v[14:15], 2, v[10:11]
	s_wait_dscnt 0x0
	global_store_b32 v[14:15], v7, off
	s_branch .LBB65_8
.LBB65_28:
	s_endpgm
	.section	.rodata,"a",@progbits
	.p2align	6, 0x0
	.amdhsa_kernel _ZN9rocsparseL42csr2bsr_wavefront_per_row_multipass_kernelILj256ELj64ELj8EfllEEv20rocsparse_direction_T4_S2_S2_S2_S2_21rocsparse_index_base_PKT2_PKT3_PKS2_S3_PS4_PS7_PS2_
		.amdhsa_group_segment_fixed_size 1028
		.amdhsa_private_segment_fixed_size 0
		.amdhsa_kernarg_size 112
		.amdhsa_user_sgpr_count 2
		.amdhsa_user_sgpr_dispatch_ptr 0
		.amdhsa_user_sgpr_queue_ptr 0
		.amdhsa_user_sgpr_kernarg_segment_ptr 1
		.amdhsa_user_sgpr_dispatch_id 0
		.amdhsa_user_sgpr_kernarg_preload_length 0
		.amdhsa_user_sgpr_kernarg_preload_offset 0
		.amdhsa_user_sgpr_private_segment_size 0
		.amdhsa_wavefront_size32 1
		.amdhsa_uses_dynamic_stack 0
		.amdhsa_enable_private_segment 0
		.amdhsa_system_sgpr_workgroup_id_x 1
		.amdhsa_system_sgpr_workgroup_id_y 0
		.amdhsa_system_sgpr_workgroup_id_z 0
		.amdhsa_system_sgpr_workgroup_info 0
		.amdhsa_system_vgpr_workitem_id 0
		.amdhsa_next_free_vgpr 54
		.amdhsa_next_free_sgpr 42
		.amdhsa_named_barrier_count 0
		.amdhsa_reserve_vcc 1
		.amdhsa_float_round_mode_32 0
		.amdhsa_float_round_mode_16_64 0
		.amdhsa_float_denorm_mode_32 3
		.amdhsa_float_denorm_mode_16_64 3
		.amdhsa_fp16_overflow 0
		.amdhsa_memory_ordered 1
		.amdhsa_forward_progress 1
		.amdhsa_inst_pref_size 18
		.amdhsa_round_robin_scheduling 0
		.amdhsa_exception_fp_ieee_invalid_op 0
		.amdhsa_exception_fp_denorm_src 0
		.amdhsa_exception_fp_ieee_div_zero 0
		.amdhsa_exception_fp_ieee_overflow 0
		.amdhsa_exception_fp_ieee_underflow 0
		.amdhsa_exception_fp_ieee_inexact 0
		.amdhsa_exception_int_div_zero 0
	.end_amdhsa_kernel
	.section	.text._ZN9rocsparseL42csr2bsr_wavefront_per_row_multipass_kernelILj256ELj64ELj8EfllEEv20rocsparse_direction_T4_S2_S2_S2_S2_21rocsparse_index_base_PKT2_PKT3_PKS2_S3_PS4_PS7_PS2_,"axG",@progbits,_ZN9rocsparseL42csr2bsr_wavefront_per_row_multipass_kernelILj256ELj64ELj8EfllEEv20rocsparse_direction_T4_S2_S2_S2_S2_21rocsparse_index_base_PKT2_PKT3_PKS2_S3_PS4_PS7_PS2_,comdat
.Lfunc_end65:
	.size	_ZN9rocsparseL42csr2bsr_wavefront_per_row_multipass_kernelILj256ELj64ELj8EfllEEv20rocsparse_direction_T4_S2_S2_S2_S2_21rocsparse_index_base_PKT2_PKT3_PKS2_S3_PS4_PS7_PS2_, .Lfunc_end65-_ZN9rocsparseL42csr2bsr_wavefront_per_row_multipass_kernelILj256ELj64ELj8EfllEEv20rocsparse_direction_T4_S2_S2_S2_S2_21rocsparse_index_base_PKT2_PKT3_PKS2_S3_PS4_PS7_PS2_
                                        ; -- End function
	.set _ZN9rocsparseL42csr2bsr_wavefront_per_row_multipass_kernelILj256ELj64ELj8EfllEEv20rocsparse_direction_T4_S2_S2_S2_S2_21rocsparse_index_base_PKT2_PKT3_PKS2_S3_PS4_PS7_PS2_.num_vgpr, 54
	.set _ZN9rocsparseL42csr2bsr_wavefront_per_row_multipass_kernelILj256ELj64ELj8EfllEEv20rocsparse_direction_T4_S2_S2_S2_S2_21rocsparse_index_base_PKT2_PKT3_PKS2_S3_PS4_PS7_PS2_.num_agpr, 0
	.set _ZN9rocsparseL42csr2bsr_wavefront_per_row_multipass_kernelILj256ELj64ELj8EfllEEv20rocsparse_direction_T4_S2_S2_S2_S2_21rocsparse_index_base_PKT2_PKT3_PKS2_S3_PS4_PS7_PS2_.numbered_sgpr, 42
	.set _ZN9rocsparseL42csr2bsr_wavefront_per_row_multipass_kernelILj256ELj64ELj8EfllEEv20rocsparse_direction_T4_S2_S2_S2_S2_21rocsparse_index_base_PKT2_PKT3_PKS2_S3_PS4_PS7_PS2_.num_named_barrier, 0
	.set _ZN9rocsparseL42csr2bsr_wavefront_per_row_multipass_kernelILj256ELj64ELj8EfllEEv20rocsparse_direction_T4_S2_S2_S2_S2_21rocsparse_index_base_PKT2_PKT3_PKS2_S3_PS4_PS7_PS2_.private_seg_size, 0
	.set _ZN9rocsparseL42csr2bsr_wavefront_per_row_multipass_kernelILj256ELj64ELj8EfllEEv20rocsparse_direction_T4_S2_S2_S2_S2_21rocsparse_index_base_PKT2_PKT3_PKS2_S3_PS4_PS7_PS2_.uses_vcc, 1
	.set _ZN9rocsparseL42csr2bsr_wavefront_per_row_multipass_kernelILj256ELj64ELj8EfllEEv20rocsparse_direction_T4_S2_S2_S2_S2_21rocsparse_index_base_PKT2_PKT3_PKS2_S3_PS4_PS7_PS2_.uses_flat_scratch, 0
	.set _ZN9rocsparseL42csr2bsr_wavefront_per_row_multipass_kernelILj256ELj64ELj8EfllEEv20rocsparse_direction_T4_S2_S2_S2_S2_21rocsparse_index_base_PKT2_PKT3_PKS2_S3_PS4_PS7_PS2_.has_dyn_sized_stack, 0
	.set _ZN9rocsparseL42csr2bsr_wavefront_per_row_multipass_kernelILj256ELj64ELj8EfllEEv20rocsparse_direction_T4_S2_S2_S2_S2_21rocsparse_index_base_PKT2_PKT3_PKS2_S3_PS4_PS7_PS2_.has_recursion, 0
	.set _ZN9rocsparseL42csr2bsr_wavefront_per_row_multipass_kernelILj256ELj64ELj8EfllEEv20rocsparse_direction_T4_S2_S2_S2_S2_21rocsparse_index_base_PKT2_PKT3_PKS2_S3_PS4_PS7_PS2_.has_indirect_call, 0
	.section	.AMDGPU.csdata,"",@progbits
; Kernel info:
; codeLenInByte = 2256
; TotalNumSgprs: 44
; NumVgprs: 54
; ScratchSize: 0
; MemoryBound: 0
; FloatMode: 240
; IeeeMode: 1
; LDSByteSize: 1028 bytes/workgroup (compile time only)
; SGPRBlocks: 0
; VGPRBlocks: 3
; NumSGPRsForWavesPerEU: 44
; NumVGPRsForWavesPerEU: 54
; NamedBarCnt: 0
; Occupancy: 16
; WaveLimiterHint : 0
; COMPUTE_PGM_RSRC2:SCRATCH_EN: 0
; COMPUTE_PGM_RSRC2:USER_SGPR: 2
; COMPUTE_PGM_RSRC2:TRAP_HANDLER: 0
; COMPUTE_PGM_RSRC2:TGID_X_EN: 1
; COMPUTE_PGM_RSRC2:TGID_Y_EN: 0
; COMPUTE_PGM_RSRC2:TGID_Z_EN: 0
; COMPUTE_PGM_RSRC2:TIDIG_COMP_CNT: 0
	.section	.text._ZN9rocsparseL42csr2bsr_wavefront_per_row_multipass_kernelILj256ELj32ELj8EfllEEv20rocsparse_direction_T4_S2_S2_S2_S2_21rocsparse_index_base_PKT2_PKT3_PKS2_S3_PS4_PS7_PS2_,"axG",@progbits,_ZN9rocsparseL42csr2bsr_wavefront_per_row_multipass_kernelILj256ELj32ELj8EfllEEv20rocsparse_direction_T4_S2_S2_S2_S2_21rocsparse_index_base_PKT2_PKT3_PKS2_S3_PS4_PS7_PS2_,comdat
	.globl	_ZN9rocsparseL42csr2bsr_wavefront_per_row_multipass_kernelILj256ELj32ELj8EfllEEv20rocsparse_direction_T4_S2_S2_S2_S2_21rocsparse_index_base_PKT2_PKT3_PKS2_S3_PS4_PS7_PS2_ ; -- Begin function _ZN9rocsparseL42csr2bsr_wavefront_per_row_multipass_kernelILj256ELj32ELj8EfllEEv20rocsparse_direction_T4_S2_S2_S2_S2_21rocsparse_index_base_PKT2_PKT3_PKS2_S3_PS4_PS7_PS2_
	.p2align	8
	.type	_ZN9rocsparseL42csr2bsr_wavefront_per_row_multipass_kernelILj256ELj32ELj8EfllEEv20rocsparse_direction_T4_S2_S2_S2_S2_21rocsparse_index_base_PKT2_PKT3_PKS2_S3_PS4_PS7_PS2_,@function
_ZN9rocsparseL42csr2bsr_wavefront_per_row_multipass_kernelILj256ELj32ELj8EfllEEv20rocsparse_direction_T4_S2_S2_S2_S2_21rocsparse_index_base_PKT2_PKT3_PKS2_S3_PS4_PS7_PS2_: ; @_ZN9rocsparseL42csr2bsr_wavefront_per_row_multipass_kernelILj256ELj32ELj8EfllEEv20rocsparse_direction_T4_S2_S2_S2_S2_21rocsparse_index_base_PKT2_PKT3_PKS2_S3_PS4_PS7_PS2_
; %bb.0:
	s_bfe_u32 s2, ttmp6, 0x4000c
	s_clause 0x1
	s_load_b96 s[8:10], s[0:1], 0x28
	s_load_b64 s[12:13], s[0:1], 0x40
	s_add_co_i32 s2, s2, 1
	s_and_b32 s3, ttmp6, 15
	s_mul_i32 s2, ttmp9, s2
	s_getreg_b32 s4, hwreg(HW_REG_IB_STS2, 6, 4)
	s_add_co_i32 s3, s3, s2
	s_cmp_eq_u32 s4, 0
	v_dual_mov_b32 v9, 0 :: v_dual_lshrrev_b32 v34, 5, v0
	s_cselect_b32 s14, ttmp9, s3
	v_bfe_u32 v8, v0, 2, 3
	s_ashr_i32 s15, s14, 31
	v_mov_b64_e32 v[20:21], 0
	s_lshl_b64 s[2:3], s[14:15], 3
	s_mov_b32 s11, 0
	v_or_b32_e32 v1, s2, v34
	s_load_b128 s[4:7], s[0:1], 0x18
	s_wait_kmcnt 0x0
	s_delay_alu instid0(VALU_DEP_1) | instskip(NEXT) | instid1(VALU_DEP_1)
	v_mad_nc_u64_u32 v[4:5], v1, s8, v[8:9]
	v_mad_u32 v2, s3, s8, v5
	s_load_b64 s[2:3], s[0:1], 0x8
	s_delay_alu instid0(VALU_DEP_1) | instskip(SKIP_2) | instid1(VALU_DEP_2)
	v_mad_u32 v5, v1, s9, v2
	v_mov_b64_e32 v[2:3], 0
	s_wait_kmcnt 0x0
	v_cmp_gt_i64_e32 vcc_lo, s[2:3], v[4:5]
	v_cmp_gt_i64_e64 s2, s[8:9], v[8:9]
	s_and_b32 s3, s2, vcc_lo
	s_delay_alu instid0(SALU_CYCLE_1)
	s_and_saveexec_b32 s15, s3
	s_cbranch_execz .LBB66_2
; %bb.1:
	v_lshl_add_u64 v[6:7], v[4:5], 3, s[12:13]
	global_load_b64 v[6:7], v[6:7], off
	s_wait_loadcnt 0x0
	v_sub_nc_u64_e64 v[20:21], v[6:7], s[10:11]
.LBB66_2:
	s_or_b32 exec_lo, exec_lo, s15
	s_and_saveexec_b32 s15, s3
	s_cbranch_execz .LBB66_4
; %bb.3:
	v_lshl_add_u64 v[2:3], v[4:5], 3, s[12:13]
	global_load_b64 v[2:3], v[2:3], off offset:8
	s_wait_loadcnt 0x0
	v_sub_nc_u64_e64 v[2:3], v[2:3], s[10:11]
.LBB66_4:
	s_or_b32 exec_lo, exec_lo, s15
	s_load_b32 s12, s[0:1], 0x50
	v_mov_b64_e32 v[4:5], 0
	v_lshl_or_b32 v6, s14, 3, v34
	v_mov_b32_e32 v7, 0
	s_mov_b32 s3, exec_lo
	s_delay_alu instid0(VALU_DEP_1)
	v_cmpx_gt_i64_e64 s[4:5], v[6:7]
	s_cbranch_execz .LBB66_6
; %bb.5:
	s_load_b64 s[4:5], s[0:1], 0x60
	s_mov_b32 s13, 0
	s_wait_kmcnt 0x0
	v_lshl_add_u64 v[4:5], v[6:7], 3, s[4:5]
	global_load_b64 v[4:5], v[4:5], off
	s_wait_loadcnt 0x0
	v_sub_nc_u64_e64 v[4:5], v[4:5], s[12:13]
.LBB66_6:
	s_or_b32 exec_lo, exec_lo, s3
	v_cmp_lt_i64_e64 s3, s[6:7], 1
	s_and_b32 vcc_lo, exec_lo, s3
	s_cbranch_vccnz .LBB66_33
; %bb.7:
	s_clause 0x1
	s_load_b64 s[20:21], s[0:1], 0x58
	s_load_b64 s[4:5], s[0:1], 0x68
	v_mbcnt_lo_u32_b32 v7, -1, 0
	v_dual_lshlrev_b32 v10, 2, v8 :: v_dual_mov_b32 v6, 0
	v_lshlrev_b32_e32 v1, 5, v8
	v_and_b32_e32 v0, 3, v0
	s_delay_alu instid0(VALU_DEP_4) | instskip(SKIP_3) | instid1(VALU_DEP_4)
	v_xor_b32_e32 v12, 2, v7
	v_mul_u64_e32 v[14:15], s[8:9], v[8:9]
	v_dual_mov_b32 v11, v6 :: v_dual_mov_b32 v17, v6
	v_lshl_or_b32 v35, v34, 8, v1
	v_cmp_gt_i32_e32 vcc_lo, 32, v12
	v_dual_mov_b32 v1, v6 :: v_dual_bitop2_b32 v13, 1, v7 bitop3:0x14
	s_clause 0x2
	s_load_b64 s[16:17], s[0:1], 0x48
	s_load_b64 s[18:19], s[0:1], 0x38
	s_load_b32 s22, s[0:1], 0x0
	v_lshl_or_b32 v39, v7, 2, 12
	v_lshl_or_b32 v36, v0, 2, v35
	v_mov_b32_e32 v44, 1
	s_mov_b32 s3, 0
	s_wait_kmcnt 0x0
	v_add_nc_u64_e32 v[8:9], s[20:21], v[10:11]
	v_cndmask_b32_e32 v10, v7, v12, vcc_lo
	v_cmp_gt_i32_e32 vcc_lo, 32, v13
	v_or_b32_e32 v16, 4, v0
	s_mul_u64 s[14:15], s[8:9], s[8:9]
	s_mov_b32 s11, s3
	v_dual_cndmask_b32 v18, v7, v13 :: v_dual_lshlrev_b32 v37, 2, v10
	v_mul_u64_e32 v[10:11], s[8:9], v[0:1]
	v_mul_u64_e32 v[12:13], s[8:9], v[16:17]
	v_xor_b32_e32 v19, 8, v7
	v_cmp_gt_u64_e64 s0, s[8:9], v[16:17]
	v_dual_lshlrev_b32 v38, 2, v18 :: v_dual_bitop2_b32 v18, 16, v7 bitop3:0x14
	s_mov_b32 s13, s3
	s_cmp_lg_u32 s22, 0
	s_mov_b32 s29, 0
	s_cselect_b32 s1, -1, 0
	v_cmp_gt_i32_e32 vcc_lo, 32, v18
	v_xor_b32_e32 v22, 4, v7
	v_lshl_add_u64 v[14:15], v[14:15], 2, s[20:21]
	s_mov_b64 s[20:21], 0xffffffff
	s_and_b32 s27, s2, s0
	v_cndmask_b32_e32 v18, v7, v18, vcc_lo
	v_cmp_gt_i32_e32 vcc_lo, 32, v19
	s_ashr_i32 s22, s9, 31
	s_sub_co_i32 s28, 0, s8
	v_mov_b32_e32 v43, 0x7c
	v_cndmask_b32_e32 v19, v7, v19, vcc_lo
	v_cmp_gt_i32_e32 vcc_lo, 32, v22
	v_cndmask_b32_e32 v7, v7, v22, vcc_lo
	v_cmp_gt_u64_e32 vcc_lo, s[8:9], v[0:1]
	s_delay_alu instid0(VALU_DEP_4) | instskip(SKIP_1) | instid1(VALU_DEP_4)
	v_dual_lshlrev_b32 v40, 2, v18 :: v_dual_lshlrev_b32 v41, 2, v19
	v_mov_b64_e32 v[18:19], 0
	v_lshlrev_b32_e32 v42, 2, v7
	s_and_b32 s26, s2, vcc_lo
	s_branch .LBB66_10
.LBB66_8:                               ;   in Loop: Header=BB66_10 Depth=1
	s_wait_xcnt 0x0
	s_or_b32 exec_lo, exec_lo, s2
	v_mov_b64_e32 v[22:23], 1
.LBB66_9:                               ;   in Loop: Header=BB66_10 Depth=1
	s_or_b32 exec_lo, exec_lo, s0
	ds_bpermute_b32 v18, v40, v16
	ds_bpermute_b32 v19, v40, v17
	v_add_nc_u64_e32 v[4:5], v[22:23], v[4:5]
	s_wait_storecnt_dscnt 0x0
	v_min_i64 v[16:17], v[18:19], v[16:17]
	ds_bpermute_b32 v18, v41, v16
	ds_bpermute_b32 v19, v41, v17
	s_wait_dscnt 0x0
	v_min_i64 v[16:17], v[18:19], v[16:17]
	ds_bpermute_b32 v18, v42, v16
	ds_bpermute_b32 v19, v42, v17
	s_wait_dscnt 0x0
	;; [unrolled: 4-line block ×5, first 2 shown]
	v_cmp_le_i64_e32 vcc_lo, s[6:7], v[18:19]
	s_or_b32 s29, vcc_lo, s29
	s_delay_alu instid0(SALU_CYCLE_1)
	s_and_not1_b32 exec_lo, exec_lo, s29
	s_cbranch_execz .LBB66_33
.LBB66_10:                              ; =>This Loop Header: Depth=1
                                        ;     Child Loop BB66_13 Depth 2
	v_add_nc_u64_e32 v[20:21], v[20:21], v[0:1]
	v_mov_b64_e32 v[16:17], s[6:7]
	v_mov_b64_e32 v[32:33], v[2:3]
	s_mov_b32 s30, exec_lo
	ds_store_b8 v34, v6 offset:2048
	ds_store_2addr_b32 v36, v6, v6 offset1:4
	s_wait_dscnt 0x0
	v_cmpx_lt_i64_e64 v[20:21], v[2:3]
	s_cbranch_execz .LBB66_22
; %bb.11:                               ;   in Loop: Header=BB66_10 Depth=1
	v_mul_u64_e32 v[22:23], s[8:9], v[18:19]
	v_mov_b64_e32 v[16:17], s[6:7]
	v_mov_b64_e32 v[28:29], v[2:3]
	v_lshl_add_u64 v[24:25], v[20:21], 2, s[18:19]
	v_lshl_add_u64 v[26:27], v[20:21], 3, s[16:17]
	s_mov_b32 s31, 0
	s_branch .LBB66_13
.LBB66_12:                              ;   in Loop: Header=BB66_13 Depth=2
	s_wait_xcnt 0x0
	s_or_b32 exec_lo, exec_lo, s0
	v_add_nc_u64_e32 v[20:21], 4, v[20:21]
	s_xor_b32 s2, vcc_lo, -1
	v_add_nc_u64_e32 v[24:25], 16, v[24:25]
	v_add_nc_u64_e32 v[26:27], 32, v[26:27]
	v_mov_b64_e32 v[28:29], v[32:33]
	s_delay_alu instid0(VALU_DEP_4) | instskip(SKIP_1) | instid1(SALU_CYCLE_1)
	v_cmp_ge_i64_e64 s0, v[20:21], v[2:3]
	s_or_b32 s0, s2, s0
	s_and_b32 s0, exec_lo, s0
	s_delay_alu instid0(SALU_CYCLE_1) | instskip(NEXT) | instid1(SALU_CYCLE_1)
	s_or_b32 s31, s0, s31
	s_and_not1_b32 exec_lo, exec_lo, s31
	s_cbranch_execz .LBB66_21
.LBB66_13:                              ;   Parent Loop BB66_10 Depth=1
                                        ; =>  This Inner Loop Header: Depth=2
	global_load_b64 v[30:31], v[26:27], off
                                        ; implicit-def: $vgpr32_vgpr33
	s_mov_b32 s0, exec_lo
	s_wait_loadcnt 0x0
	v_sub_nc_u64_e64 v[30:31], v[30:31], s[10:11]
	s_delay_alu instid0(VALU_DEP_1) | instskip(SKIP_1) | instid1(VALU_DEP_1)
	v_or_b32_e32 v7, s9, v31
	s_wait_xcnt 0x0
	v_cmpx_ne_u64_e32 0, v[6:7]
	s_xor_b32 s33, exec_lo, s0
	s_cbranch_execz .LBB66_15
; %bb.14:                               ;   in Loop: Header=BB66_13 Depth=2
	s_mov_b32 s23, s22
	v_dual_mov_b32 v49, v6 :: v_dual_ashrrev_i32 v32, 31, v31
	s_add_nc_u64 s[24:25], s[8:9], s[22:23]
	s_delay_alu instid0(SALU_CYCLE_1) | instskip(NEXT) | instid1(VALU_DEP_1)
	s_xor_b64 s[24:25], s[24:25], s[22:23]
	v_mov_b32_e32 v33, v32
	s_cvt_f32_u32 s0, s24
	s_cvt_f32_u32 s2, s25
	s_sub_nc_u64 s[36:37], 0, s[24:25]
	s_delay_alu instid0(VALU_DEP_1) | instskip(NEXT) | instid1(SALU_CYCLE_1)
	v_add_nc_u64_e32 v[46:47], v[30:31], v[32:33]
	s_fmamk_f32 s0, s2, 0x4f800000, s0
	v_mov_b32_e32 v53, v6
	s_delay_alu instid0(SALU_CYCLE_2) | instskip(NEXT) | instid1(VALU_DEP_2)
	v_s_rcp_f32 s0, s0
	v_xor_b32_e32 v48, v46, v32
	s_delay_alu instid0(VALU_DEP_3) | instskip(NEXT) | instid1(TRANS32_DEP_1)
	v_dual_mov_b32 v57, v6 :: v_dual_bitop2_b32 v52, v47, v32 bitop3:0x14
	s_mul_f32 s0, s0, 0x5f7ffffc
	s_delay_alu instid0(SALU_CYCLE_3) | instskip(NEXT) | instid1(SALU_CYCLE_3)
	s_mul_f32 s2, s0, 0x2f800000
	s_trunc_f32 s2, s2
	s_delay_alu instid0(SALU_CYCLE_3) | instskip(SKIP_1) | instid1(SALU_CYCLE_2)
	s_fmamk_f32 s0, s2, 0xcf800000, s0
	s_cvt_u32_f32 s35, s2
	s_cvt_u32_f32 s34, s0
	s_delay_alu instid0(SALU_CYCLE_3) | instskip(NEXT) | instid1(SALU_CYCLE_1)
	s_mul_u64 s[38:39], s[36:37], s[34:35]
	s_mul_hi_u32 s41, s34, s39
	s_mul_i32 s40, s34, s39
	s_mul_hi_u32 s2, s34, s38
	s_mul_i32 s23, s35, s38
	s_add_nc_u64 s[40:41], s[2:3], s[40:41]
	s_mul_hi_u32 s0, s35, s38
	s_mul_hi_u32 s42, s35, s39
	s_add_co_u32 s2, s40, s23
	s_add_co_ci_u32 s2, s41, s0
	s_mul_i32 s38, s35, s39
	s_add_co_ci_u32 s39, s42, 0
	s_delay_alu instid0(SALU_CYCLE_1) | instskip(NEXT) | instid1(SALU_CYCLE_1)
	s_add_nc_u64 s[38:39], s[2:3], s[38:39]
	s_add_co_u32 s34, s34, s38
	s_cselect_b32 s0, -1, 0
	s_delay_alu instid0(SALU_CYCLE_1) | instskip(SKIP_1) | instid1(SALU_CYCLE_1)
	s_cmp_lg_u32 s0, 0
	s_add_co_ci_u32 s35, s35, s39
	s_mul_u64 s[36:37], s[36:37], s[34:35]
	s_delay_alu instid0(SALU_CYCLE_1)
	s_mul_hi_u32 s39, s34, s37
	s_mul_i32 s38, s34, s37
	s_mul_hi_u32 s2, s34, s36
	s_mul_i32 s23, s35, s36
	s_add_nc_u64 s[38:39], s[2:3], s[38:39]
	s_mul_hi_u32 s0, s35, s36
	s_mul_hi_u32 s40, s35, s37
	s_add_co_u32 s2, s38, s23
	s_add_co_ci_u32 s2, s39, s0
	s_mul_i32 s36, s35, s37
	s_add_co_ci_u32 s37, s40, 0
	s_delay_alu instid0(SALU_CYCLE_1) | instskip(NEXT) | instid1(SALU_CYCLE_1)
	s_add_nc_u64 s[36:37], s[2:3], s[36:37]
	s_add_co_u32 s0, s34, s36
	s_cselect_b32 s2, -1, 0
	v_mul_hi_u32 v56, v48, s0
	s_cmp_lg_u32 s2, 0
	s_add_co_ci_u32 s2, s35, s37
	s_and_b64 s[34:35], s[0:1], s[20:21]
	v_mul_u64_e32 v[50:51], s[2:3], v[48:49]
	v_mul_u64_e32 v[46:47], s[34:35], v[52:53]
	;; [unrolled: 1-line block ×3, first 2 shown]
	s_delay_alu instid0(VALU_DEP_3) | instskip(NEXT) | instid1(VALU_DEP_1)
	v_add_nc_u64_e32 v[50:51], v[56:57], v[50:51]
	v_add_co_u32 v7, vcc_lo, v50, v46
	s_delay_alu instid0(VALU_DEP_2) | instskip(NEXT) | instid1(VALU_DEP_4)
	v_add_co_ci_u32_e32 v56, vcc_lo, v51, v47, vcc_lo
	v_add_co_ci_u32_e32 v55, vcc_lo, 0, v55, vcc_lo
	s_delay_alu instid0(VALU_DEP_1) | instskip(NEXT) | instid1(VALU_DEP_1)
	v_add_nc_u64_e32 v[46:47], v[56:57], v[54:55]
	v_mul_u64_e32 v[50:51], s[24:25], v[46:47]
	s_delay_alu instid0(VALU_DEP_1) | instskip(NEXT) | instid1(VALU_DEP_2)
	v_sub_nc_u32_e32 v7, v52, v51
	v_sub_co_u32 v23, vcc_lo, v48, v50
	s_delay_alu instid0(VALU_DEP_1) | instskip(NEXT) | instid1(VALU_DEP_3)
	v_sub_co_ci_u32_e64 v33, null, v52, v51, vcc_lo
	v_subrev_co_ci_u32_e64 v7, null, s25, v7, vcc_lo
	s_delay_alu instid0(VALU_DEP_3) | instskip(SKIP_1) | instid1(VALU_DEP_3)
	v_sub_co_u32 v31, s0, v23, s24
	v_add_nc_u64_e32 v[48:49], 2, v[46:47]
	v_subrev_co_ci_u32_e64 v7, null, 0, v7, s0
	s_delay_alu instid0(VALU_DEP_3) | instskip(SKIP_2) | instid1(VALU_DEP_4)
	v_cmp_le_u32_e32 vcc_lo, s24, v31
	v_add_nc_u64_e32 v[50:51], 1, v[46:47]
	v_cndmask_b32_e64 v31, 0, -1, vcc_lo
	v_cmp_le_u32_e32 vcc_lo, s25, v7
	v_cndmask_b32_e64 v45, 0, -1, vcc_lo
	v_cmp_le_u32_e32 vcc_lo, s24, v23
	;; [unrolled: 2-line block ×3, first 2 shown]
	v_cndmask_b32_e64 v52, 0, -1, vcc_lo
	v_cmp_eq_u32_e32 vcc_lo, s25, v7
	v_cndmask_b32_e32 v7, v45, v31, vcc_lo
	v_cmp_eq_u32_e32 vcc_lo, s25, v33
	s_delay_alu instid0(VALU_DEP_4) | instskip(NEXT) | instid1(VALU_DEP_3)
	v_cndmask_b32_e32 v23, v52, v23, vcc_lo
	v_cmp_ne_u32_e32 vcc_lo, 0, v7
	v_cndmask_b32_e32 v7, v51, v49, vcc_lo
	s_delay_alu instid0(VALU_DEP_3) | instskip(SKIP_1) | instid1(VALU_DEP_2)
	v_cmp_ne_u32_e64 s0, 0, v23
	v_cndmask_b32_e32 v23, v50, v48, vcc_lo
	v_dual_cndmask_b32 v7, v47, v7, s0 :: v_dual_bitop2_b32 v32, s22, v32 bitop3:0x14
	s_delay_alu instid0(VALU_DEP_1) | instskip(NEXT) | instid1(VALU_DEP_2)
	v_dual_cndmask_b32 v23, v46, v23, s0 :: v_dual_mov_b32 v33, v32
	v_xor_b32_e32 v47, v7, v32
	s_delay_alu instid0(VALU_DEP_2) | instskip(NEXT) | instid1(VALU_DEP_1)
	v_xor_b32_e32 v46, v23, v32
	v_sub_nc_u64_e32 v[32:33], v[46:47], v[32:33]
.LBB66_15:                              ;   in Loop: Header=BB66_13 Depth=2
	s_and_not1_saveexec_b32 s0, s33
	s_cbranch_execz .LBB66_17
; %bb.16:                               ;   in Loop: Header=BB66_13 Depth=2
	v_cvt_f32_u32_e32 v7, s8
	v_mov_b32_e32 v33, v6
	s_delay_alu instid0(VALU_DEP_2) | instskip(SKIP_1) | instid1(TRANS32_DEP_1)
	v_rcp_iflag_f32_e32 v7, v7
	v_nop
	v_mul_f32_e32 v7, 0x4f7ffffe, v7
	s_delay_alu instid0(VALU_DEP_1) | instskip(NEXT) | instid1(VALU_DEP_1)
	v_cvt_u32_f32_e32 v7, v7
	v_mul_lo_u32 v23, s28, v7
	s_delay_alu instid0(VALU_DEP_1) | instskip(NEXT) | instid1(VALU_DEP_1)
	v_mul_hi_u32 v23, v7, v23
	v_add_nc_u32_e32 v7, v7, v23
	s_delay_alu instid0(VALU_DEP_1) | instskip(NEXT) | instid1(VALU_DEP_1)
	v_mul_hi_u32 v7, v30, v7
	v_mul_lo_u32 v23, v7, s8
	s_delay_alu instid0(VALU_DEP_1) | instskip(NEXT) | instid1(VALU_DEP_1)
	v_sub_nc_u32_e32 v23, v30, v23
	v_subrev_nc_u32_e32 v32, s8, v23
	v_cmp_le_u32_e32 vcc_lo, s8, v23
	s_delay_alu instid0(VALU_DEP_2) | instskip(NEXT) | instid1(VALU_DEP_1)
	v_dual_add_nc_u32 v31, 1, v7 :: v_dual_cndmask_b32 v23, v23, v32, vcc_lo
	v_cndmask_b32_e32 v7, v7, v31, vcc_lo
	s_delay_alu instid0(VALU_DEP_2) | instskip(NEXT) | instid1(VALU_DEP_2)
	v_cmp_le_u32_e32 vcc_lo, s8, v23
	v_add_nc_u32_e32 v31, 1, v7
	s_delay_alu instid0(VALU_DEP_1)
	v_cndmask_b32_e32 v32, v7, v31, vcc_lo
.LBB66_17:                              ;   in Loop: Header=BB66_13 Depth=2
	s_or_b32 exec_lo, exec_lo, s0
	s_delay_alu instid0(VALU_DEP_1) | instskip(SKIP_2) | instid1(SALU_CYCLE_1)
	v_cmp_ne_u64_e64 s0, v[32:33], v[18:19]
	v_cmp_eq_u64_e32 vcc_lo, v[32:33], v[18:19]
	s_and_saveexec_b32 s2, s0
	s_xor_b32 s0, exec_lo, s2
; %bb.18:                               ;   in Loop: Header=BB66_13 Depth=2
	v_min_i64 v[16:17], v[32:33], v[16:17]
                                        ; implicit-def: $vgpr30_vgpr31
                                        ; implicit-def: $vgpr28_vgpr29
; %bb.19:                               ;   in Loop: Header=BB66_13 Depth=2
	s_or_saveexec_b32 s0, s0
	v_mov_b64_e32 v[32:33], v[20:21]
	s_xor_b32 exec_lo, exec_lo, s0
	s_cbranch_execz .LBB66_12
; %bb.20:                               ;   in Loop: Header=BB66_13 Depth=2
	global_load_b32 v7, v[24:25], off
	v_sub_nc_u32_e32 v23, v30, v22
	v_mov_b64_e32 v[32:33], v[28:29]
	s_delay_alu instid0(VALU_DEP_2)
	v_lshl_add_u32 v23, v23, 2, v35
	ds_store_b8 v34, v44 offset:2048
	s_wait_loadcnt 0x0
	ds_store_b32 v23, v7
	s_branch .LBB66_12
.LBB66_21:                              ;   in Loop: Header=BB66_10 Depth=1
	s_or_b32 exec_lo, exec_lo, s31
.LBB66_22:                              ;   in Loop: Header=BB66_10 Depth=1
	s_delay_alu instid0(SALU_CYCLE_1)
	s_or_b32 exec_lo, exec_lo, s30
	ds_bpermute_b32 v20, v37, v32
	ds_bpermute_b32 v21, v37, v33
	s_wait_dscnt 0x0
	ds_load_u8 v7, v34 offset:2048
	s_mov_b32 s0, exec_lo
	v_min_i64 v[20:21], v[20:21], v[32:33]
	s_wait_dscnt 0x0
	v_and_b32_e32 v7, 1, v7
	ds_bpermute_b32 v22, v38, v20
	ds_bpermute_b32 v23, v38, v21
	s_wait_dscnt 0x0
	v_min_i64 v[20:21], v[22:23], v[20:21]
	v_mov_b64_e32 v[22:23], 0
	ds_bpermute_b32 v20, v39, v20
	ds_bpermute_b32 v21, v39, v21
	v_cmpx_eq_u32_e32 1, v7
	s_cbranch_execz .LBB66_9
; %bb.23:                               ;   in Loop: Header=BB66_10 Depth=1
	v_mul_u64_e32 v[22:23], s[14:15], v[4:5]
	v_add_nc_u64_e32 v[26:27], s[12:13], v[18:19]
	s_delay_alu instid0(VALU_DEP_2) | instskip(NEXT) | instid1(VALU_DEP_1)
	v_lshlrev_b64_e32 v[24:25], 2, v[22:23]
	v_add_nc_u64_e32 v[22:23], v[8:9], v[24:25]
	v_add_nc_u64_e32 v[18:19], v[14:15], v[24:25]
	v_lshl_add_u64 v[24:25], v[4:5], 3, s[4:5]
	global_store_b64 v[24:25], v[26:27], off
	s_wait_xcnt 0x0
	s_and_saveexec_b32 s2, s26
	s_cbranch_execz .LBB66_27
; %bb.24:                               ;   in Loop: Header=BB66_10 Depth=1
	ds_load_b32 v7, v36
	s_and_b32 vcc_lo, exec_lo, s1
	s_cbranch_vccz .LBB66_30
; %bb.25:                               ;   in Loop: Header=BB66_10 Depth=1
	v_lshl_add_u64 v[24:25], v[10:11], 2, v[22:23]
	s_wait_dscnt 0x0
	global_store_b32 v[24:25], v7, off
	s_cbranch_execnz .LBB66_27
.LBB66_26:                              ;   in Loop: Header=BB66_10 Depth=1
	s_wait_xcnt 0x0
	v_dual_mov_b32 v25, v6 :: v_dual_lshlrev_b32 v24, 2, v0
	s_delay_alu instid0(VALU_DEP_1)
	v_add_nc_u64_e32 v[24:25], v[18:19], v[24:25]
	s_wait_dscnt 0x0
	global_store_b32 v[24:25], v7, off
.LBB66_27:                              ;   in Loop: Header=BB66_10 Depth=1
	s_wait_xcnt 0x0
	s_or_b32 exec_lo, exec_lo, s2
	s_and_saveexec_b32 s2, s27
	s_cbranch_execz .LBB66_8
; %bb.28:                               ;   in Loop: Header=BB66_10 Depth=1
	s_and_not1_b32 vcc_lo, exec_lo, s1
	s_cbranch_vccnz .LBB66_31
; %bb.29:                               ;   in Loop: Header=BB66_10 Depth=1
	s_wait_dscnt 0x0
	ds_load_b32 v7, v36 offset:16
	v_lshl_add_u64 v[22:23], v[12:13], 2, v[22:23]
	s_wait_dscnt 0x0
	global_store_b32 v[22:23], v7, off
	s_cbranch_execnz .LBB66_8
	s_branch .LBB66_32
.LBB66_30:                              ;   in Loop: Header=BB66_10 Depth=1
	s_branch .LBB66_26
.LBB66_31:                              ;   in Loop: Header=BB66_10 Depth=1
.LBB66_32:                              ;   in Loop: Header=BB66_10 Depth=1
	s_wait_dscnt 0x0
	s_wait_xcnt 0x0
	ds_load_b32 v7, v36 offset:16
	v_dual_mov_b32 v23, v6 :: v_dual_lshlrev_b32 v22, 2, v0
	s_delay_alu instid0(VALU_DEP_1)
	v_add_nc_u64_e32 v[18:19], v[18:19], v[22:23]
	s_wait_dscnt 0x0
	global_store_b32 v[18:19], v7, off offset:16
	s_branch .LBB66_8
.LBB66_33:
	s_endpgm
	.section	.rodata,"a",@progbits
	.p2align	6, 0x0
	.amdhsa_kernel _ZN9rocsparseL42csr2bsr_wavefront_per_row_multipass_kernelILj256ELj32ELj8EfllEEv20rocsparse_direction_T4_S2_S2_S2_S2_21rocsparse_index_base_PKT2_PKT3_PKS2_S3_PS4_PS7_PS2_
		.amdhsa_group_segment_fixed_size 2056
		.amdhsa_private_segment_fixed_size 0
		.amdhsa_kernarg_size 112
		.amdhsa_user_sgpr_count 2
		.amdhsa_user_sgpr_dispatch_ptr 0
		.amdhsa_user_sgpr_queue_ptr 0
		.amdhsa_user_sgpr_kernarg_segment_ptr 1
		.amdhsa_user_sgpr_dispatch_id 0
		.amdhsa_user_sgpr_kernarg_preload_length 0
		.amdhsa_user_sgpr_kernarg_preload_offset 0
		.amdhsa_user_sgpr_private_segment_size 0
		.amdhsa_wavefront_size32 1
		.amdhsa_uses_dynamic_stack 0
		.amdhsa_enable_private_segment 0
		.amdhsa_system_sgpr_workgroup_id_x 1
		.amdhsa_system_sgpr_workgroup_id_y 0
		.amdhsa_system_sgpr_workgroup_id_z 0
		.amdhsa_system_sgpr_workgroup_info 0
		.amdhsa_system_vgpr_workitem_id 0
		.amdhsa_next_free_vgpr 58
		.amdhsa_next_free_sgpr 43
		.amdhsa_named_barrier_count 0
		.amdhsa_reserve_vcc 1
		.amdhsa_float_round_mode_32 0
		.amdhsa_float_round_mode_16_64 0
		.amdhsa_float_denorm_mode_32 3
		.amdhsa_float_denorm_mode_16_64 3
		.amdhsa_fp16_overflow 0
		.amdhsa_memory_ordered 1
		.amdhsa_forward_progress 1
		.amdhsa_inst_pref_size 18
		.amdhsa_round_robin_scheduling 0
		.amdhsa_exception_fp_ieee_invalid_op 0
		.amdhsa_exception_fp_denorm_src 0
		.amdhsa_exception_fp_ieee_div_zero 0
		.amdhsa_exception_fp_ieee_overflow 0
		.amdhsa_exception_fp_ieee_underflow 0
		.amdhsa_exception_fp_ieee_inexact 0
		.amdhsa_exception_int_div_zero 0
	.end_amdhsa_kernel
	.section	.text._ZN9rocsparseL42csr2bsr_wavefront_per_row_multipass_kernelILj256ELj32ELj8EfllEEv20rocsparse_direction_T4_S2_S2_S2_S2_21rocsparse_index_base_PKT2_PKT3_PKS2_S3_PS4_PS7_PS2_,"axG",@progbits,_ZN9rocsparseL42csr2bsr_wavefront_per_row_multipass_kernelILj256ELj32ELj8EfllEEv20rocsparse_direction_T4_S2_S2_S2_S2_21rocsparse_index_base_PKT2_PKT3_PKS2_S3_PS4_PS7_PS2_,comdat
.Lfunc_end66:
	.size	_ZN9rocsparseL42csr2bsr_wavefront_per_row_multipass_kernelILj256ELj32ELj8EfllEEv20rocsparse_direction_T4_S2_S2_S2_S2_21rocsparse_index_base_PKT2_PKT3_PKS2_S3_PS4_PS7_PS2_, .Lfunc_end66-_ZN9rocsparseL42csr2bsr_wavefront_per_row_multipass_kernelILj256ELj32ELj8EfllEEv20rocsparse_direction_T4_S2_S2_S2_S2_21rocsparse_index_base_PKT2_PKT3_PKS2_S3_PS4_PS7_PS2_
                                        ; -- End function
	.set _ZN9rocsparseL42csr2bsr_wavefront_per_row_multipass_kernelILj256ELj32ELj8EfllEEv20rocsparse_direction_T4_S2_S2_S2_S2_21rocsparse_index_base_PKT2_PKT3_PKS2_S3_PS4_PS7_PS2_.num_vgpr, 58
	.set _ZN9rocsparseL42csr2bsr_wavefront_per_row_multipass_kernelILj256ELj32ELj8EfllEEv20rocsparse_direction_T4_S2_S2_S2_S2_21rocsparse_index_base_PKT2_PKT3_PKS2_S3_PS4_PS7_PS2_.num_agpr, 0
	.set _ZN9rocsparseL42csr2bsr_wavefront_per_row_multipass_kernelILj256ELj32ELj8EfllEEv20rocsparse_direction_T4_S2_S2_S2_S2_21rocsparse_index_base_PKT2_PKT3_PKS2_S3_PS4_PS7_PS2_.numbered_sgpr, 43
	.set _ZN9rocsparseL42csr2bsr_wavefront_per_row_multipass_kernelILj256ELj32ELj8EfllEEv20rocsparse_direction_T4_S2_S2_S2_S2_21rocsparse_index_base_PKT2_PKT3_PKS2_S3_PS4_PS7_PS2_.num_named_barrier, 0
	.set _ZN9rocsparseL42csr2bsr_wavefront_per_row_multipass_kernelILj256ELj32ELj8EfllEEv20rocsparse_direction_T4_S2_S2_S2_S2_21rocsparse_index_base_PKT2_PKT3_PKS2_S3_PS4_PS7_PS2_.private_seg_size, 0
	.set _ZN9rocsparseL42csr2bsr_wavefront_per_row_multipass_kernelILj256ELj32ELj8EfllEEv20rocsparse_direction_T4_S2_S2_S2_S2_21rocsparse_index_base_PKT2_PKT3_PKS2_S3_PS4_PS7_PS2_.uses_vcc, 1
	.set _ZN9rocsparseL42csr2bsr_wavefront_per_row_multipass_kernelILj256ELj32ELj8EfllEEv20rocsparse_direction_T4_S2_S2_S2_S2_21rocsparse_index_base_PKT2_PKT3_PKS2_S3_PS4_PS7_PS2_.uses_flat_scratch, 0
	.set _ZN9rocsparseL42csr2bsr_wavefront_per_row_multipass_kernelILj256ELj32ELj8EfllEEv20rocsparse_direction_T4_S2_S2_S2_S2_21rocsparse_index_base_PKT2_PKT3_PKS2_S3_PS4_PS7_PS2_.has_dyn_sized_stack, 0
	.set _ZN9rocsparseL42csr2bsr_wavefront_per_row_multipass_kernelILj256ELj32ELj8EfllEEv20rocsparse_direction_T4_S2_S2_S2_S2_21rocsparse_index_base_PKT2_PKT3_PKS2_S3_PS4_PS7_PS2_.has_recursion, 0
	.set _ZN9rocsparseL42csr2bsr_wavefront_per_row_multipass_kernelILj256ELj32ELj8EfllEEv20rocsparse_direction_T4_S2_S2_S2_S2_21rocsparse_index_base_PKT2_PKT3_PKS2_S3_PS4_PS7_PS2_.has_indirect_call, 0
	.section	.AMDGPU.csdata,"",@progbits
; Kernel info:
; codeLenInByte = 2296
; TotalNumSgprs: 45
; NumVgprs: 58
; ScratchSize: 0
; MemoryBound: 0
; FloatMode: 240
; IeeeMode: 1
; LDSByteSize: 2056 bytes/workgroup (compile time only)
; SGPRBlocks: 0
; VGPRBlocks: 3
; NumSGPRsForWavesPerEU: 45
; NumVGPRsForWavesPerEU: 58
; NamedBarCnt: 0
; Occupancy: 16
; WaveLimiterHint : 0
; COMPUTE_PGM_RSRC2:SCRATCH_EN: 0
; COMPUTE_PGM_RSRC2:USER_SGPR: 2
; COMPUTE_PGM_RSRC2:TRAP_HANDLER: 0
; COMPUTE_PGM_RSRC2:TGID_X_EN: 1
; COMPUTE_PGM_RSRC2:TGID_Y_EN: 0
; COMPUTE_PGM_RSRC2:TGID_Z_EN: 0
; COMPUTE_PGM_RSRC2:TIDIG_COMP_CNT: 0
	.section	.text._ZN9rocsparseL42csr2bsr_wavefront_per_row_multipass_kernelILj256ELj64ELj16EfllEEv20rocsparse_direction_T4_S2_S2_S2_S2_21rocsparse_index_base_PKT2_PKT3_PKS2_S3_PS4_PS7_PS2_,"axG",@progbits,_ZN9rocsparseL42csr2bsr_wavefront_per_row_multipass_kernelILj256ELj64ELj16EfllEEv20rocsparse_direction_T4_S2_S2_S2_S2_21rocsparse_index_base_PKT2_PKT3_PKS2_S3_PS4_PS7_PS2_,comdat
	.globl	_ZN9rocsparseL42csr2bsr_wavefront_per_row_multipass_kernelILj256ELj64ELj16EfllEEv20rocsparse_direction_T4_S2_S2_S2_S2_21rocsparse_index_base_PKT2_PKT3_PKS2_S3_PS4_PS7_PS2_ ; -- Begin function _ZN9rocsparseL42csr2bsr_wavefront_per_row_multipass_kernelILj256ELj64ELj16EfllEEv20rocsparse_direction_T4_S2_S2_S2_S2_21rocsparse_index_base_PKT2_PKT3_PKS2_S3_PS4_PS7_PS2_
	.p2align	8
	.type	_ZN9rocsparseL42csr2bsr_wavefront_per_row_multipass_kernelILj256ELj64ELj16EfllEEv20rocsparse_direction_T4_S2_S2_S2_S2_21rocsparse_index_base_PKT2_PKT3_PKS2_S3_PS4_PS7_PS2_,@function
_ZN9rocsparseL42csr2bsr_wavefront_per_row_multipass_kernelILj256ELj64ELj16EfllEEv20rocsparse_direction_T4_S2_S2_S2_S2_21rocsparse_index_base_PKT2_PKT3_PKS2_S3_PS4_PS7_PS2_: ; @_ZN9rocsparseL42csr2bsr_wavefront_per_row_multipass_kernelILj256ELj64ELj16EfllEEv20rocsparse_direction_T4_S2_S2_S2_S2_21rocsparse_index_base_PKT2_PKT3_PKS2_S3_PS4_PS7_PS2_
; %bb.0:
	s_bfe_u32 s2, ttmp6, 0x4000c
	s_clause 0x1
	s_load_b96 s[8:10], s[0:1], 0x28
	s_load_b64 s[12:13], s[0:1], 0x40
	s_add_co_i32 s2, s2, 1
	s_and_b32 s3, ttmp6, 15
	s_mul_i32 s2, ttmp9, s2
	s_getreg_b32 s4, hwreg(HW_REG_IB_STS2, 6, 4)
	s_add_co_i32 s3, s3, s2
	s_cmp_eq_u32 s4, 0
	v_dual_mov_b32 v9, 0 :: v_dual_lshrrev_b32 v38, 6, v0
	s_cselect_b32 s14, ttmp9, s3
	v_bfe_u32 v8, v0, 2, 4
	s_ashr_i32 s15, s14, 31
	v_mov_b64_e32 v[22:23], 0
	s_lshl_b64 s[2:3], s[14:15], 2
	s_mov_b32 s11, 0
	v_or_b32_e32 v1, s2, v38
	s_load_b128 s[4:7], s[0:1], 0x18
	s_wait_kmcnt 0x0
	s_delay_alu instid0(VALU_DEP_1) | instskip(NEXT) | instid1(VALU_DEP_1)
	v_mad_nc_u64_u32 v[4:5], v1, s8, v[8:9]
	v_mad_u32 v2, s3, s8, v5
	s_load_b64 s[2:3], s[0:1], 0x8
	s_delay_alu instid0(VALU_DEP_1) | instskip(SKIP_2) | instid1(VALU_DEP_2)
	v_mad_u32 v5, v1, s9, v2
	v_mov_b64_e32 v[2:3], 0
	s_wait_kmcnt 0x0
	v_cmp_gt_i64_e32 vcc_lo, s[2:3], v[4:5]
	v_cmp_gt_i64_e64 s2, s[8:9], v[8:9]
	s_and_b32 s3, s2, vcc_lo
	s_delay_alu instid0(SALU_CYCLE_1)
	s_and_saveexec_b32 s15, s3
	s_cbranch_execz .LBB67_2
; %bb.1:
	v_lshl_add_u64 v[6:7], v[4:5], 3, s[12:13]
	global_load_b64 v[6:7], v[6:7], off
	s_wait_loadcnt 0x0
	v_sub_nc_u64_e64 v[22:23], v[6:7], s[10:11]
.LBB67_2:
	s_or_b32 exec_lo, exec_lo, s15
	s_and_saveexec_b32 s15, s3
	s_cbranch_execz .LBB67_4
; %bb.3:
	v_lshl_add_u64 v[2:3], v[4:5], 3, s[12:13]
	global_load_b64 v[2:3], v[2:3], off offset:8
	s_wait_loadcnt 0x0
	v_sub_nc_u64_e64 v[2:3], v[2:3], s[10:11]
.LBB67_4:
	s_or_b32 exec_lo, exec_lo, s15
	s_load_b32 s12, s[0:1], 0x50
	v_mov_b64_e32 v[4:5], 0
	v_lshl_or_b32 v6, s14, 2, v38
	v_mov_b32_e32 v7, 0
	s_mov_b32 s3, exec_lo
	s_delay_alu instid0(VALU_DEP_1)
	v_cmpx_gt_i64_e64 s[4:5], v[6:7]
	s_cbranch_execz .LBB67_6
; %bb.5:
	s_load_b64 s[4:5], s[0:1], 0x60
	s_mov_b32 s13, 0
	s_wait_kmcnt 0x0
	v_lshl_add_u64 v[4:5], v[6:7], 3, s[4:5]
	global_load_b64 v[4:5], v[4:5], off
	s_wait_loadcnt 0x0
	v_sub_nc_u64_e64 v[4:5], v[4:5], s[12:13]
.LBB67_6:
	s_or_b32 exec_lo, exec_lo, s3
	v_cmp_lt_i64_e64 s3, s[6:7], 1
	s_and_b32 vcc_lo, exec_lo, s3
	s_cbranch_vccnz .LBB67_43
; %bb.7:
	v_mbcnt_lo_u32_b32 v7, -1, 0
	s_clause 0x1
	s_load_b64 s[22:23], s[0:1], 0x58
	s_load_b64 s[4:5], s[0:1], 0x68
	v_dual_lshlrev_b32 v1, 6, v8 :: v_dual_lshlrev_b32 v10, 2, v8
	v_dual_mov_b32 v6, 0 :: v_dual_bitop2_b32 v12, 2, v7 bitop3:0x14
	v_and_b32_e32 v0, 3, v0
	v_or_b32_e32 v28, 32, v7
	v_mul_u64_e32 v[18:19], s[8:9], v[8:9]
	s_delay_alu instid0(VALU_DEP_4)
	v_mov_b32_e32 v11, v6
	v_cmp_gt_i32_e32 vcc_lo, 32, v12
	v_dual_mov_b32 v21, v6 :: v_dual_bitop2_b32 v13, 1, v7 bitop3:0x14
	v_lshl_or_b32 v39, v38, 10, v1
	v_dual_mov_b32 v25, v6 :: v_dual_bitop2_b32 v20, 4, v0 bitop3:0x54
	v_cndmask_b32_e32 v12, v7, v12, vcc_lo
	s_delay_alu instid0(VALU_DEP_4)
	v_cmp_gt_i32_e32 vcc_lo, 32, v13
	v_dual_mov_b32 v27, v6 :: v_dual_bitop2_b32 v24, 8, v0 bitop3:0x54
	s_wait_kmcnt 0x0
	v_add_nc_u64_e32 v[8:9], s[22:23], v[10:11]
	v_dual_mov_b32 v1, v6 :: v_dual_cndmask_b32 v10, v7, v13
	v_cmp_gt_i32_e32 vcc_lo, 32, v28
	v_dual_lshlrev_b32 v41, 2, v12 :: v_dual_bitop2_b32 v29, 16, v7 bitop3:0x14
	v_mul_u64_e32 v[12:13], s[8:9], v[20:21]
	s_delay_alu instid0(VALU_DEP_4) | instskip(NEXT) | instid1(VALU_DEP_3)
	v_dual_lshlrev_b32 v42, 2, v10 :: v_dual_cndmask_b32 v28, v7, v28, vcc_lo
	v_cmp_gt_i32_e32 vcc_lo, 32, v29
	v_or_b32_e32 v26, 12, v0
	v_mul_u64_e32 v[10:11], s[8:9], v[0:1]
	v_mul_u64_e32 v[14:15], s[8:9], v[24:25]
	s_clause 0x2
	s_load_b64 s[18:19], s[0:1], 0x48
	s_load_b64 s[20:21], s[0:1], 0x38
	s_load_b32 s3, s[0:1], 0x0
	v_cndmask_b32_e32 v29, v7, v29, vcc_lo
	v_mul_u64_e32 v[16:17], s[8:9], v[26:27]
	v_dual_lshlrev_b32 v44, 2, v28 :: v_dual_bitop2_b32 v30, 8, v7 bitop3:0x14
	s_delay_alu instid0(VALU_DEP_3) | instskip(SKIP_1) | instid1(VALU_DEP_3)
	v_dual_lshlrev_b32 v45, 2, v29 :: v_dual_bitop2_b32 v31, 4, v7 bitop3:0x14
	v_lshl_or_b32 v43, v7, 2, 12
	v_cmp_gt_i32_e32 vcc_lo, 32, v30
	s_wait_xcnt 0x0
	v_cmp_gt_u64_e64 s0, s[8:9], v[20:21]
	v_cmp_gt_u64_e64 s1, s[8:9], v[24:25]
	v_mov_b64_e32 v[24:25], 0
	v_lshl_or_b32 v40, v0, 2, v39
	v_cndmask_b32_e32 v28, v7, v30, vcc_lo
	v_cmp_gt_i32_e32 vcc_lo, 32, v31
	v_lshl_add_u64 v[18:19], v[18:19], 2, s[22:23]
	v_bfrev_b32_e32 v48, 0.5
	v_mov_b32_e32 v49, 1
	s_mov_b32 s17, 0
	v_cndmask_b32_e32 v7, v7, v31, vcc_lo
	s_wait_kmcnt 0x0
	s_cmp_lg_u32 s3, 0
	v_cmp_gt_u64_e32 vcc_lo, s[8:9], v[0:1]
	v_cmp_gt_u64_e64 s3, s[8:9], v[26:27]
	v_dual_lshlrev_b32 v46, 2, v28 :: v_dual_lshlrev_b32 v47, 2, v7
	s_mul_u64 s[14:15], s[8:9], s[8:9]
	s_mov_b32 s11, s17
	s_mov_b32 s13, s17
	s_cselect_b32 s26, -1, 0
	s_and_b32 s27, s2, vcc_lo
	s_and_b32 s28, s2, s0
	s_and_b32 s1, s2, s1
	s_mov_b64 s[22:23], 0xffffffff
	s_and_b32 s29, s2, s3
	s_ashr_i32 s2, s9, 31
	s_sub_co_i32 s30, 0, s8
	s_mov_b32 s31, 0
	s_branch .LBB67_10
.LBB67_8:                               ;   in Loop: Header=BB67_10 Depth=1
	s_wait_xcnt 0x0
	s_or_b32 exec_lo, exec_lo, s3
	v_mov_b64_e32 v[26:27], 1
.LBB67_9:                               ;   in Loop: Header=BB67_10 Depth=1
	s_or_b32 exec_lo, exec_lo, s0
	ds_bpermute_b32 v24, v44, v20
	ds_bpermute_b32 v25, v44, v21
	v_add_nc_u64_e32 v[4:5], v[26:27], v[4:5]
	s_wait_storecnt_dscnt 0x0
	v_min_i64 v[20:21], v[24:25], v[20:21]
	ds_bpermute_b32 v24, v45, v20
	ds_bpermute_b32 v25, v45, v21
	s_wait_dscnt 0x0
	v_min_i64 v[20:21], v[24:25], v[20:21]
	ds_bpermute_b32 v24, v46, v20
	ds_bpermute_b32 v25, v46, v21
	s_wait_dscnt 0x0
	;; [unrolled: 4-line block ×6, first 2 shown]
	v_cmp_le_i64_e32 vcc_lo, s[6:7], v[24:25]
	s_or_b32 s31, vcc_lo, s31
	s_delay_alu instid0(SALU_CYCLE_1)
	s_and_not1_b32 exec_lo, exec_lo, s31
	s_cbranch_execz .LBB67_43
.LBB67_10:                              ; =>This Loop Header: Depth=1
                                        ;     Child Loop BB67_13 Depth 2
	v_add_nc_u64_e32 v[22:23], v[22:23], v[0:1]
	v_mov_b64_e32 v[20:21], s[6:7]
	v_mov_b64_e32 v[36:37], v[2:3]
	s_mov_b32 s33, exec_lo
	ds_store_b8 v38, v6 offset:4096
	ds_store_2addr_b32 v40, v6, v6 offset1:4
	ds_store_2addr_b32 v40, v6, v6 offset0:8 offset1:12
	s_wait_dscnt 0x0
	v_cmpx_lt_i64_e64 v[22:23], v[2:3]
	s_cbranch_execz .LBB67_22
; %bb.11:                               ;   in Loop: Header=BB67_10 Depth=1
	v_mul_u64_e32 v[26:27], s[8:9], v[24:25]
	v_mov_b64_e32 v[20:21], s[6:7]
	v_mov_b64_e32 v[32:33], v[2:3]
	v_lshl_add_u64 v[28:29], v[22:23], 2, s[20:21]
	v_lshl_add_u64 v[30:31], v[22:23], 3, s[18:19]
	s_mov_b32 s34, 0
	s_branch .LBB67_13
.LBB67_12:                              ;   in Loop: Header=BB67_13 Depth=2
	s_wait_xcnt 0x0
	s_or_b32 exec_lo, exec_lo, s0
	v_add_nc_u64_e32 v[22:23], 4, v[22:23]
	s_xor_b32 s3, vcc_lo, -1
	v_add_nc_u64_e32 v[28:29], 16, v[28:29]
	v_add_nc_u64_e32 v[30:31], 32, v[30:31]
	v_mov_b64_e32 v[32:33], v[36:37]
	s_delay_alu instid0(VALU_DEP_4) | instskip(SKIP_1) | instid1(SALU_CYCLE_1)
	v_cmp_ge_i64_e64 s0, v[22:23], v[2:3]
	s_or_b32 s0, s3, s0
	s_and_b32 s0, exec_lo, s0
	s_delay_alu instid0(SALU_CYCLE_1) | instskip(NEXT) | instid1(SALU_CYCLE_1)
	s_or_b32 s34, s0, s34
	s_and_not1_b32 exec_lo, exec_lo, s34
	s_cbranch_execz .LBB67_21
.LBB67_13:                              ;   Parent Loop BB67_10 Depth=1
                                        ; =>  This Inner Loop Header: Depth=2
	global_load_b64 v[34:35], v[30:31], off
                                        ; implicit-def: $vgpr36_vgpr37
	s_mov_b32 s0, exec_lo
	s_wait_loadcnt 0x0
	v_sub_nc_u64_e64 v[34:35], v[34:35], s[10:11]
	s_delay_alu instid0(VALU_DEP_1) | instskip(SKIP_1) | instid1(VALU_DEP_1)
	v_or_b32_e32 v7, s9, v35
	s_wait_xcnt 0x0
	v_cmpx_ne_u64_e32 0, v[6:7]
	s_xor_b32 s35, exec_lo, s0
	s_cbranch_execz .LBB67_15
; %bb.14:                               ;   in Loop: Header=BB67_13 Depth=2
	s_mov_b32 s3, s2
	v_dual_mov_b32 v53, v6 :: v_dual_ashrrev_i32 v36, 31, v35
	s_add_nc_u64 s[24:25], s[8:9], s[2:3]
	s_delay_alu instid0(SALU_CYCLE_1) | instskip(NEXT) | instid1(VALU_DEP_1)
	s_xor_b64 s[24:25], s[24:25], s[2:3]
	v_mov_b32_e32 v37, v36
	s_cvt_f32_u32 s0, s24
	s_cvt_f32_u32 s3, s25
	s_sub_nc_u64 s[38:39], 0, s[24:25]
	s_delay_alu instid0(VALU_DEP_1) | instskip(NEXT) | instid1(SALU_CYCLE_1)
	v_add_nc_u64_e32 v[50:51], v[34:35], v[36:37]
	s_fmamk_f32 s0, s3, 0x4f800000, s0
	v_mov_b32_e32 v57, v6
	s_delay_alu instid0(SALU_CYCLE_2) | instskip(NEXT) | instid1(VALU_DEP_2)
	v_s_rcp_f32 s0, s0
	v_xor_b32_e32 v52, v50, v36
	s_delay_alu instid0(VALU_DEP_3) | instskip(NEXT) | instid1(TRANS32_DEP_1)
	v_dual_mov_b32 v61, v6 :: v_dual_bitop2_b32 v56, v51, v36 bitop3:0x14
	s_mul_f32 s0, s0, 0x5f7ffffc
	s_delay_alu instid0(SALU_CYCLE_3) | instskip(NEXT) | instid1(SALU_CYCLE_3)
	s_mul_f32 s3, s0, 0x2f800000
	s_trunc_f32 s3, s3
	s_delay_alu instid0(SALU_CYCLE_3) | instskip(SKIP_1) | instid1(SALU_CYCLE_2)
	s_fmamk_f32 s0, s3, 0xcf800000, s0
	s_cvt_u32_f32 s37, s3
	s_cvt_u32_f32 s36, s0
	s_delay_alu instid0(SALU_CYCLE_3) | instskip(NEXT) | instid1(SALU_CYCLE_1)
	s_mul_u64 s[40:41], s[38:39], s[36:37]
	s_mul_hi_u32 s43, s36, s41
	s_mul_i32 s42, s36, s41
	s_mul_hi_u32 s16, s36, s40
	s_mul_i32 s3, s37, s40
	s_add_nc_u64 s[42:43], s[16:17], s[42:43]
	s_mul_hi_u32 s0, s37, s40
	s_mul_hi_u32 s44, s37, s41
	s_add_co_u32 s3, s42, s3
	s_add_co_ci_u32 s16, s43, s0
	s_mul_i32 s40, s37, s41
	s_add_co_ci_u32 s41, s44, 0
	s_delay_alu instid0(SALU_CYCLE_1) | instskip(NEXT) | instid1(SALU_CYCLE_1)
	s_add_nc_u64 s[40:41], s[16:17], s[40:41]
	s_add_co_u32 s36, s36, s40
	s_cselect_b32 s0, -1, 0
	s_delay_alu instid0(SALU_CYCLE_1) | instskip(SKIP_1) | instid1(SALU_CYCLE_1)
	s_cmp_lg_u32 s0, 0
	s_add_co_ci_u32 s37, s37, s41
	s_mul_u64 s[38:39], s[38:39], s[36:37]
	s_delay_alu instid0(SALU_CYCLE_1)
	s_mul_hi_u32 s41, s36, s39
	s_mul_i32 s40, s36, s39
	s_mul_hi_u32 s16, s36, s38
	s_mul_i32 s3, s37, s38
	s_add_nc_u64 s[40:41], s[16:17], s[40:41]
	s_mul_hi_u32 s0, s37, s38
	s_mul_hi_u32 s42, s37, s39
	s_add_co_u32 s3, s40, s3
	s_add_co_ci_u32 s16, s41, s0
	s_mul_i32 s38, s37, s39
	s_add_co_ci_u32 s39, s42, 0
	s_delay_alu instid0(SALU_CYCLE_1) | instskip(NEXT) | instid1(SALU_CYCLE_1)
	s_add_nc_u64 s[38:39], s[16:17], s[38:39]
	s_add_co_u32 s0, s36, s38
	s_cselect_b32 s3, -1, 0
	v_mul_hi_u32 v60, v52, s0
	s_cmp_lg_u32 s3, 0
	s_add_co_ci_u32 s16, s37, s39
	s_and_b64 s[36:37], s[0:1], s[22:23]
	v_mul_u64_e32 v[54:55], s[16:17], v[52:53]
	v_mul_u64_e32 v[50:51], s[36:37], v[56:57]
	;; [unrolled: 1-line block ×3, first 2 shown]
	s_delay_alu instid0(VALU_DEP_3) | instskip(NEXT) | instid1(VALU_DEP_1)
	v_add_nc_u64_e32 v[54:55], v[60:61], v[54:55]
	v_add_co_u32 v7, vcc_lo, v54, v50
	s_delay_alu instid0(VALU_DEP_2) | instskip(NEXT) | instid1(VALU_DEP_4)
	v_add_co_ci_u32_e32 v60, vcc_lo, v55, v51, vcc_lo
	v_add_co_ci_u32_e32 v59, vcc_lo, 0, v59, vcc_lo
	s_delay_alu instid0(VALU_DEP_1) | instskip(NEXT) | instid1(VALU_DEP_1)
	v_add_nc_u64_e32 v[50:51], v[60:61], v[58:59]
	v_mul_u64_e32 v[54:55], s[24:25], v[50:51]
	s_delay_alu instid0(VALU_DEP_1) | instskip(NEXT) | instid1(VALU_DEP_2)
	v_sub_nc_u32_e32 v7, v56, v55
	v_sub_co_u32 v27, vcc_lo, v52, v54
	s_delay_alu instid0(VALU_DEP_1) | instskip(NEXT) | instid1(VALU_DEP_3)
	v_sub_co_ci_u32_e64 v37, null, v56, v55, vcc_lo
	v_subrev_co_ci_u32_e64 v7, null, s25, v7, vcc_lo
	s_delay_alu instid0(VALU_DEP_3) | instskip(SKIP_1) | instid1(VALU_DEP_3)
	v_sub_co_u32 v35, s0, v27, s24
	v_add_nc_u64_e32 v[54:55], 1, v[50:51]
	v_subrev_co_ci_u32_e64 v7, null, 0, v7, s0
	s_delay_alu instid0(VALU_DEP_3) | instskip(SKIP_1) | instid1(VALU_DEP_3)
	v_cmp_le_u32_e32 vcc_lo, s24, v35
	v_cndmask_b32_e64 v35, 0, -1, vcc_lo
	v_cmp_le_u32_e32 vcc_lo, s25, v7
	v_cndmask_b32_e64 v52, 0, -1, vcc_lo
	;; [unrolled: 2-line block ×4, first 2 shown]
	v_cmp_eq_u32_e32 vcc_lo, s25, v7
	v_cndmask_b32_e32 v7, v52, v35, vcc_lo
	v_cmp_eq_u32_e32 vcc_lo, s25, v37
	v_add_nc_u64_e32 v[52:53], 2, v[50:51]
	v_cndmask_b32_e32 v27, v56, v27, vcc_lo
	s_delay_alu instid0(VALU_DEP_4) | instskip(NEXT) | instid1(VALU_DEP_3)
	v_cmp_ne_u32_e32 vcc_lo, 0, v7
	v_cndmask_b32_e32 v7, v55, v53, vcc_lo
	s_delay_alu instid0(VALU_DEP_3) | instskip(SKIP_1) | instid1(VALU_DEP_2)
	v_cmp_ne_u32_e64 s0, 0, v27
	v_cndmask_b32_e32 v27, v54, v52, vcc_lo
	v_dual_cndmask_b32 v7, v51, v7, s0 :: v_dual_bitop2_b32 v36, s2, v36 bitop3:0x14
	s_delay_alu instid0(VALU_DEP_1) | instskip(NEXT) | instid1(VALU_DEP_2)
	v_dual_cndmask_b32 v27, v50, v27, s0 :: v_dual_mov_b32 v37, v36
	v_xor_b32_e32 v51, v7, v36
	s_delay_alu instid0(VALU_DEP_2) | instskip(NEXT) | instid1(VALU_DEP_1)
	v_xor_b32_e32 v50, v27, v36
	v_sub_nc_u64_e32 v[36:37], v[50:51], v[36:37]
.LBB67_15:                              ;   in Loop: Header=BB67_13 Depth=2
	s_and_not1_saveexec_b32 s0, s35
	s_cbranch_execz .LBB67_17
; %bb.16:                               ;   in Loop: Header=BB67_13 Depth=2
	v_cvt_f32_u32_e32 v7, s8
	v_mov_b32_e32 v37, v6
	s_delay_alu instid0(VALU_DEP_2) | instskip(SKIP_1) | instid1(TRANS32_DEP_1)
	v_rcp_iflag_f32_e32 v7, v7
	v_nop
	v_mul_f32_e32 v7, 0x4f7ffffe, v7
	s_delay_alu instid0(VALU_DEP_1) | instskip(NEXT) | instid1(VALU_DEP_1)
	v_cvt_u32_f32_e32 v7, v7
	v_mul_lo_u32 v27, s30, v7
	s_delay_alu instid0(VALU_DEP_1) | instskip(NEXT) | instid1(VALU_DEP_1)
	v_mul_hi_u32 v27, v7, v27
	v_add_nc_u32_e32 v7, v7, v27
	s_delay_alu instid0(VALU_DEP_1) | instskip(NEXT) | instid1(VALU_DEP_1)
	v_mul_hi_u32 v7, v34, v7
	v_mul_lo_u32 v27, v7, s8
	s_delay_alu instid0(VALU_DEP_1) | instskip(NEXT) | instid1(VALU_DEP_1)
	v_sub_nc_u32_e32 v27, v34, v27
	v_subrev_nc_u32_e32 v36, s8, v27
	v_cmp_le_u32_e32 vcc_lo, s8, v27
	s_delay_alu instid0(VALU_DEP_2) | instskip(NEXT) | instid1(VALU_DEP_1)
	v_dual_add_nc_u32 v35, 1, v7 :: v_dual_cndmask_b32 v27, v27, v36, vcc_lo
	v_cndmask_b32_e32 v7, v7, v35, vcc_lo
	s_delay_alu instid0(VALU_DEP_2) | instskip(NEXT) | instid1(VALU_DEP_2)
	v_cmp_le_u32_e32 vcc_lo, s8, v27
	v_add_nc_u32_e32 v35, 1, v7
	s_delay_alu instid0(VALU_DEP_1)
	v_cndmask_b32_e32 v36, v7, v35, vcc_lo
.LBB67_17:                              ;   in Loop: Header=BB67_13 Depth=2
	s_or_b32 exec_lo, exec_lo, s0
	s_delay_alu instid0(VALU_DEP_1) | instskip(SKIP_2) | instid1(SALU_CYCLE_1)
	v_cmp_ne_u64_e64 s0, v[36:37], v[24:25]
	v_cmp_eq_u64_e32 vcc_lo, v[36:37], v[24:25]
	s_and_saveexec_b32 s3, s0
	s_xor_b32 s0, exec_lo, s3
; %bb.18:                               ;   in Loop: Header=BB67_13 Depth=2
	v_min_i64 v[20:21], v[36:37], v[20:21]
                                        ; implicit-def: $vgpr34_vgpr35
                                        ; implicit-def: $vgpr32_vgpr33
; %bb.19:                               ;   in Loop: Header=BB67_13 Depth=2
	s_or_saveexec_b32 s0, s0
	v_mov_b64_e32 v[36:37], v[22:23]
	s_xor_b32 exec_lo, exec_lo, s0
	s_cbranch_execz .LBB67_12
; %bb.20:                               ;   in Loop: Header=BB67_13 Depth=2
	global_load_b32 v7, v[28:29], off
	v_sub_nc_u32_e32 v27, v34, v26
	v_mov_b64_e32 v[36:37], v[32:33]
	s_delay_alu instid0(VALU_DEP_2)
	v_lshl_add_u32 v27, v27, 2, v39
	ds_store_b8 v38, v49 offset:4096
	s_wait_loadcnt 0x0
	ds_store_b32 v27, v7
	s_branch .LBB67_12
.LBB67_21:                              ;   in Loop: Header=BB67_10 Depth=1
	s_or_b32 exec_lo, exec_lo, s34
.LBB67_22:                              ;   in Loop: Header=BB67_10 Depth=1
	s_delay_alu instid0(SALU_CYCLE_1)
	s_or_b32 exec_lo, exec_lo, s33
	ds_bpermute_b32 v22, v41, v36
	ds_bpermute_b32 v23, v41, v37
	s_wait_dscnt 0x0
	ds_load_u8 v7, v38 offset:4096
	s_mov_b32 s0, exec_lo
	v_min_i64 v[22:23], v[22:23], v[36:37]
	s_wait_dscnt 0x0
	v_and_b32_e32 v7, 1, v7
	ds_bpermute_b32 v26, v42, v22
	ds_bpermute_b32 v27, v42, v23
	s_wait_dscnt 0x0
	v_min_i64 v[22:23], v[26:27], v[22:23]
	v_mov_b64_e32 v[26:27], 0
	ds_bpermute_b32 v22, v43, v22
	ds_bpermute_b32 v23, v43, v23
	v_cmpx_eq_u32_e32 1, v7
	s_cbranch_execz .LBB67_9
; %bb.23:                               ;   in Loop: Header=BB67_10 Depth=1
	v_mul_u64_e32 v[26:27], s[14:15], v[4:5]
	v_add_nc_u64_e32 v[30:31], s[12:13], v[24:25]
	s_delay_alu instid0(VALU_DEP_2) | instskip(NEXT) | instid1(VALU_DEP_1)
	v_lshlrev_b64_e32 v[28:29], 2, v[26:27]
	v_add_nc_u64_e32 v[26:27], v[8:9], v[28:29]
	v_add_nc_u64_e32 v[24:25], v[18:19], v[28:29]
	v_lshl_add_u64 v[28:29], v[4:5], 3, s[4:5]
	global_store_b64 v[28:29], v[30:31], off
	s_wait_xcnt 0x0
	s_and_saveexec_b32 s3, s27
	s_cbranch_execz .LBB67_27
; %bb.24:                               ;   in Loop: Header=BB67_10 Depth=1
	ds_load_b32 v7, v40
	s_and_b32 vcc_lo, exec_lo, s26
	s_cbranch_vccz .LBB67_38
; %bb.25:                               ;   in Loop: Header=BB67_10 Depth=1
	v_lshl_add_u64 v[28:29], v[10:11], 2, v[26:27]
	s_wait_dscnt 0x0
	global_store_b32 v[28:29], v7, off
	s_cbranch_execnz .LBB67_27
.LBB67_26:                              ;   in Loop: Header=BB67_10 Depth=1
	s_wait_xcnt 0x0
	v_dual_mov_b32 v29, v6 :: v_dual_lshlrev_b32 v28, 2, v0
	s_delay_alu instid0(VALU_DEP_1)
	v_add_nc_u64_e32 v[28:29], v[24:25], v[28:29]
	s_wait_dscnt 0x0
	global_store_b32 v[28:29], v7, off
.LBB67_27:                              ;   in Loop: Header=BB67_10 Depth=1
	s_wait_xcnt 0x0
	s_or_b32 exec_lo, exec_lo, s3
	s_and_saveexec_b32 s3, s28
	s_cbranch_execz .LBB67_31
; %bb.28:                               ;   in Loop: Header=BB67_10 Depth=1
	s_and_not1_b32 vcc_lo, exec_lo, s26
	s_cbranch_vccnz .LBB67_39
; %bb.29:                               ;   in Loop: Header=BB67_10 Depth=1
	s_wait_dscnt 0x0
	ds_load_b32 v7, v40 offset:16
	v_lshl_add_u64 v[28:29], v[12:13], 2, v[26:27]
	s_wait_dscnt 0x0
	global_store_b32 v[28:29], v7, off
	s_cbranch_execnz .LBB67_31
.LBB67_30:                              ;   in Loop: Header=BB67_10 Depth=1
	s_wait_dscnt 0x0
	s_wait_xcnt 0x0
	ds_load_b32 v7, v40 offset:16
	v_dual_mov_b32 v29, v6 :: v_dual_lshlrev_b32 v28, 2, v0
	s_delay_alu instid0(VALU_DEP_1)
	v_add_nc_u64_e32 v[28:29], v[24:25], v[28:29]
	s_wait_dscnt 0x0
	global_store_b32 v[28:29], v7, off offset:16
.LBB67_31:                              ;   in Loop: Header=BB67_10 Depth=1
	s_wait_xcnt 0x0
	s_or_b32 exec_lo, exec_lo, s3
	s_and_saveexec_b32 s3, s1
	s_cbranch_execz .LBB67_35
; %bb.32:                               ;   in Loop: Header=BB67_10 Depth=1
	s_and_not1_b32 vcc_lo, exec_lo, s26
	s_cbranch_vccnz .LBB67_40
; %bb.33:                               ;   in Loop: Header=BB67_10 Depth=1
	s_wait_dscnt 0x0
	ds_load_b32 v7, v40 offset:32
	v_lshl_add_u64 v[28:29], v[14:15], 2, v[26:27]
	s_wait_dscnt 0x0
	global_store_b32 v[28:29], v7, off
	s_cbranch_execnz .LBB67_35
.LBB67_34:                              ;   in Loop: Header=BB67_10 Depth=1
	s_wait_dscnt 0x0
	s_wait_xcnt 0x0
	ds_load_b32 v7, v40 offset:32
	v_dual_mov_b32 v29, v6 :: v_dual_lshlrev_b32 v28, 2, v0
	s_delay_alu instid0(VALU_DEP_1)
	v_add_nc_u64_e32 v[28:29], v[24:25], v[28:29]
	s_wait_dscnt 0x0
	global_store_b32 v[28:29], v7, off offset:32
.LBB67_35:                              ;   in Loop: Header=BB67_10 Depth=1
	s_wait_xcnt 0x0
	s_or_b32 exec_lo, exec_lo, s3
	s_and_saveexec_b32 s3, s29
	s_cbranch_execz .LBB67_8
; %bb.36:                               ;   in Loop: Header=BB67_10 Depth=1
	s_and_not1_b32 vcc_lo, exec_lo, s26
	s_cbranch_vccnz .LBB67_41
; %bb.37:                               ;   in Loop: Header=BB67_10 Depth=1
	s_wait_dscnt 0x0
	ds_load_b32 v7, v40 offset:48
	v_lshl_add_u64 v[26:27], v[16:17], 2, v[26:27]
	s_wait_dscnt 0x0
	global_store_b32 v[26:27], v7, off
	s_cbranch_execnz .LBB67_8
	s_branch .LBB67_42
.LBB67_38:                              ;   in Loop: Header=BB67_10 Depth=1
	s_branch .LBB67_26
.LBB67_39:                              ;   in Loop: Header=BB67_10 Depth=1
	s_branch .LBB67_30
.LBB67_40:                              ;   in Loop: Header=BB67_10 Depth=1
	s_branch .LBB67_34
.LBB67_41:                              ;   in Loop: Header=BB67_10 Depth=1
.LBB67_42:                              ;   in Loop: Header=BB67_10 Depth=1
	s_wait_dscnt 0x0
	s_wait_xcnt 0x0
	ds_load_b32 v7, v40 offset:48
	v_dual_mov_b32 v27, v6 :: v_dual_lshlrev_b32 v26, 2, v0
	s_delay_alu instid0(VALU_DEP_1)
	v_add_nc_u64_e32 v[24:25], v[24:25], v[26:27]
	s_wait_dscnt 0x0
	global_store_b32 v[24:25], v7, off offset:48
	s_branch .LBB67_8
.LBB67_43:
	s_endpgm
	.section	.rodata,"a",@progbits
	.p2align	6, 0x0
	.amdhsa_kernel _ZN9rocsparseL42csr2bsr_wavefront_per_row_multipass_kernelILj256ELj64ELj16EfllEEv20rocsparse_direction_T4_S2_S2_S2_S2_21rocsparse_index_base_PKT2_PKT3_PKS2_S3_PS4_PS7_PS2_
		.amdhsa_group_segment_fixed_size 4100
		.amdhsa_private_segment_fixed_size 0
		.amdhsa_kernarg_size 112
		.amdhsa_user_sgpr_count 2
		.amdhsa_user_sgpr_dispatch_ptr 0
		.amdhsa_user_sgpr_queue_ptr 0
		.amdhsa_user_sgpr_kernarg_segment_ptr 1
		.amdhsa_user_sgpr_dispatch_id 0
		.amdhsa_user_sgpr_kernarg_preload_length 0
		.amdhsa_user_sgpr_kernarg_preload_offset 0
		.amdhsa_user_sgpr_private_segment_size 0
		.amdhsa_wavefront_size32 1
		.amdhsa_uses_dynamic_stack 0
		.amdhsa_enable_private_segment 0
		.amdhsa_system_sgpr_workgroup_id_x 1
		.amdhsa_system_sgpr_workgroup_id_y 0
		.amdhsa_system_sgpr_workgroup_id_z 0
		.amdhsa_system_sgpr_workgroup_info 0
		.amdhsa_system_vgpr_workitem_id 0
		.amdhsa_next_free_vgpr 62
		.amdhsa_next_free_sgpr 45
		.amdhsa_named_barrier_count 0
		.amdhsa_reserve_vcc 1
		.amdhsa_float_round_mode_32 0
		.amdhsa_float_round_mode_16_64 0
		.amdhsa_float_denorm_mode_32 3
		.amdhsa_float_denorm_mode_16_64 3
		.amdhsa_fp16_overflow 0
		.amdhsa_memory_ordered 1
		.amdhsa_forward_progress 1
		.amdhsa_inst_pref_size 21
		.amdhsa_round_robin_scheduling 0
		.amdhsa_exception_fp_ieee_invalid_op 0
		.amdhsa_exception_fp_denorm_src 0
		.amdhsa_exception_fp_ieee_div_zero 0
		.amdhsa_exception_fp_ieee_overflow 0
		.amdhsa_exception_fp_ieee_underflow 0
		.amdhsa_exception_fp_ieee_inexact 0
		.amdhsa_exception_int_div_zero 0
	.end_amdhsa_kernel
	.section	.text._ZN9rocsparseL42csr2bsr_wavefront_per_row_multipass_kernelILj256ELj64ELj16EfllEEv20rocsparse_direction_T4_S2_S2_S2_S2_21rocsparse_index_base_PKT2_PKT3_PKS2_S3_PS4_PS7_PS2_,"axG",@progbits,_ZN9rocsparseL42csr2bsr_wavefront_per_row_multipass_kernelILj256ELj64ELj16EfllEEv20rocsparse_direction_T4_S2_S2_S2_S2_21rocsparse_index_base_PKT2_PKT3_PKS2_S3_PS4_PS7_PS2_,comdat
.Lfunc_end67:
	.size	_ZN9rocsparseL42csr2bsr_wavefront_per_row_multipass_kernelILj256ELj64ELj16EfllEEv20rocsparse_direction_T4_S2_S2_S2_S2_21rocsparse_index_base_PKT2_PKT3_PKS2_S3_PS4_PS7_PS2_, .Lfunc_end67-_ZN9rocsparseL42csr2bsr_wavefront_per_row_multipass_kernelILj256ELj64ELj16EfllEEv20rocsparse_direction_T4_S2_S2_S2_S2_21rocsparse_index_base_PKT2_PKT3_PKS2_S3_PS4_PS7_PS2_
                                        ; -- End function
	.set _ZN9rocsparseL42csr2bsr_wavefront_per_row_multipass_kernelILj256ELj64ELj16EfllEEv20rocsparse_direction_T4_S2_S2_S2_S2_21rocsparse_index_base_PKT2_PKT3_PKS2_S3_PS4_PS7_PS2_.num_vgpr, 62
	.set _ZN9rocsparseL42csr2bsr_wavefront_per_row_multipass_kernelILj256ELj64ELj16EfllEEv20rocsparse_direction_T4_S2_S2_S2_S2_21rocsparse_index_base_PKT2_PKT3_PKS2_S3_PS4_PS7_PS2_.num_agpr, 0
	.set _ZN9rocsparseL42csr2bsr_wavefront_per_row_multipass_kernelILj256ELj64ELj16EfllEEv20rocsparse_direction_T4_S2_S2_S2_S2_21rocsparse_index_base_PKT2_PKT3_PKS2_S3_PS4_PS7_PS2_.numbered_sgpr, 45
	.set _ZN9rocsparseL42csr2bsr_wavefront_per_row_multipass_kernelILj256ELj64ELj16EfllEEv20rocsparse_direction_T4_S2_S2_S2_S2_21rocsparse_index_base_PKT2_PKT3_PKS2_S3_PS4_PS7_PS2_.num_named_barrier, 0
	.set _ZN9rocsparseL42csr2bsr_wavefront_per_row_multipass_kernelILj256ELj64ELj16EfllEEv20rocsparse_direction_T4_S2_S2_S2_S2_21rocsparse_index_base_PKT2_PKT3_PKS2_S3_PS4_PS7_PS2_.private_seg_size, 0
	.set _ZN9rocsparseL42csr2bsr_wavefront_per_row_multipass_kernelILj256ELj64ELj16EfllEEv20rocsparse_direction_T4_S2_S2_S2_S2_21rocsparse_index_base_PKT2_PKT3_PKS2_S3_PS4_PS7_PS2_.uses_vcc, 1
	.set _ZN9rocsparseL42csr2bsr_wavefront_per_row_multipass_kernelILj256ELj64ELj16EfllEEv20rocsparse_direction_T4_S2_S2_S2_S2_21rocsparse_index_base_PKT2_PKT3_PKS2_S3_PS4_PS7_PS2_.uses_flat_scratch, 0
	.set _ZN9rocsparseL42csr2bsr_wavefront_per_row_multipass_kernelILj256ELj64ELj16EfllEEv20rocsparse_direction_T4_S2_S2_S2_S2_21rocsparse_index_base_PKT2_PKT3_PKS2_S3_PS4_PS7_PS2_.has_dyn_sized_stack, 0
	.set _ZN9rocsparseL42csr2bsr_wavefront_per_row_multipass_kernelILj256ELj64ELj16EfllEEv20rocsparse_direction_T4_S2_S2_S2_S2_21rocsparse_index_base_PKT2_PKT3_PKS2_S3_PS4_PS7_PS2_.has_recursion, 0
	.set _ZN9rocsparseL42csr2bsr_wavefront_per_row_multipass_kernelILj256ELj64ELj16EfllEEv20rocsparse_direction_T4_S2_S2_S2_S2_21rocsparse_index_base_PKT2_PKT3_PKS2_S3_PS4_PS7_PS2_.has_indirect_call, 0
	.section	.AMDGPU.csdata,"",@progbits
; Kernel info:
; codeLenInByte = 2660
; TotalNumSgprs: 47
; NumVgprs: 62
; ScratchSize: 0
; MemoryBound: 0
; FloatMode: 240
; IeeeMode: 1
; LDSByteSize: 4100 bytes/workgroup (compile time only)
; SGPRBlocks: 0
; VGPRBlocks: 3
; NumSGPRsForWavesPerEU: 47
; NumVGPRsForWavesPerEU: 62
; NamedBarCnt: 0
; Occupancy: 16
; WaveLimiterHint : 0
; COMPUTE_PGM_RSRC2:SCRATCH_EN: 0
; COMPUTE_PGM_RSRC2:USER_SGPR: 2
; COMPUTE_PGM_RSRC2:TRAP_HANDLER: 0
; COMPUTE_PGM_RSRC2:TGID_X_EN: 1
; COMPUTE_PGM_RSRC2:TGID_Y_EN: 0
; COMPUTE_PGM_RSRC2:TGID_Z_EN: 0
; COMPUTE_PGM_RSRC2:TIDIG_COMP_CNT: 0
	.section	.text._ZN9rocsparseL42csr2bsr_wavefront_per_row_multipass_kernelILj256ELj32ELj16EfllEEv20rocsparse_direction_T4_S2_S2_S2_S2_21rocsparse_index_base_PKT2_PKT3_PKS2_S3_PS4_PS7_PS2_,"axG",@progbits,_ZN9rocsparseL42csr2bsr_wavefront_per_row_multipass_kernelILj256ELj32ELj16EfllEEv20rocsparse_direction_T4_S2_S2_S2_S2_21rocsparse_index_base_PKT2_PKT3_PKS2_S3_PS4_PS7_PS2_,comdat
	.globl	_ZN9rocsparseL42csr2bsr_wavefront_per_row_multipass_kernelILj256ELj32ELj16EfllEEv20rocsparse_direction_T4_S2_S2_S2_S2_21rocsparse_index_base_PKT2_PKT3_PKS2_S3_PS4_PS7_PS2_ ; -- Begin function _ZN9rocsparseL42csr2bsr_wavefront_per_row_multipass_kernelILj256ELj32ELj16EfllEEv20rocsparse_direction_T4_S2_S2_S2_S2_21rocsparse_index_base_PKT2_PKT3_PKS2_S3_PS4_PS7_PS2_
	.p2align	8
	.type	_ZN9rocsparseL42csr2bsr_wavefront_per_row_multipass_kernelILj256ELj32ELj16EfllEEv20rocsparse_direction_T4_S2_S2_S2_S2_21rocsparse_index_base_PKT2_PKT3_PKS2_S3_PS4_PS7_PS2_,@function
_ZN9rocsparseL42csr2bsr_wavefront_per_row_multipass_kernelILj256ELj32ELj16EfllEEv20rocsparse_direction_T4_S2_S2_S2_S2_21rocsparse_index_base_PKT2_PKT3_PKS2_S3_PS4_PS7_PS2_: ; @_ZN9rocsparseL42csr2bsr_wavefront_per_row_multipass_kernelILj256ELj32ELj16EfllEEv20rocsparse_direction_T4_S2_S2_S2_S2_21rocsparse_index_base_PKT2_PKT3_PKS2_S3_PS4_PS7_PS2_
; %bb.0:
	s_bfe_u32 s2, ttmp6, 0x4000c
	s_clause 0x1
	s_load_b96 s[12:14], s[0:1], 0x28
	s_load_b64 s[6:7], s[0:1], 0x40
	s_add_co_i32 s2, s2, 1
	s_and_b32 s3, ttmp6, 15
	s_mul_i32 s2, ttmp9, s2
	s_getreg_b32 s4, hwreg(HW_REG_IB_STS2, 6, 4)
	s_add_co_i32 s3, s3, s2
	s_cmp_eq_u32 s4, 0
	v_dual_mov_b32 v11, 0 :: v_dual_lshrrev_b32 v46, 5, v0
	s_cselect_b32 s4, ttmp9, s3
	v_bfe_u32 v10, v0, 1, 4
	s_ashr_i32 s5, s4, 31
	v_mov_b64_e32 v[30:31], 0
	s_lshl_b64 s[2:3], s[4:5], 3
	s_mov_b32 s15, 0
	v_or_b32_e32 v1, s2, v46
	s_load_b128 s[8:11], s[0:1], 0x18
	s_wait_kmcnt 0x0
	s_delay_alu instid0(VALU_DEP_1) | instskip(NEXT) | instid1(VALU_DEP_1)
	v_mad_nc_u64_u32 v[4:5], v1, s12, v[10:11]
	v_mad_u32 v2, s3, s12, v5
	s_load_b64 s[2:3], s[0:1], 0x8
	s_delay_alu instid0(VALU_DEP_1) | instskip(SKIP_2) | instid1(VALU_DEP_2)
	v_mad_u32 v5, v1, s13, v2
	v_mov_b64_e32 v[2:3], 0
	s_wait_kmcnt 0x0
	v_cmp_gt_i64_e32 vcc_lo, s[2:3], v[4:5]
	v_cmp_gt_i64_e64 s2, s[12:13], v[10:11]
	s_and_b32 s3, s2, vcc_lo
	s_delay_alu instid0(SALU_CYCLE_1)
	s_and_saveexec_b32 s5, s3
	s_cbranch_execz .LBB68_2
; %bb.1:
	v_lshl_add_u64 v[6:7], v[4:5], 3, s[6:7]
	global_load_b64 v[6:7], v[6:7], off
	s_wait_loadcnt 0x0
	v_sub_nc_u64_e64 v[30:31], v[6:7], s[14:15]
.LBB68_2:
	s_or_b32 exec_lo, exec_lo, s5
	s_and_saveexec_b32 s5, s3
	s_cbranch_execz .LBB68_4
; %bb.3:
	v_lshl_add_u64 v[2:3], v[4:5], 3, s[6:7]
	global_load_b64 v[2:3], v[2:3], off offset:8
	s_wait_loadcnt 0x0
	v_sub_nc_u64_e64 v[2:3], v[2:3], s[14:15]
.LBB68_4:
	s_or_b32 exec_lo, exec_lo, s5
	s_load_b32 s16, s[0:1], 0x50
	v_mov_b64_e32 v[4:5], 0
	v_lshl_or_b32 v6, s4, 3, v46
	v_mov_b32_e32 v7, 0
	s_mov_b32 s3, exec_lo
	s_delay_alu instid0(VALU_DEP_1)
	v_cmpx_gt_i64_e64 s[8:9], v[6:7]
	s_cbranch_execz .LBB68_6
; %bb.5:
	s_load_b64 s[4:5], s[0:1], 0x60
	s_mov_b32 s17, 0
	s_wait_kmcnt 0x0
	v_lshl_add_u64 v[4:5], v[6:7], 3, s[4:5]
	global_load_b64 v[4:5], v[4:5], off
	s_wait_loadcnt 0x0
	v_sub_nc_u64_e64 v[4:5], v[4:5], s[16:17]
.LBB68_6:
	s_or_b32 exec_lo, exec_lo, s3
	v_cmp_lt_i64_e64 s3, s[10:11], 1
	s_and_b32 vcc_lo, exec_lo, s3
	s_cbranch_vccnz .LBB68_63
; %bb.7:
	v_mbcnt_lo_u32_b32 v7, -1, 0
	v_dual_lshlrev_b32 v1, 6, v10 :: v_dual_lshlrev_b32 v8, 2, v10
	v_dual_mov_b32 v6, 0 :: v_dual_bitop2_b32 v0, 1, v0 bitop3:0x40
	s_delay_alu instid0(VALU_DEP_3) | instskip(NEXT) | instid1(VALU_DEP_3)
	v_xor_b32_e32 v12, 1, v7
	v_lshl_or_b32 v47, v46, 10, v1
	v_mul_u64_e32 v[26:27], s[12:13], v[10:11]
	s_delay_alu instid0(VALU_DEP_4)
	v_dual_mov_b32 v9, v6 :: v_dual_bitop2_b32 v28, 2, v0 bitop3:0x54
	v_mov_b32_e32 v29, v6
	v_cmp_gt_i32_e32 vcc_lo, 32, v12
	v_dual_mov_b32 v33, v6 :: v_dual_bitop2_b32 v32, 4, v0 bitop3:0x54
	v_dual_mov_b32 v35, v6 :: v_dual_bitop2_b32 v34, 6, v0 bitop3:0x54
	v_dual_cndmask_b32 v12, v7, v12 :: v_dual_mov_b32 v1, v6
	v_dual_mov_b32 v37, v6 :: v_dual_bitop2_b32 v36, 8, v0 bitop3:0x54
	v_dual_mov_b32 v39, v6 :: v_dual_bitop2_b32 v38, 10, v0 bitop3:0x54
	s_delay_alu instid0(VALU_DEP_3) | instskip(SKIP_2) | instid1(VALU_DEP_3)
	v_dual_lshlrev_b32 v49, 2, v12 :: v_dual_bitop2_b32 v12, 16, v7 bitop3:0x14
	v_dual_mov_b32 v41, v6 :: v_dual_bitop2_b32 v40, 12, v0 bitop3:0x54
	v_dual_mov_b32 v43, v6 :: v_dual_bitop2_b32 v42, 14, v0 bitop3:0x54
	v_cmp_gt_i32_e32 vcc_lo, 32, v12
	v_xor_b32_e32 v13, 8, v7
	v_mul_u64_e32 v[14:15], s[12:13], v[32:33]
	v_mul_u64_e32 v[16:17], s[12:13], v[34:35]
	;; [unrolled: 1-line block ×3, first 2 shown]
	v_cndmask_b32_e32 v44, v7, v12, vcc_lo
	v_cmp_gt_i32_e32 vcc_lo, 32, v13
	v_xor_b32_e32 v10, 4, v7
	v_mul_u64_e32 v[20:21], s[12:13], v[38:39]
	v_mul_u64_e32 v[22:23], s[12:13], v[40:41]
	;; [unrolled: 1-line block ×3, first 2 shown]
	v_cndmask_b32_e32 v45, v7, v13, vcc_lo
	v_cmp_gt_i32_e32 vcc_lo, 32, v10
	v_mul_u64_e32 v[12:13], s[12:13], v[28:29]
	s_clause 0x4
	s_load_b64 s[4:5], s[0:1], 0x58
	s_load_b64 s[8:9], s[0:1], 0x68
	s_load_b64 s[18:19], s[0:1], 0x48
	s_load_b64 s[20:21], s[0:1], 0x38
	s_load_b32 s3, s[0:1], 0x0
	v_lshl_or_b32 v50, v7, 2, 4
	s_wait_xcnt 0x0
	v_cmp_gt_u64_e64 s0, s[12:13], v[28:29]
	v_dual_cndmask_b32 v53, v7, v10, vcc_lo :: v_dual_bitop2_b32 v51, 2, v7 bitop3:0x14
	v_mul_u64_e32 v[10:11], s[12:13], v[0:1]
	v_cmp_gt_u64_e64 s1, s[12:13], v[32:33]
	v_cmp_gt_u64_e64 s6, s[12:13], v[40:41]
	;; [unrolled: 1-line block ×3, first 2 shown]
	v_cmp_gt_i32_e32 vcc_lo, 32, v51
	v_mov_b64_e32 v[32:33], 0
	v_lshl_or_b32 v48, v0, 2, v47
	v_dual_mov_b32 v56, 1 :: v_dual_lshlrev_b32 v53, 2, v53
	v_dual_cndmask_b32 v7, v7, v51, vcc_lo :: v_dual_lshlrev_b32 v51, 2, v44
	s_wait_kmcnt 0x0
	v_add_nc_u64_e32 v[8:9], s[4:5], v[8:9]
	v_lshl_add_u64 v[26:27], v[26:27], 2, s[4:5]
	v_cmp_gt_u64_e32 vcc_lo, s[12:13], v[0:1]
	v_cmp_gt_u64_e64 s4, s[12:13], v[36:37]
	s_cmp_lg_u32 s3, 0
	v_cmp_gt_u64_e64 s3, s[12:13], v[34:35]
	v_cmp_gt_u64_e64 s5, s[12:13], v[38:39]
	v_dual_lshlrev_b32 v52, 2, v45 :: v_dual_lshlrev_b32 v54, 2, v7
	v_mov_b32_e32 v55, 0x7c
	s_mov_b32 s25, 0
	s_mul_u64 s[22:23], s[12:13], s[12:13]
	s_mov_b32 s15, s25
	s_mov_b32 s17, s25
	s_cselect_b32 s26, -1, 0
	s_and_b32 s27, s2, vcc_lo
	s_and_b32 s28, s2, s0
	s_and_b32 s29, s2, s1
	;; [unrolled: 1-line block ×6, first 2 shown]
	s_mov_b64 s[4:5], 0xffffffff
	s_and_b32 s35, s2, s7
	s_ashr_i32 s2, s13, 31
	s_sub_co_i32 s36, 0, s12
	s_mov_b32 s37, 0
	s_branch .LBB68_10
.LBB68_8:                               ;   in Loop: Header=BB68_10 Depth=1
	s_wait_xcnt 0x0
	s_or_b32 exec_lo, exec_lo, s1
	v_mov_b64_e32 v[34:35], 1
.LBB68_9:                               ;   in Loop: Header=BB68_10 Depth=1
	s_or_b32 exec_lo, exec_lo, s0
	ds_bpermute_b32 v32, v51, v28
	ds_bpermute_b32 v33, v51, v29
	v_add_nc_u64_e32 v[4:5], v[34:35], v[4:5]
	s_wait_storecnt_dscnt 0x0
	v_min_i64 v[28:29], v[32:33], v[28:29]
	ds_bpermute_b32 v32, v52, v28
	ds_bpermute_b32 v33, v52, v29
	s_wait_dscnt 0x0
	v_min_i64 v[28:29], v[32:33], v[28:29]
	ds_bpermute_b32 v32, v53, v28
	ds_bpermute_b32 v33, v53, v29
	s_wait_dscnt 0x0
	;; [unrolled: 4-line block ×5, first 2 shown]
	v_cmp_le_i64_e32 vcc_lo, s[10:11], v[32:33]
	s_or_b32 s37, vcc_lo, s37
	s_delay_alu instid0(SALU_CYCLE_1)
	s_and_not1_b32 exec_lo, exec_lo, s37
	s_cbranch_execz .LBB68_63
.LBB68_10:                              ; =>This Loop Header: Depth=1
                                        ;     Child Loop BB68_13 Depth 2
	v_add_nc_u64_e32 v[30:31], v[30:31], v[0:1]
	v_mov_b64_e32 v[28:29], s[10:11]
	v_mov_b64_e32 v[44:45], v[2:3]
	s_mov_b32 s38, exec_lo
	ds_store_b8 v46, v6 offset:8192
	ds_store_2addr_b32 v48, v6, v6 offset1:2
	ds_store_2addr_b32 v48, v6, v6 offset0:4 offset1:6
	ds_store_2addr_b32 v48, v6, v6 offset0:8 offset1:10
	ds_store_2addr_b32 v48, v6, v6 offset0:12 offset1:14
	s_wait_dscnt 0x0
	v_cmpx_lt_i64_e64 v[30:31], v[2:3]
	s_cbranch_execz .LBB68_22
; %bb.11:                               ;   in Loop: Header=BB68_10 Depth=1
	v_mul_u64_e32 v[34:35], s[12:13], v[32:33]
	v_mov_b64_e32 v[28:29], s[10:11]
	v_mov_b64_e32 v[40:41], v[2:3]
	v_lshl_add_u64 v[36:37], v[30:31], 2, s[20:21]
	v_lshl_add_u64 v[38:39], v[30:31], 3, s[18:19]
	s_mov_b32 s39, 0
	s_branch .LBB68_13
.LBB68_12:                              ;   in Loop: Header=BB68_13 Depth=2
	s_wait_xcnt 0x0
	s_or_b32 exec_lo, exec_lo, s0
	v_add_nc_u64_e32 v[30:31], 2, v[30:31]
	s_xor_b32 s1, vcc_lo, -1
	v_add_nc_u64_e32 v[36:37], 8, v[36:37]
	v_add_nc_u64_e32 v[38:39], 16, v[38:39]
	v_mov_b64_e32 v[40:41], v[44:45]
	s_delay_alu instid0(VALU_DEP_4) | instskip(SKIP_1) | instid1(SALU_CYCLE_1)
	v_cmp_ge_i64_e64 s0, v[30:31], v[2:3]
	s_or_b32 s0, s1, s0
	s_and_b32 s0, exec_lo, s0
	s_delay_alu instid0(SALU_CYCLE_1) | instskip(NEXT) | instid1(SALU_CYCLE_1)
	s_or_b32 s39, s0, s39
	s_and_not1_b32 exec_lo, exec_lo, s39
	s_cbranch_execz .LBB68_21
.LBB68_13:                              ;   Parent Loop BB68_10 Depth=1
                                        ; =>  This Inner Loop Header: Depth=2
	global_load_b64 v[42:43], v[38:39], off
                                        ; implicit-def: $vgpr44_vgpr45
	s_mov_b32 s0, exec_lo
	s_wait_loadcnt 0x0
	v_sub_nc_u64_e64 v[42:43], v[42:43], s[14:15]
	s_delay_alu instid0(VALU_DEP_1) | instskip(SKIP_1) | instid1(VALU_DEP_1)
	v_or_b32_e32 v7, s13, v43
	s_wait_xcnt 0x0
	v_cmpx_ne_u64_e32 0, v[6:7]
	s_xor_b32 s40, exec_lo, s0
	s_cbranch_execz .LBB68_15
; %bb.14:                               ;   in Loop: Header=BB68_13 Depth=2
	s_mov_b32 s3, s2
	v_ashrrev_i32_e32 v44, 31, v43
	s_add_nc_u64 s[0:1], s[12:13], s[2:3]
	v_dual_mov_b32 v65, v6 :: v_dual_mov_b32 v61, v6
	s_xor_b64 s[6:7], s[0:1], s[2:3]
	s_delay_alu instid0(VALU_DEP_2) | instskip(SKIP_3) | instid1(VALU_DEP_1)
	v_mov_b32_e32 v45, v44
	s_cvt_f32_u32 s0, s6
	s_cvt_f32_u32 s1, s7
	s_sub_nc_u64 s[42:43], 0, s[6:7]
	v_add_nc_u64_e32 v[58:59], v[42:43], v[44:45]
	s_delay_alu instid0(SALU_CYCLE_1) | instskip(NEXT) | instid1(SALU_CYCLE_3)
	s_fmamk_f32 s0, s1, 0x4f800000, s0
	v_s_rcp_f32 s0, s0
	s_delay_alu instid0(VALU_DEP_1) | instskip(NEXT) | instid1(VALU_DEP_2)
	v_dual_mov_b32 v59, v6 :: v_dual_bitop2_b32 v60, v59, v44 bitop3:0x14
	v_xor_b32_e32 v58, v58, v44
	v_xor_b32_e32 v44, s2, v44
	s_delay_alu instid0(TRANS32_DEP_1) | instskip(NEXT) | instid1(SALU_CYCLE_3)
	s_mul_f32 s0, s0, 0x5f7ffffc
	s_mul_f32 s1, s0, 0x2f800000
	s_delay_alu instid0(SALU_CYCLE_3) | instskip(NEXT) | instid1(SALU_CYCLE_3)
	s_trunc_f32 s1, s1
	s_fmamk_f32 s0, s1, 0xcf800000, s0
	s_cvt_u32_f32 s1, s1
	s_delay_alu instid0(SALU_CYCLE_2) | instskip(NEXT) | instid1(SALU_CYCLE_3)
	s_cvt_u32_f32 s0, s0
	s_mul_u64 s[44:45], s[42:43], s[0:1]
	s_delay_alu instid0(SALU_CYCLE_1)
	s_mul_hi_u32 s47, s0, s45
	s_mul_i32 s46, s0, s45
	s_mul_hi_u32 s24, s0, s44
	s_mul_hi_u32 s3, s1, s44
	s_add_nc_u64 s[46:47], s[24:25], s[46:47]
	s_mul_i32 s24, s1, s44
	s_mul_hi_u32 s41, s1, s45
	s_add_co_u32 s24, s46, s24
	s_add_co_ci_u32 s24, s47, s3
	s_add_co_ci_u32 s47, s41, 0
	s_mul_i32 s46, s1, s45
	s_delay_alu instid0(SALU_CYCLE_1) | instskip(NEXT) | instid1(SALU_CYCLE_1)
	s_add_nc_u64 s[44:45], s[24:25], s[46:47]
	s_add_co_u32 s0, s0, s44
	s_cselect_b32 s3, -1, 0
	s_delay_alu instid0(SALU_CYCLE_1) | instskip(SKIP_1) | instid1(SALU_CYCLE_1)
	s_cmp_lg_u32 s3, 0
	s_add_co_ci_u32 s1, s1, s45
	s_mul_u64 s[42:43], s[42:43], s[0:1]
	s_delay_alu instid0(SALU_CYCLE_1)
	s_mul_hi_u32 s45, s0, s43
	s_mul_i32 s44, s0, s43
	s_mul_hi_u32 s24, s0, s42
	s_mul_i32 s41, s1, s42
	s_add_nc_u64 s[44:45], s[24:25], s[44:45]
	s_mul_hi_u32 s3, s1, s42
	s_mul_hi_u32 s46, s1, s43
	s_add_co_u32 s24, s44, s41
	s_add_co_ci_u32 s24, s45, s3
	s_add_co_ci_u32 s45, s46, 0
	s_mul_i32 s44, s1, s43
	s_delay_alu instid0(SALU_CYCLE_1) | instskip(NEXT) | instid1(SALU_CYCLE_1)
	s_add_nc_u64 s[42:43], s[24:25], s[44:45]
	s_add_co_u32 s0, s0, s42
	s_cselect_b32 s3, -1, 0
	v_mul_hi_u32 v64, v58, s0
	s_cmp_lg_u32 s3, 0
	s_add_co_ci_u32 s24, s1, s43
	s_and_b64 s[0:1], s[0:1], s[4:5]
	v_mul_u64_e32 v[62:63], s[24:25], v[58:59]
	v_mul_u64_e32 v[66:67], s[0:1], v[60:61]
	s_delay_alu instid0(VALU_DEP_2) | instskip(SKIP_1) | instid1(VALU_DEP_2)
	v_add_nc_u64_e32 v[62:63], v[64:65], v[62:63]
	v_mul_u64_e32 v[64:65], s[24:25], v[60:61]
	v_add_co_u32 v7, vcc_lo, v62, v66
	s_delay_alu instid0(VALU_DEP_3) | instskip(SKIP_1) | instid1(VALU_DEP_4)
	v_add_co_ci_u32_e32 v62, vcc_lo, v63, v67, vcc_lo
	v_mov_b32_e32 v63, v6
	v_add_co_ci_u32_e32 v65, vcc_lo, 0, v65, vcc_lo
	s_delay_alu instid0(VALU_DEP_1) | instskip(NEXT) | instid1(VALU_DEP_1)
	v_add_nc_u64_e32 v[62:63], v[62:63], v[64:65]
	v_mul_u64_e32 v[64:65], s[6:7], v[62:63]
	v_add_nc_u64_e32 v[66:67], 1, v[62:63]
	s_delay_alu instid0(VALU_DEP_2) | instskip(NEXT) | instid1(VALU_DEP_3)
	v_sub_nc_u32_e32 v35, v60, v65
	v_sub_co_u32 v7, vcc_lo, v58, v64
	v_add_nc_u64_e32 v[58:59], 2, v[62:63]
	s_delay_alu instid0(VALU_DEP_3) | instskip(NEXT) | instid1(VALU_DEP_3)
	v_subrev_co_ci_u32_e64 v35, null, s7, v35, vcc_lo
	v_sub_co_u32 v43, s0, v7, s6
	s_delay_alu instid0(VALU_DEP_1) | instskip(NEXT) | instid1(VALU_DEP_2)
	v_subrev_co_ci_u32_e64 v35, null, 0, v35, s0
	v_cmp_le_u32_e64 s1, s6, v43
	v_sub_co_ci_u32_e64 v43, null, v60, v65, vcc_lo
	s_delay_alu instid0(VALU_DEP_3) | instskip(NEXT) | instid1(VALU_DEP_2)
	v_cmp_le_u32_e64 s0, s7, v35
	v_cmp_le_u32_e32 vcc_lo, s7, v43
	s_delay_alu instid0(VALU_DEP_2) | instskip(SKIP_3) | instid1(VALU_DEP_2)
	v_cndmask_b32_e64 v45, 0, -1, s0
	v_cmp_eq_u32_e64 s0, s7, v35
	v_cndmask_b32_e64 v35, 0, -1, s1
	v_cmp_le_u32_e64 s1, s6, v7
	v_cndmask_b32_e64 v35, v45, v35, s0
	v_cndmask_b32_e64 v45, 0, -1, vcc_lo
	v_cmp_eq_u32_e32 vcc_lo, s7, v43
	s_delay_alu instid0(VALU_DEP_4) | instskip(NEXT) | instid1(VALU_DEP_4)
	v_cndmask_b32_e64 v7, 0, -1, s1
	v_cmp_ne_u32_e64 s0, 0, v35
	s_delay_alu instid0(VALU_DEP_2) | instskip(NEXT) | instid1(VALU_DEP_2)
	v_cndmask_b32_e32 v7, v45, v7, vcc_lo
	v_cndmask_b32_e64 v35, v67, v59, s0
	s_delay_alu instid0(VALU_DEP_2) | instskip(NEXT) | instid1(VALU_DEP_2)
	v_cmp_ne_u32_e32 vcc_lo, 0, v7
	v_dual_cndmask_b32 v7, v63, v35, vcc_lo :: v_dual_cndmask_b32 v35, v66, v58, s0
	s_delay_alu instid0(VALU_DEP_1) | instskip(NEXT) | instid1(VALU_DEP_2)
	v_dual_cndmask_b32 v35, v62, v35, vcc_lo :: v_dual_mov_b32 v45, v44
	v_xor_b32_e32 v59, v7, v44
	s_delay_alu instid0(VALU_DEP_2) | instskip(NEXT) | instid1(VALU_DEP_1)
	v_xor_b32_e32 v58, v35, v44
	v_sub_nc_u64_e32 v[44:45], v[58:59], v[44:45]
.LBB68_15:                              ;   in Loop: Header=BB68_13 Depth=2
	s_and_not1_saveexec_b32 s0, s40
	s_cbranch_execz .LBB68_17
; %bb.16:                               ;   in Loop: Header=BB68_13 Depth=2
	v_cvt_f32_u32_e32 v7, s12
	v_mov_b32_e32 v45, v6
	s_delay_alu instid0(VALU_DEP_2) | instskip(SKIP_1) | instid1(TRANS32_DEP_1)
	v_rcp_iflag_f32_e32 v7, v7
	v_nop
	v_mul_f32_e32 v7, 0x4f7ffffe, v7
	s_delay_alu instid0(VALU_DEP_1) | instskip(NEXT) | instid1(VALU_DEP_1)
	v_cvt_u32_f32_e32 v7, v7
	v_mul_lo_u32 v35, s36, v7
	s_delay_alu instid0(VALU_DEP_1) | instskip(NEXT) | instid1(VALU_DEP_1)
	v_mul_hi_u32 v35, v7, v35
	v_add_nc_u32_e32 v7, v7, v35
	s_delay_alu instid0(VALU_DEP_1) | instskip(NEXT) | instid1(VALU_DEP_1)
	v_mul_hi_u32 v7, v42, v7
	v_mul_lo_u32 v35, v7, s12
	s_delay_alu instid0(VALU_DEP_1) | instskip(NEXT) | instid1(VALU_DEP_1)
	v_sub_nc_u32_e32 v35, v42, v35
	v_subrev_nc_u32_e32 v44, s12, v35
	v_cmp_le_u32_e32 vcc_lo, s12, v35
	s_delay_alu instid0(VALU_DEP_2) | instskip(NEXT) | instid1(VALU_DEP_1)
	v_dual_add_nc_u32 v43, 1, v7 :: v_dual_cndmask_b32 v35, v35, v44, vcc_lo
	v_cndmask_b32_e32 v7, v7, v43, vcc_lo
	s_delay_alu instid0(VALU_DEP_2) | instskip(NEXT) | instid1(VALU_DEP_2)
	v_cmp_le_u32_e32 vcc_lo, s12, v35
	v_add_nc_u32_e32 v43, 1, v7
	s_delay_alu instid0(VALU_DEP_1)
	v_cndmask_b32_e32 v44, v7, v43, vcc_lo
.LBB68_17:                              ;   in Loop: Header=BB68_13 Depth=2
	s_or_b32 exec_lo, exec_lo, s0
	s_delay_alu instid0(VALU_DEP_1) | instskip(SKIP_2) | instid1(SALU_CYCLE_1)
	v_cmp_ne_u64_e64 s0, v[44:45], v[32:33]
	v_cmp_eq_u64_e32 vcc_lo, v[44:45], v[32:33]
	s_and_saveexec_b32 s1, s0
	s_xor_b32 s0, exec_lo, s1
; %bb.18:                               ;   in Loop: Header=BB68_13 Depth=2
	v_min_i64 v[28:29], v[44:45], v[28:29]
                                        ; implicit-def: $vgpr42_vgpr43
                                        ; implicit-def: $vgpr40_vgpr41
; %bb.19:                               ;   in Loop: Header=BB68_13 Depth=2
	s_or_saveexec_b32 s0, s0
	v_mov_b64_e32 v[44:45], v[30:31]
	s_xor_b32 exec_lo, exec_lo, s0
	s_cbranch_execz .LBB68_12
; %bb.20:                               ;   in Loop: Header=BB68_13 Depth=2
	global_load_b32 v7, v[36:37], off
	v_sub_nc_u32_e32 v35, v42, v34
	v_mov_b64_e32 v[44:45], v[40:41]
	s_delay_alu instid0(VALU_DEP_2)
	v_lshl_add_u32 v35, v35, 2, v47
	ds_store_b8 v46, v56 offset:8192
	s_wait_loadcnt 0x0
	ds_store_b32 v35, v7
	s_branch .LBB68_12
.LBB68_21:                              ;   in Loop: Header=BB68_10 Depth=1
	s_or_b32 exec_lo, exec_lo, s39
.LBB68_22:                              ;   in Loop: Header=BB68_10 Depth=1
	s_delay_alu instid0(SALU_CYCLE_1)
	s_or_b32 exec_lo, exec_lo, s38
	ds_bpermute_b32 v30, v49, v44
	ds_bpermute_b32 v31, v49, v45
	s_wait_dscnt 0x0
	ds_load_u8 v7, v46 offset:8192
	v_mov_b64_e32 v[34:35], 0
	s_mov_b32 s0, exec_lo
	v_min_i64 v[30:31], v[30:31], v[44:45]
	s_wait_dscnt 0x0
	v_and_b32_e32 v7, 1, v7
	ds_bpermute_b32 v30, v50, v30
	ds_bpermute_b32 v31, v50, v31
	v_cmpx_eq_u32_e32 1, v7
	s_cbranch_execz .LBB68_9
; %bb.23:                               ;   in Loop: Header=BB68_10 Depth=1
	v_mul_u64_e32 v[34:35], s[22:23], v[4:5]
	v_add_nc_u64_e32 v[38:39], s[16:17], v[32:33]
	s_delay_alu instid0(VALU_DEP_2) | instskip(NEXT) | instid1(VALU_DEP_1)
	v_lshlrev_b64_e32 v[36:37], 2, v[34:35]
	v_add_nc_u64_e32 v[34:35], v[8:9], v[36:37]
	v_add_nc_u64_e32 v[32:33], v[26:27], v[36:37]
	v_lshl_add_u64 v[36:37], v[4:5], 3, s[8:9]
	global_store_b64 v[36:37], v[38:39], off
	s_wait_xcnt 0x0
	s_and_saveexec_b32 s1, s27
	s_cbranch_execz .LBB68_27
; %bb.24:                               ;   in Loop: Header=BB68_10 Depth=1
	ds_load_b32 v7, v48
	s_and_b32 vcc_lo, exec_lo, s26
	s_cbranch_vccz .LBB68_54
; %bb.25:                               ;   in Loop: Header=BB68_10 Depth=1
	v_lshl_add_u64 v[36:37], v[10:11], 2, v[34:35]
	s_wait_dscnt 0x0
	global_store_b32 v[36:37], v7, off
	s_cbranch_execnz .LBB68_27
.LBB68_26:                              ;   in Loop: Header=BB68_10 Depth=1
	s_wait_xcnt 0x0
	v_dual_mov_b32 v37, v6 :: v_dual_lshlrev_b32 v36, 2, v0
	s_delay_alu instid0(VALU_DEP_1)
	v_add_nc_u64_e32 v[36:37], v[32:33], v[36:37]
	s_wait_dscnt 0x0
	global_store_b32 v[36:37], v7, off
.LBB68_27:                              ;   in Loop: Header=BB68_10 Depth=1
	s_wait_xcnt 0x0
	s_or_b32 exec_lo, exec_lo, s1
	s_and_saveexec_b32 s1, s28
	s_cbranch_execz .LBB68_31
; %bb.28:                               ;   in Loop: Header=BB68_10 Depth=1
	s_and_not1_b32 vcc_lo, exec_lo, s26
	s_cbranch_vccnz .LBB68_55
; %bb.29:                               ;   in Loop: Header=BB68_10 Depth=1
	s_wait_dscnt 0x0
	ds_load_b32 v7, v48 offset:8
	v_lshl_add_u64 v[36:37], v[12:13], 2, v[34:35]
	s_wait_dscnt 0x0
	global_store_b32 v[36:37], v7, off
	s_cbranch_execnz .LBB68_31
.LBB68_30:                              ;   in Loop: Header=BB68_10 Depth=1
	s_wait_dscnt 0x0
	s_wait_xcnt 0x0
	ds_load_b32 v7, v48 offset:8
	v_dual_mov_b32 v37, v6 :: v_dual_lshlrev_b32 v36, 2, v0
	s_delay_alu instid0(VALU_DEP_1)
	v_add_nc_u64_e32 v[36:37], v[32:33], v[36:37]
	s_wait_dscnt 0x0
	global_store_b32 v[36:37], v7, off offset:8
.LBB68_31:                              ;   in Loop: Header=BB68_10 Depth=1
	s_wait_xcnt 0x0
	s_or_b32 exec_lo, exec_lo, s1
	s_and_saveexec_b32 s1, s29
	s_cbranch_execz .LBB68_35
; %bb.32:                               ;   in Loop: Header=BB68_10 Depth=1
	s_and_not1_b32 vcc_lo, exec_lo, s26
	s_cbranch_vccnz .LBB68_56
; %bb.33:                               ;   in Loop: Header=BB68_10 Depth=1
	s_wait_dscnt 0x0
	ds_load_b32 v7, v48 offset:16
	v_lshl_add_u64 v[36:37], v[14:15], 2, v[34:35]
	s_wait_dscnt 0x0
	global_store_b32 v[36:37], v7, off
	s_cbranch_execnz .LBB68_35
.LBB68_34:                              ;   in Loop: Header=BB68_10 Depth=1
	s_wait_dscnt 0x0
	s_wait_xcnt 0x0
	ds_load_b32 v7, v48 offset:16
	v_dual_mov_b32 v37, v6 :: v_dual_lshlrev_b32 v36, 2, v0
	s_delay_alu instid0(VALU_DEP_1)
	v_add_nc_u64_e32 v[36:37], v[32:33], v[36:37]
	s_wait_dscnt 0x0
	global_store_b32 v[36:37], v7, off offset:16
.LBB68_35:                              ;   in Loop: Header=BB68_10 Depth=1
	s_wait_xcnt 0x0
	s_or_b32 exec_lo, exec_lo, s1
	s_and_saveexec_b32 s1, s30
	s_cbranch_execz .LBB68_39
; %bb.36:                               ;   in Loop: Header=BB68_10 Depth=1
	s_and_not1_b32 vcc_lo, exec_lo, s26
	s_cbranch_vccnz .LBB68_57
; %bb.37:                               ;   in Loop: Header=BB68_10 Depth=1
	s_wait_dscnt 0x0
	ds_load_b32 v7, v48 offset:24
	v_lshl_add_u64 v[36:37], v[16:17], 2, v[34:35]
	s_wait_dscnt 0x0
	global_store_b32 v[36:37], v7, off
	s_cbranch_execnz .LBB68_39
.LBB68_38:                              ;   in Loop: Header=BB68_10 Depth=1
	s_wait_dscnt 0x0
	s_wait_xcnt 0x0
	ds_load_b32 v7, v48 offset:24
	v_dual_mov_b32 v37, v6 :: v_dual_lshlrev_b32 v36, 2, v0
	s_delay_alu instid0(VALU_DEP_1)
	v_add_nc_u64_e32 v[36:37], v[32:33], v[36:37]
	s_wait_dscnt 0x0
	global_store_b32 v[36:37], v7, off offset:24
.LBB68_39:                              ;   in Loop: Header=BB68_10 Depth=1
	s_wait_xcnt 0x0
	s_or_b32 exec_lo, exec_lo, s1
	s_and_saveexec_b32 s1, s31
	s_cbranch_execz .LBB68_43
; %bb.40:                               ;   in Loop: Header=BB68_10 Depth=1
	s_and_not1_b32 vcc_lo, exec_lo, s26
	s_cbranch_vccnz .LBB68_58
; %bb.41:                               ;   in Loop: Header=BB68_10 Depth=1
	s_wait_dscnt 0x0
	ds_load_b32 v7, v48 offset:32
	v_lshl_add_u64 v[36:37], v[18:19], 2, v[34:35]
	s_wait_dscnt 0x0
	global_store_b32 v[36:37], v7, off
	s_cbranch_execnz .LBB68_43
.LBB68_42:                              ;   in Loop: Header=BB68_10 Depth=1
	s_wait_dscnt 0x0
	s_wait_xcnt 0x0
	ds_load_b32 v7, v48 offset:32
	v_dual_mov_b32 v37, v6 :: v_dual_lshlrev_b32 v36, 2, v0
	s_delay_alu instid0(VALU_DEP_1)
	v_add_nc_u64_e32 v[36:37], v[32:33], v[36:37]
	s_wait_dscnt 0x0
	global_store_b32 v[36:37], v7, off offset:32
.LBB68_43:                              ;   in Loop: Header=BB68_10 Depth=1
	s_wait_xcnt 0x0
	s_or_b32 exec_lo, exec_lo, s1
	s_and_saveexec_b32 s1, s33
	s_cbranch_execz .LBB68_47
; %bb.44:                               ;   in Loop: Header=BB68_10 Depth=1
	s_and_not1_b32 vcc_lo, exec_lo, s26
	s_cbranch_vccnz .LBB68_59
; %bb.45:                               ;   in Loop: Header=BB68_10 Depth=1
	s_wait_dscnt 0x0
	ds_load_b32 v7, v48 offset:40
	v_lshl_add_u64 v[36:37], v[20:21], 2, v[34:35]
	s_wait_dscnt 0x0
	global_store_b32 v[36:37], v7, off
	s_cbranch_execnz .LBB68_47
.LBB68_46:                              ;   in Loop: Header=BB68_10 Depth=1
	s_wait_dscnt 0x0
	s_wait_xcnt 0x0
	ds_load_b32 v7, v48 offset:40
	v_dual_mov_b32 v37, v6 :: v_dual_lshlrev_b32 v36, 2, v0
	s_delay_alu instid0(VALU_DEP_1)
	v_add_nc_u64_e32 v[36:37], v[32:33], v[36:37]
	s_wait_dscnt 0x0
	global_store_b32 v[36:37], v7, off offset:40
.LBB68_47:                              ;   in Loop: Header=BB68_10 Depth=1
	s_wait_xcnt 0x0
	s_or_b32 exec_lo, exec_lo, s1
	s_and_saveexec_b32 s1, s34
	s_cbranch_execz .LBB68_51
; %bb.48:                               ;   in Loop: Header=BB68_10 Depth=1
	s_and_not1_b32 vcc_lo, exec_lo, s26
	s_cbranch_vccnz .LBB68_60
; %bb.49:                               ;   in Loop: Header=BB68_10 Depth=1
	s_wait_dscnt 0x0
	ds_load_b32 v7, v48 offset:48
	v_lshl_add_u64 v[36:37], v[22:23], 2, v[34:35]
	s_wait_dscnt 0x0
	global_store_b32 v[36:37], v7, off
	s_cbranch_execnz .LBB68_51
.LBB68_50:                              ;   in Loop: Header=BB68_10 Depth=1
	s_wait_dscnt 0x0
	s_wait_xcnt 0x0
	ds_load_b32 v7, v48 offset:48
	v_dual_mov_b32 v37, v6 :: v_dual_lshlrev_b32 v36, 2, v0
	s_delay_alu instid0(VALU_DEP_1)
	v_add_nc_u64_e32 v[36:37], v[32:33], v[36:37]
	s_wait_dscnt 0x0
	global_store_b32 v[36:37], v7, off offset:48
.LBB68_51:                              ;   in Loop: Header=BB68_10 Depth=1
	s_wait_xcnt 0x0
	s_or_b32 exec_lo, exec_lo, s1
	s_and_saveexec_b32 s1, s35
	s_cbranch_execz .LBB68_8
; %bb.52:                               ;   in Loop: Header=BB68_10 Depth=1
	s_and_not1_b32 vcc_lo, exec_lo, s26
	s_cbranch_vccnz .LBB68_61
; %bb.53:                               ;   in Loop: Header=BB68_10 Depth=1
	s_wait_dscnt 0x0
	ds_load_b32 v7, v48 offset:56
	v_lshl_add_u64 v[34:35], v[24:25], 2, v[34:35]
	s_wait_dscnt 0x0
	global_store_b32 v[34:35], v7, off
	s_cbranch_execnz .LBB68_8
	s_branch .LBB68_62
.LBB68_54:                              ;   in Loop: Header=BB68_10 Depth=1
	s_branch .LBB68_26
.LBB68_55:                              ;   in Loop: Header=BB68_10 Depth=1
	s_branch .LBB68_30
.LBB68_56:                              ;   in Loop: Header=BB68_10 Depth=1
	s_branch .LBB68_34
.LBB68_57:                              ;   in Loop: Header=BB68_10 Depth=1
	s_branch .LBB68_38
.LBB68_58:                              ;   in Loop: Header=BB68_10 Depth=1
	s_branch .LBB68_42
.LBB68_59:                              ;   in Loop: Header=BB68_10 Depth=1
	s_branch .LBB68_46
.LBB68_60:                              ;   in Loop: Header=BB68_10 Depth=1
	s_branch .LBB68_50
.LBB68_61:                              ;   in Loop: Header=BB68_10 Depth=1
.LBB68_62:                              ;   in Loop: Header=BB68_10 Depth=1
	s_wait_dscnt 0x0
	s_wait_xcnt 0x0
	ds_load_b32 v7, v48 offset:56
	v_dual_mov_b32 v35, v6 :: v_dual_lshlrev_b32 v34, 2, v0
	s_delay_alu instid0(VALU_DEP_1)
	v_add_nc_u64_e32 v[32:33], v[32:33], v[34:35]
	s_wait_dscnt 0x0
	global_store_b32 v[32:33], v7, off offset:56
	s_branch .LBB68_8
.LBB68_63:
	s_endpgm
	.section	.rodata,"a",@progbits
	.p2align	6, 0x0
	.amdhsa_kernel _ZN9rocsparseL42csr2bsr_wavefront_per_row_multipass_kernelILj256ELj32ELj16EfllEEv20rocsparse_direction_T4_S2_S2_S2_S2_21rocsparse_index_base_PKT2_PKT3_PKS2_S3_PS4_PS7_PS2_
		.amdhsa_group_segment_fixed_size 8200
		.amdhsa_private_segment_fixed_size 0
		.amdhsa_kernarg_size 112
		.amdhsa_user_sgpr_count 2
		.amdhsa_user_sgpr_dispatch_ptr 0
		.amdhsa_user_sgpr_queue_ptr 0
		.amdhsa_user_sgpr_kernarg_segment_ptr 1
		.amdhsa_user_sgpr_dispatch_id 0
		.amdhsa_user_sgpr_kernarg_preload_length 0
		.amdhsa_user_sgpr_kernarg_preload_offset 0
		.amdhsa_user_sgpr_private_segment_size 0
		.amdhsa_wavefront_size32 1
		.amdhsa_uses_dynamic_stack 0
		.amdhsa_enable_private_segment 0
		.amdhsa_system_sgpr_workgroup_id_x 1
		.amdhsa_system_sgpr_workgroup_id_y 0
		.amdhsa_system_sgpr_workgroup_id_z 0
		.amdhsa_system_sgpr_workgroup_info 0
		.amdhsa_system_vgpr_workitem_id 0
		.amdhsa_next_free_vgpr 68
		.amdhsa_next_free_sgpr 48
		.amdhsa_named_barrier_count 0
		.amdhsa_reserve_vcc 1
		.amdhsa_float_round_mode_32 0
		.amdhsa_float_round_mode_16_64 0
		.amdhsa_float_denorm_mode_32 3
		.amdhsa_float_denorm_mode_16_64 3
		.amdhsa_fp16_overflow 0
		.amdhsa_memory_ordered 1
		.amdhsa_forward_progress 1
		.amdhsa_inst_pref_size 26
		.amdhsa_round_robin_scheduling 0
		.amdhsa_exception_fp_ieee_invalid_op 0
		.amdhsa_exception_fp_denorm_src 0
		.amdhsa_exception_fp_ieee_div_zero 0
		.amdhsa_exception_fp_ieee_overflow 0
		.amdhsa_exception_fp_ieee_underflow 0
		.amdhsa_exception_fp_ieee_inexact 0
		.amdhsa_exception_int_div_zero 0
	.end_amdhsa_kernel
	.section	.text._ZN9rocsparseL42csr2bsr_wavefront_per_row_multipass_kernelILj256ELj32ELj16EfllEEv20rocsparse_direction_T4_S2_S2_S2_S2_21rocsparse_index_base_PKT2_PKT3_PKS2_S3_PS4_PS7_PS2_,"axG",@progbits,_ZN9rocsparseL42csr2bsr_wavefront_per_row_multipass_kernelILj256ELj32ELj16EfllEEv20rocsparse_direction_T4_S2_S2_S2_S2_21rocsparse_index_base_PKT2_PKT3_PKS2_S3_PS4_PS7_PS2_,comdat
.Lfunc_end68:
	.size	_ZN9rocsparseL42csr2bsr_wavefront_per_row_multipass_kernelILj256ELj32ELj16EfllEEv20rocsparse_direction_T4_S2_S2_S2_S2_21rocsparse_index_base_PKT2_PKT3_PKS2_S3_PS4_PS7_PS2_, .Lfunc_end68-_ZN9rocsparseL42csr2bsr_wavefront_per_row_multipass_kernelILj256ELj32ELj16EfllEEv20rocsparse_direction_T4_S2_S2_S2_S2_21rocsparse_index_base_PKT2_PKT3_PKS2_S3_PS4_PS7_PS2_
                                        ; -- End function
	.set _ZN9rocsparseL42csr2bsr_wavefront_per_row_multipass_kernelILj256ELj32ELj16EfllEEv20rocsparse_direction_T4_S2_S2_S2_S2_21rocsparse_index_base_PKT2_PKT3_PKS2_S3_PS4_PS7_PS2_.num_vgpr, 68
	.set _ZN9rocsparseL42csr2bsr_wavefront_per_row_multipass_kernelILj256ELj32ELj16EfllEEv20rocsparse_direction_T4_S2_S2_S2_S2_21rocsparse_index_base_PKT2_PKT3_PKS2_S3_PS4_PS7_PS2_.num_agpr, 0
	.set _ZN9rocsparseL42csr2bsr_wavefront_per_row_multipass_kernelILj256ELj32ELj16EfllEEv20rocsparse_direction_T4_S2_S2_S2_S2_21rocsparse_index_base_PKT2_PKT3_PKS2_S3_PS4_PS7_PS2_.numbered_sgpr, 48
	.set _ZN9rocsparseL42csr2bsr_wavefront_per_row_multipass_kernelILj256ELj32ELj16EfllEEv20rocsparse_direction_T4_S2_S2_S2_S2_21rocsparse_index_base_PKT2_PKT3_PKS2_S3_PS4_PS7_PS2_.num_named_barrier, 0
	.set _ZN9rocsparseL42csr2bsr_wavefront_per_row_multipass_kernelILj256ELj32ELj16EfllEEv20rocsparse_direction_T4_S2_S2_S2_S2_21rocsparse_index_base_PKT2_PKT3_PKS2_S3_PS4_PS7_PS2_.private_seg_size, 0
	.set _ZN9rocsparseL42csr2bsr_wavefront_per_row_multipass_kernelILj256ELj32ELj16EfllEEv20rocsparse_direction_T4_S2_S2_S2_S2_21rocsparse_index_base_PKT2_PKT3_PKS2_S3_PS4_PS7_PS2_.uses_vcc, 1
	.set _ZN9rocsparseL42csr2bsr_wavefront_per_row_multipass_kernelILj256ELj32ELj16EfllEEv20rocsparse_direction_T4_S2_S2_S2_S2_21rocsparse_index_base_PKT2_PKT3_PKS2_S3_PS4_PS7_PS2_.uses_flat_scratch, 0
	.set _ZN9rocsparseL42csr2bsr_wavefront_per_row_multipass_kernelILj256ELj32ELj16EfllEEv20rocsparse_direction_T4_S2_S2_S2_S2_21rocsparse_index_base_PKT2_PKT3_PKS2_S3_PS4_PS7_PS2_.has_dyn_sized_stack, 0
	.set _ZN9rocsparseL42csr2bsr_wavefront_per_row_multipass_kernelILj256ELj32ELj16EfllEEv20rocsparse_direction_T4_S2_S2_S2_S2_21rocsparse_index_base_PKT2_PKT3_PKS2_S3_PS4_PS7_PS2_.has_recursion, 0
	.set _ZN9rocsparseL42csr2bsr_wavefront_per_row_multipass_kernelILj256ELj32ELj16EfllEEv20rocsparse_direction_T4_S2_S2_S2_S2_21rocsparse_index_base_PKT2_PKT3_PKS2_S3_PS4_PS7_PS2_.has_indirect_call, 0
	.section	.AMDGPU.csdata,"",@progbits
; Kernel info:
; codeLenInByte = 3208
; TotalNumSgprs: 50
; NumVgprs: 68
; ScratchSize: 0
; MemoryBound: 0
; FloatMode: 240
; IeeeMode: 1
; LDSByteSize: 8200 bytes/workgroup (compile time only)
; SGPRBlocks: 0
; VGPRBlocks: 4
; NumSGPRsForWavesPerEU: 50
; NumVGPRsForWavesPerEU: 68
; NamedBarCnt: 0
; Occupancy: 12
; WaveLimiterHint : 0
; COMPUTE_PGM_RSRC2:SCRATCH_EN: 0
; COMPUTE_PGM_RSRC2:USER_SGPR: 2
; COMPUTE_PGM_RSRC2:TRAP_HANDLER: 0
; COMPUTE_PGM_RSRC2:TGID_X_EN: 1
; COMPUTE_PGM_RSRC2:TGID_Y_EN: 0
; COMPUTE_PGM_RSRC2:TGID_Z_EN: 0
; COMPUTE_PGM_RSRC2:TIDIG_COMP_CNT: 0
	.section	.text._ZN9rocsparseL38csr2bsr_block_per_row_multipass_kernelILj256ELj32EfllEEv20rocsparse_direction_T3_S2_S2_S2_S2_21rocsparse_index_base_PKT1_PKT2_PKS2_S3_PS4_PS7_PS2_,"axG",@progbits,_ZN9rocsparseL38csr2bsr_block_per_row_multipass_kernelILj256ELj32EfllEEv20rocsparse_direction_T3_S2_S2_S2_S2_21rocsparse_index_base_PKT1_PKT2_PKS2_S3_PS4_PS7_PS2_,comdat
	.globl	_ZN9rocsparseL38csr2bsr_block_per_row_multipass_kernelILj256ELj32EfllEEv20rocsparse_direction_T3_S2_S2_S2_S2_21rocsparse_index_base_PKT1_PKT2_PKS2_S3_PS4_PS7_PS2_ ; -- Begin function _ZN9rocsparseL38csr2bsr_block_per_row_multipass_kernelILj256ELj32EfllEEv20rocsparse_direction_T3_S2_S2_S2_S2_21rocsparse_index_base_PKT1_PKT2_PKS2_S3_PS4_PS7_PS2_
	.p2align	8
	.type	_ZN9rocsparseL38csr2bsr_block_per_row_multipass_kernelILj256ELj32EfllEEv20rocsparse_direction_T3_S2_S2_S2_S2_21rocsparse_index_base_PKT1_PKT2_PKS2_S3_PS4_PS7_PS2_,@function
_ZN9rocsparseL38csr2bsr_block_per_row_multipass_kernelILj256ELj32EfllEEv20rocsparse_direction_T3_S2_S2_S2_S2_21rocsparse_index_base_PKT1_PKT2_PKS2_S3_PS4_PS7_PS2_: ; @_ZN9rocsparseL38csr2bsr_block_per_row_multipass_kernelILj256ELj32EfllEEv20rocsparse_direction_T3_S2_S2_S2_S2_21rocsparse_index_base_PKT1_PKT2_PKS2_S3_PS4_PS7_PS2_
; %bb.0:
	s_clause 0x1
	s_load_b128 s[12:15], s[0:1], 0x20
	s_load_b64 s[6:7], s[0:1], 0x8
	s_bfe_u32 s3, ttmp6, 0x4000c
	s_and_b32 s2, ttmp6, 15
	s_add_co_i32 s3, s3, 1
	s_getreg_b32 s4, hwreg(HW_REG_IB_STS2, 6, 4)
	s_mul_i32 s3, ttmp9, s3
	v_dual_mov_b32 v9, 0 :: v_dual_lshrrev_b32 v8, 3, v0
	s_add_co_i32 s2, s2, s3
	s_cmp_eq_u32 s4, 0
	s_clause 0x1
	s_load_b32 s20, s[0:1], 0x30
	s_load_b64 s[4:5], s[0:1], 0x40
	s_cselect_b32 s2, ttmp9, s2
	v_mov_b64_e32 v[2:3], 0
	s_ashr_i32 s3, s2, 31
	v_mov_b64_e32 v[20:21], 0
	s_mov_b32 s21, 0
	s_wait_kmcnt 0x0
	v_mad_nc_u64_u32 v[4:5], s14, s2, v[8:9]
	s_mul_i32 s8, s14, s3
	s_mul_i32 s9, s15, s2
	s_delay_alu instid0(VALU_DEP_1) | instid1(SALU_CYCLE_1)
	v_add3_u32 v5, s8, s9, v5
	v_cmp_gt_i64_e64 s8, s[14:15], v[8:9]
	s_delay_alu instid0(VALU_DEP_2) | instskip(SKIP_1) | instid1(SALU_CYCLE_1)
	v_cmp_gt_i64_e32 vcc_lo, s[6:7], v[4:5]
	s_and_b32 s6, s8, vcc_lo
	s_and_saveexec_b32 s7, s6
	s_cbranch_execnz .LBB69_3
; %bb.1:
	s_or_b32 exec_lo, exec_lo, s7
	s_and_saveexec_b32 s7, s6
	s_cbranch_execnz .LBB69_4
.LBB69_2:
	s_or_b32 exec_lo, exec_lo, s7
	v_cmp_lt_i64_e64 s4, s[12:13], 1
	s_and_b32 vcc_lo, exec_lo, s4
	s_cbranch_vccz .LBB69_5
	s_branch .LBB69_57
.LBB69_3:
	v_lshl_add_u64 v[6:7], v[4:5], 3, s[4:5]
	global_load_b64 v[6:7], v[6:7], off
	s_wait_loadcnt 0x0
	v_sub_nc_u64_e64 v[20:21], v[6:7], s[20:21]
	s_or_b32 exec_lo, exec_lo, s7
	s_and_saveexec_b32 s7, s6
	s_cbranch_execz .LBB69_2
.LBB69_4:
	v_lshl_add_u64 v[2:3], v[4:5], 3, s[4:5]
	global_load_b64 v[2:3], v[2:3], off offset:8
	s_wait_loadcnt 0x0
	v_sub_nc_u64_e64 v[2:3], v[2:3], s[20:21]
	s_or_b32 exec_lo, exec_lo, s7
	v_cmp_lt_i64_e64 s4, s[12:13], 1
	s_and_b32 vcc_lo, exec_lo, s4
	s_cbranch_vccnz .LBB69_57
.LBB69_5:
	v_mul_u64_e32 v[12:13], s[14:15], v[8:9]
	v_dual_lshlrev_b32 v10, 2, v8 :: v_dual_mov_b32 v4, 0
	v_mbcnt_lo_u32_b32 v1, -1, 0
	s_clause 0x1
	s_load_b128 s[4:7], s[0:1], 0x58
	s_load_b64 s[22:23], s[0:1], 0x68
	v_and_b32_e32 v6, 7, v0
	s_clause 0x2
	s_load_b96 s[16:18], s[0:1], 0x48
	s_load_b64 s[26:27], s[0:1], 0x38
	s_load_b32 s9, s[0:1], 0x0
	v_dual_mov_b32 v7, v4 :: v_dual_bitop2_b32 v5, 4, v1 bitop3:0x14
	v_dual_mov_b32 v11, v4 :: v_dual_lshlrev_b32 v36, 7, v8
	v_dual_lshlrev_b32 v24, 2, v6 :: v_dual_bitop2_b32 v8, 2, v1 bitop3:0x14
	v_mov_b32_e32 v23, v4
	s_delay_alu instid0(VALU_DEP_4)
	v_cmp_gt_i32_e32 vcc_lo, 32, v5
	v_dual_mov_b32 v27, v4 :: v_dual_bitop2_b32 v9, 1, v1 bitop3:0x14
	v_or_b32_e32 v26, 16, v6
	v_dual_mov_b32 v29, v4 :: v_dual_bitop2_b32 v22, 8, v6 bitop3:0x54
	v_cndmask_b32_e32 v5, v1, v5, vcc_lo
	v_cmp_gt_i32_e32 vcc_lo, 32, v8
	v_or_b32_e32 v28, 24, v6
	s_wait_xcnt 0x0
	s_lshl_b64 s[0:1], s[2:3], 3
	v_dual_mov_b32 v25, v4 :: v_dual_lshlrev_b32 v37, 2, v5
	v_cndmask_b32_e32 v14, v1, v8, vcc_lo
	v_cmp_gt_i32_e32 vcc_lo, 32, v9
	v_mul_u64_e32 v[16:17], s[14:15], v[28:29]
	s_wait_kmcnt 0x0
	s_add_nc_u64 s[0:1], s[6:7], s[0:1]
	s_cmp_lg_u32 s9, 0
	v_dual_lshlrev_b32 v38, 2, v14 :: v_dual_cndmask_b32 v30, v1, v9, vcc_lo
	v_mul_u64_e32 v[8:9], s[14:15], v[6:7]
	v_lshl_add_u64 v[18:19], v[12:13], 2, s[4:5]
	v_mul_u64_e32 v[12:13], s[14:15], v[22:23]
	v_mul_u64_e32 v[14:15], s[14:15], v[26:27]
	s_load_b64 s[0:1], s[0:1], 0x0
	v_cmp_gt_i64_e32 vcc_lo, s[14:15], v[6:7]
	s_mov_b32 s11, 0
	s_cselect_b32 s33, -1, 0
	v_cmp_gt_i64_e64 s9, s[14:15], v[22:23]
	v_cmp_gt_i64_e64 s10, s[14:15], v[26:27]
	s_mov_b32 s19, s11
	v_add_nc_u64_e32 v[10:11], s[4:5], v[10:11]
	s_and_b32 s38, s8, vcc_lo
	v_cmp_gt_i64_e32 vcc_lo, s[14:15], v[28:29]
	v_add_nc_u64_e32 v[18:19], v[18:19], v[24:25]
	v_mov_b64_e32 v[22:23], 0
	v_dual_lshlrev_b32 v39, 2, v30 :: v_dual_lshlrev_b32 v41, 3, v0
	v_lshl_or_b32 v40, v1, 2, 28
	v_cmp_gt_u32_e64 s2, 32, v0
	v_cmp_gt_u32_e64 s3, 16, v0
	v_cmp_gt_u32_e64 s4, 8, v0
	v_cmp_gt_u32_e64 s5, 4, v0
	v_cmp_gt_u32_e64 s6, 2, v0
	s_wait_kmcnt 0x0
	s_sub_nc_u64 s[28:29], s[0:1], s[18:19]
	v_cmp_gt_u32_e64 s0, 0x80, v0
	v_cmp_gt_u32_e64 s1, 64, v0
	v_cmp_eq_u32_e64 s7, 0, v0
	v_dual_mov_b32 v43, 1 :: v_dual_add_nc_u32 v42, v24, v36
	s_mul_u64 s[24:25], s[14:15], s[14:15]
	s_mov_b32 s21, s11
	s_and_b32 s39, s8, s9
	s_and_b32 s40, s8, s10
	s_mov_b64 s[30:31], 0xffffffff
	s_and_b32 s41, s8, vcc_lo
	s_ashr_i32 s34, s15, 31
	s_sub_co_i32 s42, 0, s14
	s_branch .LBB69_7
.LBB69_6:                               ;   in Loop: Header=BB69_7 Depth=1
	s_or_b32 exec_lo, exec_lo, s10
	s_wait_dscnt 0x0
	s_barrier_signal -1
	s_barrier_wait -1
	ds_load_b64 v[22:23], v4
	s_add_nc_u64 s[28:29], s[8:9], s[28:29]
	s_wait_dscnt 0x0
	s_barrier_signal -1
	s_barrier_wait -1
	v_cmp_gt_i64_e32 vcc_lo, s[12:13], v[22:23]
	s_cbranch_vccz .LBB69_57
.LBB69_7:                               ; =>This Loop Header: Depth=1
                                        ;     Child Loop BB69_10 Depth 2
	v_add_nc_u64_e32 v[20:21], v[20:21], v[6:7]
	v_mov_b64_e32 v[0:1], s[12:13]
	v_mov_b64_e32 v[34:35], v[2:3]
	s_mov_b32 s9, exec_lo
	ds_store_b8 v4, v4 offset:4096
	ds_store_2addr_b32 v42, v4, v4 offset1:8
	ds_store_2addr_b32 v42, v4, v4 offset0:16 offset1:24
	s_wait_dscnt 0x0
	s_barrier_signal -1
	s_barrier_wait -1
	v_cmpx_lt_i64_e64 v[20:21], v[2:3]
	s_cbranch_execz .LBB69_19
; %bb.8:                                ;   in Loop: Header=BB69_7 Depth=1
	v_mul_u64_e32 v[24:25], s[14:15], v[22:23]
	v_mov_b64_e32 v[0:1], s[12:13]
	v_mov_b64_e32 v[30:31], v[2:3]
	v_lshl_add_u64 v[26:27], v[20:21], 2, s[26:27]
	v_lshl_add_u64 v[28:29], v[20:21], 3, s[16:17]
	s_mov_b32 s43, 0
	s_branch .LBB69_10
.LBB69_9:                               ;   in Loop: Header=BB69_10 Depth=2
	s_wait_xcnt 0x0
	s_or_b32 exec_lo, exec_lo, s8
	v_add_nc_u64_e32 v[20:21], 8, v[20:21]
	s_xor_b32 s10, vcc_lo, -1
	v_add_nc_u64_e32 v[26:27], 32, v[26:27]
	v_add_nc_u64_e32 v[28:29], 64, v[28:29]
	v_mov_b64_e32 v[30:31], v[34:35]
	s_delay_alu instid0(VALU_DEP_4) | instskip(SKIP_1) | instid1(SALU_CYCLE_1)
	v_cmp_ge_i64_e64 s8, v[20:21], v[2:3]
	s_or_b32 s8, s10, s8
	s_and_b32 s8, exec_lo, s8
	s_delay_alu instid0(SALU_CYCLE_1) | instskip(NEXT) | instid1(SALU_CYCLE_1)
	s_or_b32 s43, s8, s43
	s_and_not1_b32 exec_lo, exec_lo, s43
	s_cbranch_execz .LBB69_18
.LBB69_10:                              ;   Parent Loop BB69_7 Depth=1
                                        ; =>  This Inner Loop Header: Depth=2
	global_load_b64 v[32:33], v[28:29], off
                                        ; implicit-def: $vgpr34_vgpr35
	s_mov_b32 s8, exec_lo
	s_wait_loadcnt 0x0
	v_sub_nc_u64_e64 v[32:33], v[32:33], s[20:21]
	s_delay_alu instid0(VALU_DEP_1) | instskip(SKIP_1) | instid1(VALU_DEP_1)
	v_or_b32_e32 v5, s15, v33
	s_wait_xcnt 0x0
	v_cmpx_ne_u64_e32 0, v[4:5]
	s_xor_b32 s44, exec_lo, s8
	s_cbranch_execz .LBB69_12
; %bb.11:                               ;   in Loop: Header=BB69_10 Depth=2
	s_mov_b32 s35, s34
	v_dual_mov_b32 v47, v4 :: v_dual_ashrrev_i32 v34, 31, v33
	s_add_nc_u64 s[36:37], s[14:15], s[34:35]
	s_delay_alu instid0(SALU_CYCLE_1) | instskip(NEXT) | instid1(VALU_DEP_1)
	s_xor_b64 s[36:37], s[36:37], s[34:35]
	v_mov_b32_e32 v35, v34
	s_cvt_f32_u32 s8, s36
	s_cvt_f32_u32 s10, s37
	s_sub_nc_u64 s[48:49], 0, s[36:37]
	s_delay_alu instid0(VALU_DEP_1) | instskip(NEXT) | instid1(SALU_CYCLE_1)
	v_add_nc_u64_e32 v[44:45], v[32:33], v[34:35]
	s_fmamk_f32 s8, s10, 0x4f800000, s8
	v_mov_b32_e32 v51, v4
	s_delay_alu instid0(SALU_CYCLE_2) | instskip(NEXT) | instid1(VALU_DEP_2)
	v_s_rcp_f32 s8, s8
	v_xor_b32_e32 v46, v44, v34
	s_delay_alu instid0(VALU_DEP_3) | instskip(NEXT) | instid1(TRANS32_DEP_1)
	v_dual_mov_b32 v55, v4 :: v_dual_bitop2_b32 v50, v45, v34 bitop3:0x14
	s_mul_f32 s8, s8, 0x5f7ffffc
	s_delay_alu instid0(SALU_CYCLE_3) | instskip(NEXT) | instid1(SALU_CYCLE_3)
	s_mul_f32 s10, s8, 0x2f800000
	s_trunc_f32 s10, s10
	s_delay_alu instid0(SALU_CYCLE_3) | instskip(SKIP_1) | instid1(SALU_CYCLE_2)
	s_fmamk_f32 s8, s10, 0xcf800000, s8
	s_cvt_u32_f32 s47, s10
	s_cvt_u32_f32 s46, s8
	s_delay_alu instid0(SALU_CYCLE_3) | instskip(NEXT) | instid1(SALU_CYCLE_1)
	s_mul_u64 s[50:51], s[48:49], s[46:47]
	s_mul_hi_u32 s53, s46, s51
	s_mul_i32 s52, s46, s51
	s_mul_hi_u32 s10, s46, s50
	s_mul_i32 s35, s47, s50
	s_add_nc_u64 s[52:53], s[10:11], s[52:53]
	s_mul_hi_u32 s8, s47, s50
	s_mul_hi_u32 s45, s47, s51
	s_add_co_u32 s10, s52, s35
	s_add_co_ci_u32 s10, s53, s8
	s_mul_i32 s50, s47, s51
	s_add_co_ci_u32 s51, s45, 0
	s_delay_alu instid0(SALU_CYCLE_1) | instskip(NEXT) | instid1(SALU_CYCLE_1)
	s_add_nc_u64 s[50:51], s[10:11], s[50:51]
	s_add_co_u32 s46, s46, s50
	s_cselect_b32 s8, -1, 0
	s_delay_alu instid0(SALU_CYCLE_1) | instskip(SKIP_1) | instid1(SALU_CYCLE_1)
	s_cmp_lg_u32 s8, 0
	s_add_co_ci_u32 s47, s47, s51
	s_mul_u64 s[48:49], s[48:49], s[46:47]
	s_delay_alu instid0(SALU_CYCLE_1)
	s_mul_hi_u32 s51, s46, s49
	s_mul_i32 s50, s46, s49
	s_mul_hi_u32 s10, s46, s48
	s_mul_i32 s35, s47, s48
	s_add_nc_u64 s[50:51], s[10:11], s[50:51]
	s_mul_hi_u32 s8, s47, s48
	s_mul_hi_u32 s45, s47, s49
	s_add_co_u32 s10, s50, s35
	s_add_co_ci_u32 s10, s51, s8
	s_mul_i32 s48, s47, s49
	s_add_co_ci_u32 s49, s45, 0
	s_delay_alu instid0(SALU_CYCLE_1) | instskip(NEXT) | instid1(SALU_CYCLE_1)
	s_add_nc_u64 s[48:49], s[10:11], s[48:49]
	s_add_co_u32 s8, s46, s48
	s_cselect_b32 s10, -1, 0
	v_mul_hi_u32 v54, v46, s8
	s_cmp_lg_u32 s10, 0
	s_add_co_ci_u32 s10, s47, s49
	s_and_b64 s[46:47], s[8:9], s[30:31]
	v_mul_u64_e32 v[48:49], s[10:11], v[46:47]
	v_mul_u64_e32 v[44:45], s[46:47], v[50:51]
	;; [unrolled: 1-line block ×3, first 2 shown]
	s_delay_alu instid0(VALU_DEP_3) | instskip(NEXT) | instid1(VALU_DEP_1)
	v_add_nc_u64_e32 v[48:49], v[54:55], v[48:49]
	v_add_co_u32 v5, vcc_lo, v48, v44
	s_delay_alu instid0(VALU_DEP_2) | instskip(NEXT) | instid1(VALU_DEP_4)
	v_add_co_ci_u32_e32 v54, vcc_lo, v49, v45, vcc_lo
	v_add_co_ci_u32_e32 v53, vcc_lo, 0, v53, vcc_lo
	s_delay_alu instid0(VALU_DEP_1) | instskip(NEXT) | instid1(VALU_DEP_1)
	v_add_nc_u64_e32 v[44:45], v[54:55], v[52:53]
	v_mul_u64_e32 v[48:49], s[36:37], v[44:45]
	s_delay_alu instid0(VALU_DEP_1) | instskip(NEXT) | instid1(VALU_DEP_2)
	v_sub_nc_u32_e32 v5, v50, v49
	v_sub_co_u32 v25, vcc_lo, v46, v48
	s_delay_alu instid0(VALU_DEP_1) | instskip(NEXT) | instid1(VALU_DEP_3)
	v_sub_co_ci_u32_e64 v35, null, v50, v49, vcc_lo
	v_subrev_co_ci_u32_e64 v5, null, s37, v5, vcc_lo
	s_delay_alu instid0(VALU_DEP_3) | instskip(SKIP_1) | instid1(VALU_DEP_3)
	v_sub_co_u32 v33, s8, v25, s36
	v_add_nc_u64_e32 v[48:49], 1, v[44:45]
	v_subrev_co_ci_u32_e64 v5, null, 0, v5, s8
	s_delay_alu instid0(VALU_DEP_3) | instskip(SKIP_1) | instid1(VALU_DEP_3)
	v_cmp_le_u32_e32 vcc_lo, s36, v33
	v_cndmask_b32_e64 v33, 0, -1, vcc_lo
	v_cmp_le_u32_e32 vcc_lo, s37, v5
	v_cndmask_b32_e64 v46, 0, -1, vcc_lo
	;; [unrolled: 2-line block ×4, first 2 shown]
	v_cmp_eq_u32_e32 vcc_lo, s37, v5
	v_cndmask_b32_e32 v5, v46, v33, vcc_lo
	v_cmp_eq_u32_e32 vcc_lo, s37, v35
	v_add_nc_u64_e32 v[46:47], 2, v[44:45]
	v_cndmask_b32_e32 v25, v50, v25, vcc_lo
	s_delay_alu instid0(VALU_DEP_4) | instskip(NEXT) | instid1(VALU_DEP_3)
	v_cmp_ne_u32_e32 vcc_lo, 0, v5
	v_cndmask_b32_e32 v5, v49, v47, vcc_lo
	s_delay_alu instid0(VALU_DEP_3) | instskip(SKIP_1) | instid1(VALU_DEP_2)
	v_cmp_ne_u32_e64 s8, 0, v25
	v_cndmask_b32_e32 v25, v48, v46, vcc_lo
	v_dual_cndmask_b32 v5, v45, v5, s8 :: v_dual_bitop2_b32 v34, s34, v34 bitop3:0x14
	s_delay_alu instid0(VALU_DEP_1) | instskip(NEXT) | instid1(VALU_DEP_2)
	v_dual_cndmask_b32 v25, v44, v25, s8 :: v_dual_mov_b32 v35, v34
	v_xor_b32_e32 v45, v5, v34
	s_delay_alu instid0(VALU_DEP_2) | instskip(NEXT) | instid1(VALU_DEP_1)
	v_xor_b32_e32 v44, v25, v34
	v_sub_nc_u64_e32 v[34:35], v[44:45], v[34:35]
.LBB69_12:                              ;   in Loop: Header=BB69_10 Depth=2
	s_and_not1_saveexec_b32 s8, s44
	s_cbranch_execz .LBB69_14
; %bb.13:                               ;   in Loop: Header=BB69_10 Depth=2
	v_cvt_f32_u32_e32 v5, s14
	v_mov_b32_e32 v35, v4
	s_delay_alu instid0(VALU_DEP_2) | instskip(SKIP_1) | instid1(TRANS32_DEP_1)
	v_rcp_iflag_f32_e32 v5, v5
	v_nop
	v_mul_f32_e32 v5, 0x4f7ffffe, v5
	s_delay_alu instid0(VALU_DEP_1) | instskip(NEXT) | instid1(VALU_DEP_1)
	v_cvt_u32_f32_e32 v5, v5
	v_mul_lo_u32 v25, s42, v5
	s_delay_alu instid0(VALU_DEP_1) | instskip(NEXT) | instid1(VALU_DEP_1)
	v_mul_hi_u32 v25, v5, v25
	v_add_nc_u32_e32 v5, v5, v25
	s_delay_alu instid0(VALU_DEP_1) | instskip(NEXT) | instid1(VALU_DEP_1)
	v_mul_hi_u32 v5, v32, v5
	v_mul_lo_u32 v25, v5, s14
	s_delay_alu instid0(VALU_DEP_1) | instskip(NEXT) | instid1(VALU_DEP_1)
	v_sub_nc_u32_e32 v25, v32, v25
	v_subrev_nc_u32_e32 v34, s14, v25
	v_cmp_le_u32_e32 vcc_lo, s14, v25
	s_delay_alu instid0(VALU_DEP_2) | instskip(NEXT) | instid1(VALU_DEP_1)
	v_dual_add_nc_u32 v33, 1, v5 :: v_dual_cndmask_b32 v25, v25, v34, vcc_lo
	v_cndmask_b32_e32 v5, v5, v33, vcc_lo
	s_delay_alu instid0(VALU_DEP_2) | instskip(NEXT) | instid1(VALU_DEP_2)
	v_cmp_le_u32_e32 vcc_lo, s14, v25
	v_add_nc_u32_e32 v33, 1, v5
	s_delay_alu instid0(VALU_DEP_1)
	v_cndmask_b32_e32 v34, v5, v33, vcc_lo
.LBB69_14:                              ;   in Loop: Header=BB69_10 Depth=2
	s_or_b32 exec_lo, exec_lo, s8
	s_delay_alu instid0(VALU_DEP_1) | instskip(SKIP_2) | instid1(SALU_CYCLE_1)
	v_cmp_ne_u64_e64 s8, v[34:35], v[22:23]
	v_cmp_eq_u64_e32 vcc_lo, v[34:35], v[22:23]
	s_and_saveexec_b32 s10, s8
	s_xor_b32 s8, exec_lo, s10
; %bb.15:                               ;   in Loop: Header=BB69_10 Depth=2
	v_min_i64 v[0:1], v[34:35], v[0:1]
                                        ; implicit-def: $vgpr32_vgpr33
                                        ; implicit-def: $vgpr30_vgpr31
; %bb.16:                               ;   in Loop: Header=BB69_10 Depth=2
	s_or_saveexec_b32 s8, s8
	v_mov_b64_e32 v[34:35], v[20:21]
	s_xor_b32 exec_lo, exec_lo, s8
	s_cbranch_execz .LBB69_9
; %bb.17:                               ;   in Loop: Header=BB69_10 Depth=2
	global_load_b32 v5, v[26:27], off
	v_sub_nc_u32_e32 v25, v32, v24
	v_mov_b64_e32 v[34:35], v[30:31]
	s_delay_alu instid0(VALU_DEP_2)
	v_lshl_add_u32 v25, v25, 2, v36
	ds_store_b8 v4, v43 offset:4096
	s_wait_loadcnt 0x0
	ds_store_b32 v25, v5
	s_branch .LBB69_9
.LBB69_18:                              ;   in Loop: Header=BB69_7 Depth=1
	s_or_b32 exec_lo, exec_lo, s43
.LBB69_19:                              ;   in Loop: Header=BB69_7 Depth=1
	s_delay_alu instid0(SALU_CYCLE_1)
	s_or_b32 exec_lo, exec_lo, s9
	ds_bpermute_b32 v20, v37, v34
	ds_bpermute_b32 v21, v37, v35
	s_wait_dscnt 0x0
	s_barrier_signal -1
	s_barrier_wait -1
	ds_load_u8 v5, v4 offset:4096
	s_mov_b64 s[8:9], 0
	v_min_i64 v[20:21], v[20:21], v[34:35]
	s_wait_dscnt 0x0
	v_and_b32_e32 v5, 1, v5
	s_delay_alu instid0(VALU_DEP_1)
	v_cmp_eq_u32_e32 vcc_lo, 0, v5
	s_and_b32 vcc_lo, exec_lo, vcc_lo
	ds_bpermute_b32 v24, v38, v20
	ds_bpermute_b32 v25, v38, v21
	s_wait_dscnt 0x0
	v_min_i64 v[20:21], v[24:25], v[20:21]
	ds_bpermute_b32 v24, v39, v20
	ds_bpermute_b32 v25, v39, v21
	s_wait_dscnt 0x0
	v_min_i64 v[20:21], v[24:25], v[20:21]
	ds_bpermute_b32 v20, v40, v20
	ds_bpermute_b32 v21, v40, v21
	s_cbranch_vccnz .LBB69_37
; %bb.20:                               ;   in Loop: Header=BB69_7 Depth=1
	s_mul_u64 s[8:9], s[24:25], s[28:29]
	v_add_nc_u64_e32 v[26:27], s[18:19], v[22:23]
	s_lshl_b64 s[8:9], s[8:9], 2
	s_delay_alu instid0(SALU_CYCLE_1) | instskip(SKIP_2) | instid1(SALU_CYCLE_1)
	v_add_nc_u64_e32 v[24:25], s[8:9], v[10:11]
	v_add_nc_u64_e32 v[22:23], s[8:9], v[18:19]
	s_lshl_b64 s[8:9], s[28:29], 3
	s_add_nc_u64 s[8:9], s[22:23], s[8:9]
	global_store_b64 v4, v[26:27], s[8:9]
	s_wait_xcnt 0x0
	s_and_saveexec_b32 s8, s38
	s_cbranch_execz .LBB69_24
; %bb.21:                               ;   in Loop: Header=BB69_7 Depth=1
	ds_load_b32 v5, v42
	s_and_b32 vcc_lo, exec_lo, s33
	s_cbranch_vccz .LBB69_53
; %bb.22:                               ;   in Loop: Header=BB69_7 Depth=1
	v_lshl_add_u64 v[26:27], v[8:9], 2, v[24:25]
	s_wait_dscnt 0x0
	global_store_b32 v[26:27], v5, off
	s_cbranch_execnz .LBB69_24
.LBB69_23:                              ;   in Loop: Header=BB69_7 Depth=1
	s_wait_dscnt 0x0
	global_store_b32 v[22:23], v5, off
.LBB69_24:                              ;   in Loop: Header=BB69_7 Depth=1
	s_wait_xcnt 0x0
	s_or_b32 exec_lo, exec_lo, s8
	s_and_saveexec_b32 s8, s39
	s_cbranch_execz .LBB69_28
; %bb.25:                               ;   in Loop: Header=BB69_7 Depth=1
	s_wait_dscnt 0x0
	ds_load_b32 v5, v42 offset:32
	s_and_not1_b32 vcc_lo, exec_lo, s33
	s_cbranch_vccnz .LBB69_54
; %bb.26:                               ;   in Loop: Header=BB69_7 Depth=1
	v_lshl_add_u64 v[26:27], v[12:13], 2, v[24:25]
	s_wait_dscnt 0x0
	global_store_b32 v[26:27], v5, off
	s_cbranch_execnz .LBB69_28
.LBB69_27:                              ;   in Loop: Header=BB69_7 Depth=1
	s_wait_dscnt 0x0
	global_store_b32 v[22:23], v5, off offset:32
.LBB69_28:                              ;   in Loop: Header=BB69_7 Depth=1
	s_wait_xcnt 0x0
	s_or_b32 exec_lo, exec_lo, s8
	s_and_saveexec_b32 s8, s40
	s_cbranch_execz .LBB69_32
; %bb.29:                               ;   in Loop: Header=BB69_7 Depth=1
	s_wait_dscnt 0x0
	ds_load_b32 v5, v42 offset:64
	s_and_not1_b32 vcc_lo, exec_lo, s33
	s_cbranch_vccnz .LBB69_55
; %bb.30:                               ;   in Loop: Header=BB69_7 Depth=1
	v_lshl_add_u64 v[26:27], v[14:15], 2, v[24:25]
	s_wait_dscnt 0x0
	global_store_b32 v[26:27], v5, off
	s_cbranch_execnz .LBB69_32
.LBB69_31:                              ;   in Loop: Header=BB69_7 Depth=1
	s_wait_dscnt 0x0
	global_store_b32 v[22:23], v5, off offset:64
.LBB69_32:                              ;   in Loop: Header=BB69_7 Depth=1
	s_wait_xcnt 0x0
	s_or_b32 exec_lo, exec_lo, s8
	s_and_saveexec_b32 s8, s41
	s_cbranch_execz .LBB69_36
; %bb.33:                               ;   in Loop: Header=BB69_7 Depth=1
	s_wait_dscnt 0x0
	ds_load_b32 v5, v42 offset:96
	s_and_not1_b32 vcc_lo, exec_lo, s33
	s_cbranch_vccnz .LBB69_56
; %bb.34:                               ;   in Loop: Header=BB69_7 Depth=1
	v_lshl_add_u64 v[24:25], v[16:17], 2, v[24:25]
	s_wait_dscnt 0x0
	global_store_b32 v[24:25], v5, off
	s_cbranch_execnz .LBB69_36
.LBB69_35:                              ;   in Loop: Header=BB69_7 Depth=1
	s_wait_dscnt 0x0
	global_store_b32 v[22:23], v5, off offset:96
.LBB69_36:                              ;   in Loop: Header=BB69_7 Depth=1
	s_wait_xcnt 0x0
	s_or_b32 exec_lo, exec_lo, s8
	s_mov_b64 s[8:9], 1
.LBB69_37:                              ;   in Loop: Header=BB69_7 Depth=1
	s_wait_storecnt_dscnt 0x0
	s_barrier_signal -1
	s_barrier_wait -1
	ds_store_b64 v41, v[0:1]
	s_wait_dscnt 0x0
	s_barrier_signal -1
	s_barrier_wait -1
	s_and_saveexec_b32 s10, s0
	s_cbranch_execz .LBB69_39
; %bb.38:                               ;   in Loop: Header=BB69_7 Depth=1
	ds_load_2addr_stride64_b64 v[22:25], v41 offset1:2
	s_wait_dscnt 0x0
	v_min_i64 v[0:1], v[24:25], v[22:23]
	ds_store_b64 v41, v[0:1]
.LBB69_39:                              ;   in Loop: Header=BB69_7 Depth=1
	s_or_b32 exec_lo, exec_lo, s10
	s_wait_dscnt 0x0
	s_barrier_signal -1
	s_barrier_wait -1
	s_and_saveexec_b32 s10, s1
	s_cbranch_execz .LBB69_41
; %bb.40:                               ;   in Loop: Header=BB69_7 Depth=1
	ds_load_2addr_stride64_b64 v[22:25], v41 offset1:1
	s_wait_dscnt 0x0
	v_min_i64 v[0:1], v[24:25], v[22:23]
	ds_store_b64 v41, v[0:1]
.LBB69_41:                              ;   in Loop: Header=BB69_7 Depth=1
	s_or_b32 exec_lo, exec_lo, s10
	s_wait_dscnt 0x0
	s_barrier_signal -1
	s_barrier_wait -1
	s_and_saveexec_b32 s10, s2
	s_cbranch_execz .LBB69_43
; %bb.42:                               ;   in Loop: Header=BB69_7 Depth=1
	ds_load_2addr_b64 v[22:25], v41 offset1:32
	s_wait_dscnt 0x0
	v_min_i64 v[0:1], v[24:25], v[22:23]
	ds_store_b64 v41, v[0:1]
.LBB69_43:                              ;   in Loop: Header=BB69_7 Depth=1
	s_or_b32 exec_lo, exec_lo, s10
	s_wait_dscnt 0x0
	s_barrier_signal -1
	s_barrier_wait -1
	s_and_saveexec_b32 s10, s3
	s_cbranch_execz .LBB69_45
; %bb.44:                               ;   in Loop: Header=BB69_7 Depth=1
	ds_load_2addr_b64 v[22:25], v41 offset1:16
	s_wait_dscnt 0x0
	v_min_i64 v[0:1], v[24:25], v[22:23]
	ds_store_b64 v41, v[0:1]
.LBB69_45:                              ;   in Loop: Header=BB69_7 Depth=1
	;; [unrolled: 12-line block ×5, first 2 shown]
	s_or_b32 exec_lo, exec_lo, s10
	s_wait_dscnt 0x0
	s_barrier_signal -1
	s_barrier_wait -1
	s_and_saveexec_b32 s10, s7
	s_cbranch_execz .LBB69_6
; %bb.52:                               ;   in Loop: Header=BB69_7 Depth=1
	ds_load_b128 v[22:25], v4
	s_wait_dscnt 0x0
	v_min_i64 v[0:1], v[24:25], v[22:23]
	ds_store_b64 v4, v[0:1]
	s_branch .LBB69_6
.LBB69_53:                              ;   in Loop: Header=BB69_7 Depth=1
	s_branch .LBB69_23
.LBB69_54:                              ;   in Loop: Header=BB69_7 Depth=1
	s_branch .LBB69_27
.LBB69_55:                              ;   in Loop: Header=BB69_7 Depth=1
	s_branch .LBB69_31
.LBB69_56:                              ;   in Loop: Header=BB69_7 Depth=1
	s_branch .LBB69_35
.LBB69_57:
	s_endpgm
	.section	.rodata,"a",@progbits
	.p2align	6, 0x0
	.amdhsa_kernel _ZN9rocsparseL38csr2bsr_block_per_row_multipass_kernelILj256ELj32EfllEEv20rocsparse_direction_T3_S2_S2_S2_S2_21rocsparse_index_base_PKT1_PKT2_PKS2_S3_PS4_PS7_PS2_
		.amdhsa_group_segment_fixed_size 4100
		.amdhsa_private_segment_fixed_size 0
		.amdhsa_kernarg_size 112
		.amdhsa_user_sgpr_count 2
		.amdhsa_user_sgpr_dispatch_ptr 0
		.amdhsa_user_sgpr_queue_ptr 0
		.amdhsa_user_sgpr_kernarg_segment_ptr 1
		.amdhsa_user_sgpr_dispatch_id 0
		.amdhsa_user_sgpr_kernarg_preload_length 0
		.amdhsa_user_sgpr_kernarg_preload_offset 0
		.amdhsa_user_sgpr_private_segment_size 0
		.amdhsa_wavefront_size32 1
		.amdhsa_uses_dynamic_stack 0
		.amdhsa_enable_private_segment 0
		.amdhsa_system_sgpr_workgroup_id_x 1
		.amdhsa_system_sgpr_workgroup_id_y 0
		.amdhsa_system_sgpr_workgroup_id_z 0
		.amdhsa_system_sgpr_workgroup_info 0
		.amdhsa_system_vgpr_workitem_id 0
		.amdhsa_next_free_vgpr 56
		.amdhsa_next_free_sgpr 54
		.amdhsa_named_barrier_count 0
		.amdhsa_reserve_vcc 1
		.amdhsa_float_round_mode_32 0
		.amdhsa_float_round_mode_16_64 0
		.amdhsa_float_denorm_mode_32 3
		.amdhsa_float_denorm_mode_16_64 3
		.amdhsa_fp16_overflow 0
		.amdhsa_memory_ordered 1
		.amdhsa_forward_progress 1
		.amdhsa_inst_pref_size 22
		.amdhsa_round_robin_scheduling 0
		.amdhsa_exception_fp_ieee_invalid_op 0
		.amdhsa_exception_fp_denorm_src 0
		.amdhsa_exception_fp_ieee_div_zero 0
		.amdhsa_exception_fp_ieee_overflow 0
		.amdhsa_exception_fp_ieee_underflow 0
		.amdhsa_exception_fp_ieee_inexact 0
		.amdhsa_exception_int_div_zero 0
	.end_amdhsa_kernel
	.section	.text._ZN9rocsparseL38csr2bsr_block_per_row_multipass_kernelILj256ELj32EfllEEv20rocsparse_direction_T3_S2_S2_S2_S2_21rocsparse_index_base_PKT1_PKT2_PKS2_S3_PS4_PS7_PS2_,"axG",@progbits,_ZN9rocsparseL38csr2bsr_block_per_row_multipass_kernelILj256ELj32EfllEEv20rocsparse_direction_T3_S2_S2_S2_S2_21rocsparse_index_base_PKT1_PKT2_PKS2_S3_PS4_PS7_PS2_,comdat
.Lfunc_end69:
	.size	_ZN9rocsparseL38csr2bsr_block_per_row_multipass_kernelILj256ELj32EfllEEv20rocsparse_direction_T3_S2_S2_S2_S2_21rocsparse_index_base_PKT1_PKT2_PKS2_S3_PS4_PS7_PS2_, .Lfunc_end69-_ZN9rocsparseL38csr2bsr_block_per_row_multipass_kernelILj256ELj32EfllEEv20rocsparse_direction_T3_S2_S2_S2_S2_21rocsparse_index_base_PKT1_PKT2_PKS2_S3_PS4_PS7_PS2_
                                        ; -- End function
	.set _ZN9rocsparseL38csr2bsr_block_per_row_multipass_kernelILj256ELj32EfllEEv20rocsparse_direction_T3_S2_S2_S2_S2_21rocsparse_index_base_PKT1_PKT2_PKS2_S3_PS4_PS7_PS2_.num_vgpr, 56
	.set _ZN9rocsparseL38csr2bsr_block_per_row_multipass_kernelILj256ELj32EfllEEv20rocsparse_direction_T3_S2_S2_S2_S2_21rocsparse_index_base_PKT1_PKT2_PKS2_S3_PS4_PS7_PS2_.num_agpr, 0
	.set _ZN9rocsparseL38csr2bsr_block_per_row_multipass_kernelILj256ELj32EfllEEv20rocsparse_direction_T3_S2_S2_S2_S2_21rocsparse_index_base_PKT1_PKT2_PKS2_S3_PS4_PS7_PS2_.numbered_sgpr, 54
	.set _ZN9rocsparseL38csr2bsr_block_per_row_multipass_kernelILj256ELj32EfllEEv20rocsparse_direction_T3_S2_S2_S2_S2_21rocsparse_index_base_PKT1_PKT2_PKS2_S3_PS4_PS7_PS2_.num_named_barrier, 0
	.set _ZN9rocsparseL38csr2bsr_block_per_row_multipass_kernelILj256ELj32EfllEEv20rocsparse_direction_T3_S2_S2_S2_S2_21rocsparse_index_base_PKT1_PKT2_PKS2_S3_PS4_PS7_PS2_.private_seg_size, 0
	.set _ZN9rocsparseL38csr2bsr_block_per_row_multipass_kernelILj256ELj32EfllEEv20rocsparse_direction_T3_S2_S2_S2_S2_21rocsparse_index_base_PKT1_PKT2_PKS2_S3_PS4_PS7_PS2_.uses_vcc, 1
	.set _ZN9rocsparseL38csr2bsr_block_per_row_multipass_kernelILj256ELj32EfllEEv20rocsparse_direction_T3_S2_S2_S2_S2_21rocsparse_index_base_PKT1_PKT2_PKS2_S3_PS4_PS7_PS2_.uses_flat_scratch, 0
	.set _ZN9rocsparseL38csr2bsr_block_per_row_multipass_kernelILj256ELj32EfllEEv20rocsparse_direction_T3_S2_S2_S2_S2_21rocsparse_index_base_PKT1_PKT2_PKS2_S3_PS4_PS7_PS2_.has_dyn_sized_stack, 0
	.set _ZN9rocsparseL38csr2bsr_block_per_row_multipass_kernelILj256ELj32EfllEEv20rocsparse_direction_T3_S2_S2_S2_S2_21rocsparse_index_base_PKT1_PKT2_PKS2_S3_PS4_PS7_PS2_.has_recursion, 0
	.set _ZN9rocsparseL38csr2bsr_block_per_row_multipass_kernelILj256ELj32EfllEEv20rocsparse_direction_T3_S2_S2_S2_S2_21rocsparse_index_base_PKT1_PKT2_PKS2_S3_PS4_PS7_PS2_.has_indirect_call, 0
	.section	.AMDGPU.csdata,"",@progbits
; Kernel info:
; codeLenInByte = 2788
; TotalNumSgprs: 56
; NumVgprs: 56
; ScratchSize: 0
; MemoryBound: 0
; FloatMode: 240
; IeeeMode: 1
; LDSByteSize: 4100 bytes/workgroup (compile time only)
; SGPRBlocks: 0
; VGPRBlocks: 3
; NumSGPRsForWavesPerEU: 56
; NumVGPRsForWavesPerEU: 56
; NamedBarCnt: 0
; Occupancy: 16
; WaveLimiterHint : 1
; COMPUTE_PGM_RSRC2:SCRATCH_EN: 0
; COMPUTE_PGM_RSRC2:USER_SGPR: 2
; COMPUTE_PGM_RSRC2:TRAP_HANDLER: 0
; COMPUTE_PGM_RSRC2:TGID_X_EN: 1
; COMPUTE_PGM_RSRC2:TGID_Y_EN: 0
; COMPUTE_PGM_RSRC2:TGID_Z_EN: 0
; COMPUTE_PGM_RSRC2:TIDIG_COMP_CNT: 0
	.section	.text._ZN9rocsparseL38csr2bsr_block_per_row_multipass_kernelILj256ELj64EfllEEv20rocsparse_direction_T3_S2_S2_S2_S2_21rocsparse_index_base_PKT1_PKT2_PKS2_S3_PS4_PS7_PS2_,"axG",@progbits,_ZN9rocsparseL38csr2bsr_block_per_row_multipass_kernelILj256ELj64EfllEEv20rocsparse_direction_T3_S2_S2_S2_S2_21rocsparse_index_base_PKT1_PKT2_PKS2_S3_PS4_PS7_PS2_,comdat
	.globl	_ZN9rocsparseL38csr2bsr_block_per_row_multipass_kernelILj256ELj64EfllEEv20rocsparse_direction_T3_S2_S2_S2_S2_21rocsparse_index_base_PKT1_PKT2_PKS2_S3_PS4_PS7_PS2_ ; -- Begin function _ZN9rocsparseL38csr2bsr_block_per_row_multipass_kernelILj256ELj64EfllEEv20rocsparse_direction_T3_S2_S2_S2_S2_21rocsparse_index_base_PKT1_PKT2_PKS2_S3_PS4_PS7_PS2_
	.p2align	8
	.type	_ZN9rocsparseL38csr2bsr_block_per_row_multipass_kernelILj256ELj64EfllEEv20rocsparse_direction_T3_S2_S2_S2_S2_21rocsparse_index_base_PKT1_PKT2_PKS2_S3_PS4_PS7_PS2_,@function
_ZN9rocsparseL38csr2bsr_block_per_row_multipass_kernelILj256ELj64EfllEEv20rocsparse_direction_T3_S2_S2_S2_S2_21rocsparse_index_base_PKT1_PKT2_PKS2_S3_PS4_PS7_PS2_: ; @_ZN9rocsparseL38csr2bsr_block_per_row_multipass_kernelILj256ELj64EfllEEv20rocsparse_direction_T3_S2_S2_S2_S2_21rocsparse_index_base_PKT1_PKT2_PKS2_S3_PS4_PS7_PS2_
; %bb.0:
	s_clause 0x1
	s_load_b128 s[12:15], s[0:1], 0x20
	s_load_b64 s[2:3], s[0:1], 0x8
	s_bfe_u32 s5, ttmp6, 0x4000c
	s_and_b32 s4, ttmp6, 15
	s_add_co_i32 s5, s5, 1
	s_getreg_b32 s6, hwreg(HW_REG_IB_STS2, 6, 4)
	s_mul_i32 s5, ttmp9, s5
	v_dual_mov_b32 v11, 0 :: v_dual_lshrrev_b32 v10, 2, v0
	s_add_co_i32 s4, s4, s5
	s_cmp_eq_u32 s6, 0
	s_clause 0x1
	s_load_b32 s10, s[0:1], 0x30
	s_load_b64 s[6:7], s[0:1], 0x40
	s_cselect_b32 s4, ttmp9, s4
	v_mov_b64_e32 v[2:3], 0
	s_ashr_i32 s5, s4, 31
	v_mov_b64_e32 v[18:19], 0
	s_mov_b32 s11, 0
	s_wait_kmcnt 0x0
	v_mad_nc_u64_u32 v[4:5], s14, s4, v[10:11]
	s_mul_i32 s8, s14, s5
	s_mul_i32 s9, s15, s4
	s_delay_alu instid0(VALU_DEP_1) | instid1(SALU_CYCLE_1)
	v_add3_u32 v5, s8, s9, v5
	s_delay_alu instid0(VALU_DEP_1) | instskip(SKIP_2) | instid1(SALU_CYCLE_1)
	v_cmp_gt_i64_e32 vcc_lo, s[2:3], v[4:5]
	v_cmp_gt_i64_e64 s2, s[14:15], v[10:11]
	s_and_b32 s3, s2, vcc_lo
	s_and_saveexec_b32 s8, s3
	s_cbranch_execnz .LBB70_3
; %bb.1:
	s_or_b32 exec_lo, exec_lo, s8
	s_and_saveexec_b32 s8, s3
	s_cbranch_execnz .LBB70_4
.LBB70_2:
	s_or_b32 exec_lo, exec_lo, s8
	v_cmp_lt_i64_e64 s3, s[12:13], 1
	s_and_b32 vcc_lo, exec_lo, s3
	s_cbranch_vccz .LBB70_5
	s_branch .LBB70_59
.LBB70_3:
	v_lshl_add_u64 v[6:7], v[4:5], 3, s[6:7]
	global_load_b64 v[6:7], v[6:7], off
	s_wait_loadcnt 0x0
	v_sub_nc_u64_e64 v[18:19], v[6:7], s[10:11]
	s_or_b32 exec_lo, exec_lo, s8
	s_and_saveexec_b32 s8, s3
	s_cbranch_execz .LBB70_2
.LBB70_4:
	v_lshl_add_u64 v[2:3], v[4:5], 3, s[6:7]
	global_load_b64 v[2:3], v[2:3], off offset:8
	s_wait_loadcnt 0x0
	v_sub_nc_u64_e64 v[2:3], v[2:3], s[10:11]
	s_or_b32 exec_lo, exec_lo, s8
	v_cmp_lt_i64_e64 s3, s[12:13], 1
	s_and_b32 vcc_lo, exec_lo, s3
	s_cbranch_vccnz .LBB70_59
.LBB70_5:
	v_mbcnt_lo_u32_b32 v1, -1, 0
	s_clause 0x4
	s_load_b128 s[16:19], s[0:1], 0x58
	s_load_b64 s[24:25], s[0:1], 0x68
	s_load_b96 s[20:22], s[0:1], 0x48
	s_load_b64 s[26:27], s[0:1], 0x38
	s_load_b32 s8, s[0:1], 0x0
	v_cvt_f32_u32_e32 v5, s14
	v_dual_lshlrev_b32 v34, 8, v10 :: v_dual_bitop2_b32 v4, 3, v0 bitop3:0x40
	v_xor_b32_e32 v11, 1, v1
	v_xor_b32_e32 v9, 2, v1
	s_delay_alu instid0(VALU_DEP_4) | instskip(SKIP_2) | instid1(VALU_DEP_3)
	v_rcp_iflag_f32_e32 v7, v5
	v_dual_mov_b32 v6, 0 :: v_dual_lshlrev_b32 v35, 3, v0
	v_lshlrev_b32_e32 v8, 2, v4
	v_cmp_gt_i32_e32 vcc_lo, 32, v9
	s_lshl_b64 s[6:7], s[4:5], 3
	s_delay_alu instid0(VALU_DEP_3)
	v_mov_b32_e32 v5, v6
	v_lshl_or_b32 v36, v1, 2, 12
	v_dual_cndmask_b32 v9, v1, v9, vcc_lo :: v_dual_bitop2_b32 v37, v34, v8 bitop3:0x54
	v_mul_f32_e32 v7, 0x4f7ffffe, v7
	v_cmp_gt_i32_e32 vcc_lo, 32, v11
	s_wait_kmcnt 0x0
	s_add_nc_u64 s[6:7], s[18:19], s[6:7]
	s_mov_b32 s23, 0
	v_lshlrev_b32_e32 v38, 2, v9
	v_cvt_u32_f32_e32 v7, v7
	s_cmp_lg_u32 s8, 0
	v_cndmask_b32_e32 v1, v1, v11, vcc_lo
	s_cselect_b32 s33, -1, 0
	s_sub_co_i32 s8, 0, s14
	s_load_b64 s[6:7], s[6:7], 0x0
	v_mul_lo_u32 v11, s8, v7
	s_mov_b32 s29, s23
	s_mov_b32 s28, s22
	v_mov_b64_e32 v[20:21], 0
	v_cmp_gt_u32_e64 s0, 0x80, v0
	v_cmp_gt_u32_e64 s1, 64, v0
	;; [unrolled: 1-line block ×5, first 2 shown]
	v_lshlrev_b32_e32 v39, 2, v1
	v_cmp_eq_u32_e64 s8, 0, v0
	v_mul_hi_u32 v16, v7, v11
	v_dual_mov_b32 v1, v6 :: v_dual_mov_b32 v9, v6
	v_dual_mov_b32 v11, v6 :: v_dual_bitop2_b32 v12, 16, v8 bitop3:0x54
	v_dual_mov_b32 v13, v6 :: v_dual_bitop2_b32 v14, 48, v8 bitop3:0x54
	v_dual_mov_b32 v15, v6 :: v_dual_mov_b32 v40, 1
	s_wait_kmcnt 0x0
	s_sub_nc_u64 s[18:19], s[6:7], s[28:29]
	v_cmp_gt_u32_e64 s6, 4, v0
	v_cmp_gt_u32_e64 s7, 2, v0
	v_dual_lshlrev_b32 v0, 2, v10 :: v_dual_bitop2_b32 v10, 32, v8 bitop3:0x54
	v_add_nc_u32_e32 v41, v7, v16
	s_mov_b32 s11, s23
	s_mov_b64 s[30:31], 0xffffffff
	s_lshl_b64 s[34:35], s[14:15], 2
	s_lshl_b64 s[36:37], s[14:15], 6
	s_ashr_i32 s38, s15, 31
	s_branch .LBB70_7
.LBB70_6:                               ;   in Loop: Header=BB70_7 Depth=1
	s_or_b32 exec_lo, exec_lo, s9
	s_wait_dscnt 0x0
	s_barrier_signal -1
	s_barrier_wait -1
	ds_load_b64 v[20:21], v6
	s_add_nc_u64 s[18:19], s[40:41], s[18:19]
	s_wait_dscnt 0x0
	s_barrier_signal -1
	s_barrier_wait -1
	v_cmp_gt_i64_e32 vcc_lo, s[12:13], v[20:21]
	s_cbranch_vccz .LBB70_59
.LBB70_7:                               ; =>This Loop Header: Depth=1
                                        ;     Child Loop BB70_10 Depth 2
                                        ;     Child Loop BB70_22 Depth 2
	v_add_nc_u64_e32 v[18:19], v[18:19], v[4:5]
	v_mov_b64_e32 v[16:17], s[12:13]
	v_mov_b64_e32 v[32:33], v[2:3]
	s_mov_b32 s42, exec_lo
	ds_store_b8 v6, v6 offset:16384
	ds_store_2addr_b32 v37, v6, v6 offset1:4
	ds_store_2addr_b32 v37, v6, v6 offset0:8 offset1:12
	ds_store_2addr_b32 v37, v6, v6 offset0:16 offset1:20
	;; [unrolled: 1-line block ×7, first 2 shown]
	s_wait_dscnt 0x0
	s_barrier_signal -1
	s_barrier_wait -1
	v_cmpx_lt_i64_e64 v[18:19], v[2:3]
	s_cbranch_execz .LBB70_19
; %bb.8:                                ;   in Loop: Header=BB70_7 Depth=1
	v_mul_u64_e32 v[22:23], s[14:15], v[20:21]
	v_mov_b64_e32 v[16:17], s[12:13]
	v_mov_b64_e32 v[28:29], v[2:3]
	v_lshl_add_u64 v[24:25], v[18:19], 2, s[26:27]
	v_lshl_add_u64 v[26:27], v[18:19], 3, s[20:21]
	s_mov_b32 s43, 0
	s_branch .LBB70_10
.LBB70_9:                               ;   in Loop: Header=BB70_10 Depth=2
	s_wait_xcnt 0x0
	s_or_b32 exec_lo, exec_lo, s9
	v_add_nc_u64_e32 v[18:19], 4, v[18:19]
	s_xor_b32 s22, vcc_lo, -1
	v_add_nc_u64_e32 v[24:25], 16, v[24:25]
	v_add_nc_u64_e32 v[26:27], 32, v[26:27]
	v_mov_b64_e32 v[28:29], v[32:33]
	s_delay_alu instid0(VALU_DEP_4) | instskip(SKIP_1) | instid1(SALU_CYCLE_1)
	v_cmp_ge_i64_e64 s9, v[18:19], v[2:3]
	s_or_b32 s9, s22, s9
	s_and_b32 s9, exec_lo, s9
	s_delay_alu instid0(SALU_CYCLE_1) | instskip(NEXT) | instid1(SALU_CYCLE_1)
	s_or_b32 s43, s9, s43
	s_and_not1_b32 exec_lo, exec_lo, s43
	s_cbranch_execz .LBB70_18
.LBB70_10:                              ;   Parent Loop BB70_7 Depth=1
                                        ; =>  This Inner Loop Header: Depth=2
	global_load_b64 v[30:31], v[26:27], off
                                        ; implicit-def: $vgpr32_vgpr33
	s_mov_b32 s9, exec_lo
	s_wait_loadcnt 0x0
	v_sub_nc_u64_e64 v[30:31], v[30:31], s[10:11]
	s_delay_alu instid0(VALU_DEP_1) | instskip(SKIP_1) | instid1(VALU_DEP_1)
	v_or_b32_e32 v7, s15, v31
	s_wait_xcnt 0x0
	v_cmpx_ne_u64_e32 0, v[6:7]
	s_xor_b32 s44, exec_lo, s9
	s_cbranch_execz .LBB70_12
; %bb.11:                               ;   in Loop: Header=BB70_10 Depth=2
	s_mov_b32 s39, s38
	v_dual_mov_b32 v45, v6 :: v_dual_ashrrev_i32 v32, 31, v31
	s_add_nc_u64 s[40:41], s[14:15], s[38:39]
	s_delay_alu instid0(SALU_CYCLE_1) | instskip(NEXT) | instid1(VALU_DEP_1)
	s_xor_b64 s[40:41], s[40:41], s[38:39]
	v_mov_b32_e32 v33, v32
	s_cvt_f32_u32 s9, s40
	s_cvt_f32_u32 s22, s41
	s_sub_nc_u64 s[48:49], 0, s[40:41]
	s_delay_alu instid0(VALU_DEP_1) | instskip(NEXT) | instid1(SALU_CYCLE_1)
	v_add_nc_u64_e32 v[42:43], v[30:31], v[32:33]
	s_fmamk_f32 s9, s22, 0x4f800000, s9
	v_mov_b32_e32 v49, v6
	s_delay_alu instid0(SALU_CYCLE_2) | instskip(NEXT) | instid1(VALU_DEP_2)
	v_s_rcp_f32 s9, s9
	v_xor_b32_e32 v44, v42, v32
	s_delay_alu instid0(VALU_DEP_3) | instskip(NEXT) | instid1(TRANS32_DEP_1)
	v_dual_mov_b32 v53, v6 :: v_dual_bitop2_b32 v48, v43, v32 bitop3:0x14
	s_mul_f32 s9, s9, 0x5f7ffffc
	s_delay_alu instid0(SALU_CYCLE_3) | instskip(NEXT) | instid1(SALU_CYCLE_3)
	s_mul_f32 s22, s9, 0x2f800000
	s_trunc_f32 s22, s22
	s_delay_alu instid0(SALU_CYCLE_3) | instskip(SKIP_1) | instid1(SALU_CYCLE_2)
	s_fmamk_f32 s9, s22, 0xcf800000, s9
	s_cvt_u32_f32 s47, s22
	s_cvt_u32_f32 s46, s9
	s_delay_alu instid0(SALU_CYCLE_3) | instskip(NEXT) | instid1(SALU_CYCLE_1)
	s_mul_u64 s[50:51], s[48:49], s[46:47]
	s_mul_hi_u32 s53, s46, s51
	s_mul_i32 s52, s46, s51
	s_mul_hi_u32 s22, s46, s50
	s_mul_i32 s39, s47, s50
	s_add_nc_u64 s[52:53], s[22:23], s[52:53]
	s_mul_hi_u32 s9, s47, s50
	s_mul_hi_u32 s45, s47, s51
	s_add_co_u32 s22, s52, s39
	s_add_co_ci_u32 s22, s53, s9
	s_mul_i32 s50, s47, s51
	s_add_co_ci_u32 s51, s45, 0
	s_delay_alu instid0(SALU_CYCLE_1) | instskip(NEXT) | instid1(SALU_CYCLE_1)
	s_add_nc_u64 s[50:51], s[22:23], s[50:51]
	s_add_co_u32 s46, s46, s50
	s_cselect_b32 s9, -1, 0
	s_delay_alu instid0(SALU_CYCLE_1) | instskip(SKIP_1) | instid1(SALU_CYCLE_1)
	s_cmp_lg_u32 s9, 0
	s_add_co_ci_u32 s47, s47, s51
	s_mul_u64 s[48:49], s[48:49], s[46:47]
	s_delay_alu instid0(SALU_CYCLE_1)
	s_mul_hi_u32 s51, s46, s49
	s_mul_i32 s50, s46, s49
	s_mul_hi_u32 s22, s46, s48
	s_mul_i32 s39, s47, s48
	s_add_nc_u64 s[50:51], s[22:23], s[50:51]
	s_mul_hi_u32 s9, s47, s48
	s_mul_hi_u32 s45, s47, s49
	s_add_co_u32 s22, s50, s39
	s_add_co_ci_u32 s22, s51, s9
	s_mul_i32 s48, s47, s49
	s_add_co_ci_u32 s49, s45, 0
	s_delay_alu instid0(SALU_CYCLE_1) | instskip(NEXT) | instid1(SALU_CYCLE_1)
	s_add_nc_u64 s[48:49], s[22:23], s[48:49]
	s_add_co_u32 s46, s46, s48
	s_cselect_b32 s9, -1, 0
	v_mul_hi_u32 v52, v44, s46
	s_cmp_lg_u32 s9, 0
	s_add_co_ci_u32 s22, s47, s49
	s_and_b64 s[48:49], s[46:47], s[30:31]
	v_mul_u64_e32 v[46:47], s[22:23], v[44:45]
	v_mul_u64_e32 v[42:43], s[48:49], v[48:49]
	v_mul_u64_e32 v[50:51], s[22:23], v[48:49]
	s_delay_alu instid0(VALU_DEP_3) | instskip(NEXT) | instid1(VALU_DEP_1)
	v_add_nc_u64_e32 v[46:47], v[52:53], v[46:47]
	v_add_co_u32 v7, vcc_lo, v46, v42
	s_delay_alu instid0(VALU_DEP_2) | instskip(NEXT) | instid1(VALU_DEP_4)
	v_add_co_ci_u32_e32 v52, vcc_lo, v47, v43, vcc_lo
	v_add_co_ci_u32_e32 v51, vcc_lo, 0, v51, vcc_lo
	s_delay_alu instid0(VALU_DEP_1) | instskip(NEXT) | instid1(VALU_DEP_1)
	v_add_nc_u64_e32 v[42:43], v[52:53], v[50:51]
	v_mul_u64_e32 v[46:47], s[40:41], v[42:43]
	s_delay_alu instid0(VALU_DEP_1) | instskip(NEXT) | instid1(VALU_DEP_2)
	v_sub_nc_u32_e32 v7, v48, v47
	v_sub_co_u32 v23, vcc_lo, v44, v46
	s_delay_alu instid0(VALU_DEP_1) | instskip(NEXT) | instid1(VALU_DEP_3)
	v_sub_co_ci_u32_e64 v33, null, v48, v47, vcc_lo
	v_subrev_co_ci_u32_e64 v7, null, s41, v7, vcc_lo
	s_delay_alu instid0(VALU_DEP_3) | instskip(SKIP_1) | instid1(VALU_DEP_3)
	v_sub_co_u32 v31, s9, v23, s40
	v_add_nc_u64_e32 v[46:47], 1, v[42:43]
	v_subrev_co_ci_u32_e64 v7, null, 0, v7, s9
	s_delay_alu instid0(VALU_DEP_3) | instskip(SKIP_1) | instid1(VALU_DEP_3)
	v_cmp_le_u32_e32 vcc_lo, s40, v31
	v_cndmask_b32_e64 v31, 0, -1, vcc_lo
	v_cmp_le_u32_e32 vcc_lo, s41, v7
	v_cndmask_b32_e64 v44, 0, -1, vcc_lo
	;; [unrolled: 2-line block ×4, first 2 shown]
	v_cmp_eq_u32_e32 vcc_lo, s41, v7
	v_cndmask_b32_e32 v7, v44, v31, vcc_lo
	v_cmp_eq_u32_e32 vcc_lo, s41, v33
	v_add_nc_u64_e32 v[44:45], 2, v[42:43]
	v_cndmask_b32_e32 v23, v48, v23, vcc_lo
	s_delay_alu instid0(VALU_DEP_4) | instskip(NEXT) | instid1(VALU_DEP_3)
	v_cmp_ne_u32_e32 vcc_lo, 0, v7
	v_cndmask_b32_e32 v7, v47, v45, vcc_lo
	s_delay_alu instid0(VALU_DEP_3) | instskip(SKIP_1) | instid1(VALU_DEP_2)
	v_cmp_ne_u32_e64 s9, 0, v23
	v_cndmask_b32_e32 v23, v46, v44, vcc_lo
	v_dual_cndmask_b32 v7, v43, v7, s9 :: v_dual_bitop2_b32 v32, s38, v32 bitop3:0x14
	s_delay_alu instid0(VALU_DEP_1) | instskip(NEXT) | instid1(VALU_DEP_2)
	v_dual_cndmask_b32 v23, v42, v23, s9 :: v_dual_mov_b32 v33, v32
	v_xor_b32_e32 v43, v7, v32
	s_delay_alu instid0(VALU_DEP_2) | instskip(NEXT) | instid1(VALU_DEP_1)
	v_xor_b32_e32 v42, v23, v32
	v_sub_nc_u64_e32 v[32:33], v[42:43], v[32:33]
.LBB70_12:                              ;   in Loop: Header=BB70_10 Depth=2
	s_and_not1_saveexec_b32 s9, s44
	s_cbranch_execz .LBB70_14
; %bb.13:                               ;   in Loop: Header=BB70_10 Depth=2
	v_mul_hi_u32 v7, v30, v41
	v_mov_b32_e32 v33, v6
	s_delay_alu instid0(VALU_DEP_2) | instskip(NEXT) | instid1(VALU_DEP_1)
	v_mul_lo_u32 v23, v7, s14
	v_sub_nc_u32_e32 v23, v30, v23
	s_delay_alu instid0(VALU_DEP_1) | instskip(SKIP_1) | instid1(VALU_DEP_2)
	v_subrev_nc_u32_e32 v32, s14, v23
	v_cmp_le_u32_e32 vcc_lo, s14, v23
	v_dual_add_nc_u32 v31, 1, v7 :: v_dual_cndmask_b32 v23, v23, v32, vcc_lo
	s_delay_alu instid0(VALU_DEP_1) | instskip(NEXT) | instid1(VALU_DEP_2)
	v_cndmask_b32_e32 v7, v7, v31, vcc_lo
	v_cmp_le_u32_e32 vcc_lo, s14, v23
	s_delay_alu instid0(VALU_DEP_2) | instskip(NEXT) | instid1(VALU_DEP_1)
	v_add_nc_u32_e32 v31, 1, v7
	v_cndmask_b32_e32 v32, v7, v31, vcc_lo
.LBB70_14:                              ;   in Loop: Header=BB70_10 Depth=2
	s_or_b32 exec_lo, exec_lo, s9
	s_delay_alu instid0(VALU_DEP_1) | instskip(SKIP_2) | instid1(SALU_CYCLE_1)
	v_cmp_ne_u64_e64 s9, v[32:33], v[20:21]
	v_cmp_eq_u64_e32 vcc_lo, v[32:33], v[20:21]
	s_and_saveexec_b32 s22, s9
	s_xor_b32 s9, exec_lo, s22
; %bb.15:                               ;   in Loop: Header=BB70_10 Depth=2
	v_min_i64 v[16:17], v[32:33], v[16:17]
                                        ; implicit-def: $vgpr30_vgpr31
                                        ; implicit-def: $vgpr28_vgpr29
; %bb.16:                               ;   in Loop: Header=BB70_10 Depth=2
	s_or_saveexec_b32 s9, s9
	v_mov_b64_e32 v[32:33], v[18:19]
	s_xor_b32 exec_lo, exec_lo, s9
	s_cbranch_execz .LBB70_9
; %bb.17:                               ;   in Loop: Header=BB70_10 Depth=2
	global_load_b32 v7, v[24:25], off
	v_sub_nc_u32_e32 v23, v30, v22
	v_mov_b64_e32 v[32:33], v[28:29]
	s_delay_alu instid0(VALU_DEP_2)
	v_lshl_add_u32 v23, v23, 2, v34
	ds_store_b8 v6, v40 offset:16384
	s_wait_loadcnt 0x0
	ds_store_b32 v23, v7
	s_branch .LBB70_9
.LBB70_18:                              ;   in Loop: Header=BB70_7 Depth=1
	s_or_b32 exec_lo, exec_lo, s43
.LBB70_19:                              ;   in Loop: Header=BB70_7 Depth=1
	s_delay_alu instid0(SALU_CYCLE_1)
	s_or_b32 exec_lo, exec_lo, s42
	ds_bpermute_b32 v18, v38, v32
	ds_bpermute_b32 v19, v38, v33
	s_wait_dscnt 0x0
	s_barrier_signal -1
	s_barrier_wait -1
	ds_load_u8 v7, v6 offset:16384
	s_mov_b64 s[40:41], 0
	v_min_i64 v[18:19], v[18:19], v[32:33]
	s_wait_dscnt 0x0
	v_and_b32_e32 v7, 1, v7
	s_delay_alu instid0(VALU_DEP_1)
	v_cmp_eq_u32_e32 vcc_lo, 0, v7
	s_and_b32 vcc_lo, exec_lo, vcc_lo
	ds_bpermute_b32 v22, v39, v18
	ds_bpermute_b32 v23, v39, v19
	s_wait_dscnt 0x0
	v_min_i64 v[18:19], v[22:23], v[18:19]
	ds_bpermute_b32 v18, v36, v18
	ds_bpermute_b32 v19, v36, v19
	s_cbranch_vccnz .LBB70_43
; %bb.20:                               ;   in Loop: Header=BB70_7 Depth=1
	s_mul_u64 s[40:41], s[34:35], s[18:19]
	v_add_nc_u64_e32 v[20:21], s[28:29], v[20:21]
	v_add_nc_u64_e32 v[32:33], s[40:41], v[10:11]
	;; [unrolled: 1-line block ×6, first 2 shown]
	s_lshl_b64 s[40:41], s[18:19], 3
	s_delay_alu instid0(SALU_CYCLE_1)
	s_add_nc_u64 s[42:43], s[24:25], s[40:41]
	v_mad_nc_u64_u32 v[22:23], s14, v32, v[0:1]
	v_mad_nc_u64_u32 v[24:25], s14, v42, v[0:1]
	;; [unrolled: 1-line block ×5, first 2 shown]
	s_mov_b64 s[40:41], 0
	global_store_b64 v6, v[20:21], s[42:43]
	v_mad_u32 v7, s15, v32, v23
	v_mad_u32 v25, s15, v42, v25
	;; [unrolled: 1-line block ×10, first 2 shown]
	v_mov_b32_e32 v7, v37
	s_branch .LBB70_22
.LBB70_21:                              ;   in Loop: Header=BB70_22 Depth=2
	s_wait_xcnt 0x0
	s_or_b32 exec_lo, exec_lo, s9
	v_add_nc_u64_e32 v[22:23], s[36:37], v[22:23]
	v_add_nc_u64_e32 v[24:25], s[36:37], v[24:25]
	;; [unrolled: 1-line block ×5, first 2 shown]
	s_add_nc_u64 s[40:41], s[40:41], 16
	v_add_nc_u32_e32 v7, 64, v7
	s_add_co_i32 s9, s40, -4
	s_delay_alu instid0(SALU_CYCLE_1)
	s_cmp_lt_u32 s9, 60
	s_cbranch_scc0 .LBB70_42
.LBB70_22:                              ;   Parent Loop BB70_7 Depth=1
                                        ; =>  This Inner Loop Header: Depth=2
	s_wait_xcnt 0x0
	s_wait_dscnt 0x0
	v_add_nc_u64_e32 v[20:21], s[40:41], v[4:5]
	s_delay_alu instid0(VALU_DEP_1) | instskip(SKIP_1) | instid1(SALU_CYCLE_1)
	v_cmp_gt_i64_e32 vcc_lo, s[14:15], v[20:21]
	s_and_b32 s22, s2, vcc_lo
	s_and_saveexec_b32 s9, s22
	s_cbranch_execz .LBB70_26
; %bb.23:                               ;   in Loop: Header=BB70_22 Depth=2
	ds_load_b32 v32, v7
	s_and_b32 vcc_lo, exec_lo, s33
	s_cbranch_vccz .LBB70_37
; %bb.24:                               ;   in Loop: Header=BB70_22 Depth=2
	v_add_nc_u64_e32 v[42:43], s[16:17], v[26:27]
	s_wait_dscnt 0x0
	global_store_b32 v[42:43], v32, off
	s_cbranch_execnz .LBB70_26
.LBB70_25:                              ;   in Loop: Header=BB70_22 Depth=2
	s_wait_xcnt 0x0
	v_add_nc_u64_e32 v[42:43], s[16:17], v[28:29]
	s_wait_dscnt 0x0
	global_store_b32 v[42:43], v32, off
.LBB70_26:                              ;   in Loop: Header=BB70_22 Depth=2
	s_wait_xcnt 0x0
	s_or_b32 exec_lo, exec_lo, s9
	s_wait_dscnt 0x0
	v_add_nc_u64_e32 v[32:33], 4, v[20:21]
	s_delay_alu instid0(VALU_DEP_1) | instskip(SKIP_1) | instid1(SALU_CYCLE_1)
	v_cmp_gt_i64_e32 vcc_lo, s[14:15], v[32:33]
	s_and_b32 s22, s2, vcc_lo
	s_and_saveexec_b32 s9, s22
	s_cbranch_execz .LBB70_30
; %bb.27:                               ;   in Loop: Header=BB70_22 Depth=2
	ds_load_b32 v32, v7 offset:16
	s_and_not1_b32 vcc_lo, exec_lo, s33
	s_cbranch_vccnz .LBB70_38
; %bb.28:                               ;   in Loop: Header=BB70_22 Depth=2
	v_add_nc_u64_e32 v[42:43], s[16:17], v[24:25]
	s_wait_dscnt 0x0
	global_store_b32 v[42:43], v32, off
	s_cbranch_execnz .LBB70_30
.LBB70_29:                              ;   in Loop: Header=BB70_22 Depth=2
	s_wait_xcnt 0x0
	v_add_nc_u64_e32 v[42:43], s[16:17], v[28:29]
	s_wait_dscnt 0x0
	global_store_b32 v[42:43], v32, off offset:16
.LBB70_30:                              ;   in Loop: Header=BB70_22 Depth=2
	s_wait_xcnt 0x0
	s_or_b32 exec_lo, exec_lo, s9
	s_wait_dscnt 0x0
	v_add_nc_u64_e32 v[32:33], 8, v[20:21]
	s_delay_alu instid0(VALU_DEP_1) | instskip(SKIP_1) | instid1(SALU_CYCLE_1)
	v_cmp_gt_i64_e32 vcc_lo, s[14:15], v[32:33]
	s_and_b32 s22, s2, vcc_lo
	s_and_saveexec_b32 s9, s22
	s_cbranch_execz .LBB70_34
; %bb.31:                               ;   in Loop: Header=BB70_22 Depth=2
	ds_load_b32 v32, v7 offset:32
	s_and_not1_b32 vcc_lo, exec_lo, s33
	s_cbranch_vccnz .LBB70_39
; %bb.32:                               ;   in Loop: Header=BB70_22 Depth=2
	v_add_nc_u64_e32 v[42:43], s[16:17], v[22:23]
	s_wait_dscnt 0x0
	global_store_b32 v[42:43], v32, off
	s_cbranch_execnz .LBB70_34
.LBB70_33:                              ;   in Loop: Header=BB70_22 Depth=2
	s_wait_xcnt 0x0
	v_add_nc_u64_e32 v[42:43], s[16:17], v[28:29]
	s_wait_dscnt 0x0
	global_store_b32 v[42:43], v32, off offset:32
.LBB70_34:                              ;   in Loop: Header=BB70_22 Depth=2
	s_wait_xcnt 0x0
	s_or_b32 exec_lo, exec_lo, s9
	v_add_nc_u64_e32 v[20:21], 12, v[20:21]
	s_delay_alu instid0(VALU_DEP_1) | instskip(SKIP_1) | instid1(SALU_CYCLE_1)
	v_cmp_gt_i64_e32 vcc_lo, s[14:15], v[20:21]
	s_and_b32 s22, s2, vcc_lo
	s_and_saveexec_b32 s9, s22
	s_cbranch_execz .LBB70_21
; %bb.35:                               ;   in Loop: Header=BB70_22 Depth=2
	ds_load_b32 v20, v7 offset:48
	s_and_not1_b32 vcc_lo, exec_lo, s33
	s_cbranch_vccnz .LBB70_40
; %bb.36:                               ;   in Loop: Header=BB70_22 Depth=2
	s_wait_dscnt 0x1
	v_add_nc_u64_e32 v[32:33], s[16:17], v[30:31]
	s_wait_dscnt 0x0
	global_store_b32 v[32:33], v20, off
	s_cbranch_execnz .LBB70_21
	s_branch .LBB70_41
.LBB70_37:                              ;   in Loop: Header=BB70_22 Depth=2
	s_branch .LBB70_25
.LBB70_38:                              ;   in Loop: Header=BB70_22 Depth=2
	s_branch .LBB70_29
.LBB70_39:                              ;   in Loop: Header=BB70_22 Depth=2
	s_branch .LBB70_33
.LBB70_40:                              ;   in Loop: Header=BB70_22 Depth=2
.LBB70_41:                              ;   in Loop: Header=BB70_22 Depth=2
	s_wait_dscnt 0x1
	s_wait_xcnt 0x0
	v_add_nc_u64_e32 v[32:33], s[16:17], v[28:29]
	s_wait_dscnt 0x0
	global_store_b32 v[32:33], v20, off offset:48
	s_branch .LBB70_21
.LBB70_42:                              ;   in Loop: Header=BB70_7 Depth=1
	s_mov_b64 s[40:41], 1
.LBB70_43:                              ;   in Loop: Header=BB70_7 Depth=1
	s_wait_storecnt_dscnt 0x0
	s_barrier_signal -1
	s_barrier_wait -1
	ds_store_b64 v35, v[16:17]
	s_wait_dscnt 0x0
	s_barrier_signal -1
	s_barrier_wait -1
	s_and_saveexec_b32 s9, s0
	s_cbranch_execz .LBB70_45
; %bb.44:                               ;   in Loop: Header=BB70_7 Depth=1
	ds_load_2addr_stride64_b64 v[20:23], v35 offset1:2
	s_wait_dscnt 0x0
	v_min_i64 v[16:17], v[22:23], v[20:21]
	ds_store_b64 v35, v[16:17]
.LBB70_45:                              ;   in Loop: Header=BB70_7 Depth=1
	s_or_b32 exec_lo, exec_lo, s9
	s_wait_dscnt 0x0
	s_barrier_signal -1
	s_barrier_wait -1
	s_and_saveexec_b32 s9, s1
	s_cbranch_execz .LBB70_47
; %bb.46:                               ;   in Loop: Header=BB70_7 Depth=1
	ds_load_2addr_stride64_b64 v[20:23], v35 offset1:1
	s_wait_dscnt 0x0
	v_min_i64 v[16:17], v[22:23], v[20:21]
	ds_store_b64 v35, v[16:17]
.LBB70_47:                              ;   in Loop: Header=BB70_7 Depth=1
	s_or_b32 exec_lo, exec_lo, s9
	s_wait_dscnt 0x0
	s_barrier_signal -1
	s_barrier_wait -1
	s_and_saveexec_b32 s9, s3
	s_cbranch_execz .LBB70_49
; %bb.48:                               ;   in Loop: Header=BB70_7 Depth=1
	ds_load_2addr_b64 v[20:23], v35 offset1:32
	s_wait_dscnt 0x0
	v_min_i64 v[16:17], v[22:23], v[20:21]
	ds_store_b64 v35, v[16:17]
.LBB70_49:                              ;   in Loop: Header=BB70_7 Depth=1
	s_or_b32 exec_lo, exec_lo, s9
	s_wait_dscnt 0x0
	s_barrier_signal -1
	s_barrier_wait -1
	s_and_saveexec_b32 s9, s4
	s_cbranch_execz .LBB70_51
; %bb.50:                               ;   in Loop: Header=BB70_7 Depth=1
	ds_load_2addr_b64 v[20:23], v35 offset1:16
	s_wait_dscnt 0x0
	v_min_i64 v[16:17], v[22:23], v[20:21]
	ds_store_b64 v35, v[16:17]
.LBB70_51:                              ;   in Loop: Header=BB70_7 Depth=1
	;; [unrolled: 12-line block ×5, first 2 shown]
	s_or_b32 exec_lo, exec_lo, s9
	s_wait_dscnt 0x0
	s_barrier_signal -1
	s_barrier_wait -1
	s_and_saveexec_b32 s9, s8
	s_cbranch_execz .LBB70_6
; %bb.58:                               ;   in Loop: Header=BB70_7 Depth=1
	ds_load_b128 v[20:23], v6
	s_wait_dscnt 0x0
	v_min_i64 v[16:17], v[22:23], v[20:21]
	ds_store_b64 v6, v[16:17]
	s_branch .LBB70_6
.LBB70_59:
	s_endpgm
	.section	.rodata,"a",@progbits
	.p2align	6, 0x0
	.amdhsa_kernel _ZN9rocsparseL38csr2bsr_block_per_row_multipass_kernelILj256ELj64EfllEEv20rocsparse_direction_T3_S2_S2_S2_S2_21rocsparse_index_base_PKT1_PKT2_PKS2_S3_PS4_PS7_PS2_
		.amdhsa_group_segment_fixed_size 16388
		.amdhsa_private_segment_fixed_size 0
		.amdhsa_kernarg_size 112
		.amdhsa_user_sgpr_count 2
		.amdhsa_user_sgpr_dispatch_ptr 0
		.amdhsa_user_sgpr_queue_ptr 0
		.amdhsa_user_sgpr_kernarg_segment_ptr 1
		.amdhsa_user_sgpr_dispatch_id 0
		.amdhsa_user_sgpr_kernarg_preload_length 0
		.amdhsa_user_sgpr_kernarg_preload_offset 0
		.amdhsa_user_sgpr_private_segment_size 0
		.amdhsa_wavefront_size32 1
		.amdhsa_uses_dynamic_stack 0
		.amdhsa_enable_private_segment 0
		.amdhsa_system_sgpr_workgroup_id_x 1
		.amdhsa_system_sgpr_workgroup_id_y 0
		.amdhsa_system_sgpr_workgroup_id_z 0
		.amdhsa_system_sgpr_workgroup_info 0
		.amdhsa_system_vgpr_workitem_id 0
		.amdhsa_next_free_vgpr 54
		.amdhsa_next_free_sgpr 54
		.amdhsa_named_barrier_count 0
		.amdhsa_reserve_vcc 1
		.amdhsa_float_round_mode_32 0
		.amdhsa_float_round_mode_16_64 0
		.amdhsa_float_denorm_mode_32 3
		.amdhsa_float_denorm_mode_16_64 3
		.amdhsa_fp16_overflow 0
		.amdhsa_memory_ordered 1
		.amdhsa_forward_progress 1
		.amdhsa_inst_pref_size 24
		.amdhsa_round_robin_scheduling 0
		.amdhsa_exception_fp_ieee_invalid_op 0
		.amdhsa_exception_fp_denorm_src 0
		.amdhsa_exception_fp_ieee_div_zero 0
		.amdhsa_exception_fp_ieee_overflow 0
		.amdhsa_exception_fp_ieee_underflow 0
		.amdhsa_exception_fp_ieee_inexact 0
		.amdhsa_exception_int_div_zero 0
	.end_amdhsa_kernel
	.section	.text._ZN9rocsparseL38csr2bsr_block_per_row_multipass_kernelILj256ELj64EfllEEv20rocsparse_direction_T3_S2_S2_S2_S2_21rocsparse_index_base_PKT1_PKT2_PKS2_S3_PS4_PS7_PS2_,"axG",@progbits,_ZN9rocsparseL38csr2bsr_block_per_row_multipass_kernelILj256ELj64EfllEEv20rocsparse_direction_T3_S2_S2_S2_S2_21rocsparse_index_base_PKT1_PKT2_PKS2_S3_PS4_PS7_PS2_,comdat
.Lfunc_end70:
	.size	_ZN9rocsparseL38csr2bsr_block_per_row_multipass_kernelILj256ELj64EfllEEv20rocsparse_direction_T3_S2_S2_S2_S2_21rocsparse_index_base_PKT1_PKT2_PKS2_S3_PS4_PS7_PS2_, .Lfunc_end70-_ZN9rocsparseL38csr2bsr_block_per_row_multipass_kernelILj256ELj64EfllEEv20rocsparse_direction_T3_S2_S2_S2_S2_21rocsparse_index_base_PKT1_PKT2_PKS2_S3_PS4_PS7_PS2_
                                        ; -- End function
	.set _ZN9rocsparseL38csr2bsr_block_per_row_multipass_kernelILj256ELj64EfllEEv20rocsparse_direction_T3_S2_S2_S2_S2_21rocsparse_index_base_PKT1_PKT2_PKS2_S3_PS4_PS7_PS2_.num_vgpr, 54
	.set _ZN9rocsparseL38csr2bsr_block_per_row_multipass_kernelILj256ELj64EfllEEv20rocsparse_direction_T3_S2_S2_S2_S2_21rocsparse_index_base_PKT1_PKT2_PKS2_S3_PS4_PS7_PS2_.num_agpr, 0
	.set _ZN9rocsparseL38csr2bsr_block_per_row_multipass_kernelILj256ELj64EfllEEv20rocsparse_direction_T3_S2_S2_S2_S2_21rocsparse_index_base_PKT1_PKT2_PKS2_S3_PS4_PS7_PS2_.numbered_sgpr, 54
	.set _ZN9rocsparseL38csr2bsr_block_per_row_multipass_kernelILj256ELj64EfllEEv20rocsparse_direction_T3_S2_S2_S2_S2_21rocsparse_index_base_PKT1_PKT2_PKS2_S3_PS4_PS7_PS2_.num_named_barrier, 0
	.set _ZN9rocsparseL38csr2bsr_block_per_row_multipass_kernelILj256ELj64EfllEEv20rocsparse_direction_T3_S2_S2_S2_S2_21rocsparse_index_base_PKT1_PKT2_PKS2_S3_PS4_PS7_PS2_.private_seg_size, 0
	.set _ZN9rocsparseL38csr2bsr_block_per_row_multipass_kernelILj256ELj64EfllEEv20rocsparse_direction_T3_S2_S2_S2_S2_21rocsparse_index_base_PKT1_PKT2_PKS2_S3_PS4_PS7_PS2_.uses_vcc, 1
	.set _ZN9rocsparseL38csr2bsr_block_per_row_multipass_kernelILj256ELj64EfllEEv20rocsparse_direction_T3_S2_S2_S2_S2_21rocsparse_index_base_PKT1_PKT2_PKS2_S3_PS4_PS7_PS2_.uses_flat_scratch, 0
	.set _ZN9rocsparseL38csr2bsr_block_per_row_multipass_kernelILj256ELj64EfllEEv20rocsparse_direction_T3_S2_S2_S2_S2_21rocsparse_index_base_PKT1_PKT2_PKS2_S3_PS4_PS7_PS2_.has_dyn_sized_stack, 0
	.set _ZN9rocsparseL38csr2bsr_block_per_row_multipass_kernelILj256ELj64EfllEEv20rocsparse_direction_T3_S2_S2_S2_S2_21rocsparse_index_base_PKT1_PKT2_PKS2_S3_PS4_PS7_PS2_.has_recursion, 0
	.set _ZN9rocsparseL38csr2bsr_block_per_row_multipass_kernelILj256ELj64EfllEEv20rocsparse_direction_T3_S2_S2_S2_S2_21rocsparse_index_base_PKT1_PKT2_PKS2_S3_PS4_PS7_PS2_.has_indirect_call, 0
	.section	.AMDGPU.csdata,"",@progbits
; Kernel info:
; codeLenInByte = 2968
; TotalNumSgprs: 56
; NumVgprs: 54
; ScratchSize: 0
; MemoryBound: 0
; FloatMode: 240
; IeeeMode: 1
; LDSByteSize: 16388 bytes/workgroup (compile time only)
; SGPRBlocks: 0
; VGPRBlocks: 3
; NumSGPRsForWavesPerEU: 56
; NumVGPRsForWavesPerEU: 54
; NamedBarCnt: 0
; Occupancy: 16
; WaveLimiterHint : 1
; COMPUTE_PGM_RSRC2:SCRATCH_EN: 0
; COMPUTE_PGM_RSRC2:USER_SGPR: 2
; COMPUTE_PGM_RSRC2:TRAP_HANDLER: 0
; COMPUTE_PGM_RSRC2:TGID_X_EN: 1
; COMPUTE_PGM_RSRC2:TGID_Y_EN: 0
; COMPUTE_PGM_RSRC2:TGID_Z_EN: 0
; COMPUTE_PGM_RSRC2:TIDIG_COMP_CNT: 0
	.section	.text._ZN9rocsparseL21csr2bsr_65_inf_kernelILj32EfllEEv20rocsparse_direction_T2_S2_S2_S2_S2_S2_21rocsparse_index_base_PKT0_PKT1_PKS2_S3_PS4_PS7_PS2_SD_SE_SC_,"axG",@progbits,_ZN9rocsparseL21csr2bsr_65_inf_kernelILj32EfllEEv20rocsparse_direction_T2_S2_S2_S2_S2_S2_21rocsparse_index_base_PKT0_PKT1_PKS2_S3_PS4_PS7_PS2_SD_SE_SC_,comdat
	.globl	_ZN9rocsparseL21csr2bsr_65_inf_kernelILj32EfllEEv20rocsparse_direction_T2_S2_S2_S2_S2_S2_21rocsparse_index_base_PKT0_PKT1_PKS2_S3_PS4_PS7_PS2_SD_SE_SC_ ; -- Begin function _ZN9rocsparseL21csr2bsr_65_inf_kernelILj32EfllEEv20rocsparse_direction_T2_S2_S2_S2_S2_S2_21rocsparse_index_base_PKT0_PKT1_PKS2_S3_PS4_PS7_PS2_SD_SE_SC_
	.p2align	8
	.type	_ZN9rocsparseL21csr2bsr_65_inf_kernelILj32EfllEEv20rocsparse_direction_T2_S2_S2_S2_S2_S2_21rocsparse_index_base_PKT0_PKT1_PKS2_S3_PS4_PS7_PS2_SD_SE_SC_,@function
_ZN9rocsparseL21csr2bsr_65_inf_kernelILj32EfllEEv20rocsparse_direction_T2_S2_S2_S2_S2_S2_21rocsparse_index_base_PKT0_PKT1_PKS2_S3_PS4_PS7_PS2_SD_SE_SC_: ; @_ZN9rocsparseL21csr2bsr_65_inf_kernelILj32EfllEEv20rocsparse_direction_T2_S2_S2_S2_S2_S2_21rocsparse_index_base_PKT0_PKT1_PKS2_S3_PS4_PS7_PS2_SD_SE_SC_
; %bb.0:
	s_clause 0x1
	s_load_b64 s[8:9], s[0:1], 0x18
	s_load_b128 s[4:7], s[0:1], 0x8
	s_bfe_u32 s10, ttmp6, 0x4000c
	s_clause 0x1
	s_load_b64 s[2:3], s[0:1], 0x78
	s_load_b32 s12, s[0:1], 0x58
	s_add_co_i32 s10, s10, 1
	s_and_b32 s11, ttmp6, 15
	s_mul_i32 s10, ttmp9, s10
	s_getreg_b32 s13, hwreg(HW_REG_IB_STS2, 6, 4)
	s_add_co_i32 s11, s11, s10
	s_cmp_eq_u32 s13, 0
	s_mov_b32 s21, 0
	s_cselect_b32 s20, ttmp9, s11
	s_mov_b64 s[22:23], 0
	s_wait_kmcnt 0x0
	v_cmp_le_i64_e64 s8, s[8:9], s[20:21]
	s_and_b32 vcc_lo, exec_lo, s8
	s_cbranch_vccnz .LBB71_2
; %bb.1:
	s_load_b64 s[8:9], s[0:1], 0x68
	s_lshl_b64 s[10:11], s[20:21], 3
	s_mov_b32 s13, s21
	s_wait_kmcnt 0x0
	s_add_nc_u64 s[8:9], s[8:9], s[10:11]
	s_load_b64 s[8:9], s[8:9], 0x0
	s_wait_kmcnt 0x0
	s_sub_nc_u64 s[22:23], s[8:9], s[12:13]
.LBB71_2:
	s_clause 0x1
	s_load_b128 s[8:11], s[0:1], 0x28
	s_load_b32 s14, s[0:1], 0x38
	v_mov_b32_e32 v1, 0
	s_wait_kmcnt 0x0
	s_delay_alu instid0(VALU_DEP_1)
	v_mul_u64_e32 v[8:9], s[10:11], v[0:1]
	s_mul_u64 s[16:17], s[20:21], s[10:11]
	s_lshl_b64 s[18:19], s[10:11], 8
	s_lshl_b64 s[16:17], s[16:17], 9
	v_cmp_lt_i64_e64 s13, s[10:11], 1
	s_add_nc_u64 s[2:3], s[2:3], s[16:17]
	v_cmp_gt_i64_e64 s33, s[10:11], 0
	s_add_nc_u64 s[16:17], s[2:3], s[18:19]
	s_and_b32 vcc_lo, exec_lo, s13
	v_lshlrev_b64_e32 v[4:5], 3, v[8:9]
	s_delay_alu instid0(VALU_DEP_1)
	v_add_nc_u64_e32 v[2:3], s[2:3], v[4:5]
	v_add_nc_u64_e32 v[4:5], s[16:17], v[4:5]
	s_cbranch_vccnz .LBB71_7
; %bb.3:
	s_load_b64 s[2:3], s[0:1], 0x48
	s_mul_u64 s[16:17], s[8:9], s[20:21]
	s_delay_alu instid0(VALU_DEP_1)
	v_mov_b64_e32 v[12:13], v[4:5]
	v_add_nc_u64_e32 v[6:7], s[16:17], v[0:1]
	v_mov_b64_e32 v[14:15], v[0:1]
	v_mov_b64_e32 v[16:17], v[2:3]
	s_mov_b32 s15, 0
	s_mov_b64 s[18:19], s[10:11]
	s_wait_kmcnt 0x0
	s_delay_alu instid0(VALU_DEP_3) | instskip(SKIP_1) | instid1(VALU_DEP_2)
	v_lshl_add_u64 v[10:11], v[6:7], 3, s[2:3]
	v_mov_b64_e32 v[6:7], 0
	v_add_nc_u64_e32 v[10:11], 8, v[10:11]
	s_branch .LBB71_5
.LBB71_4:                               ;   in Loop: Header=BB71_5 Depth=1
	s_wait_xcnt 0x0
	s_or_b32 exec_lo, exec_lo, s2
	v_add_nc_u64_e32 v[16:17], 8, v[16:17]
	v_add_nc_u64_e32 v[10:11], 0x100, v[10:11]
	;; [unrolled: 1-line block ×4, first 2 shown]
	s_add_nc_u64 s[18:19], s[18:19], -1
	s_delay_alu instid0(SALU_CYCLE_1)
	s_cmp_eq_u64 s[18:19], 0
	s_cbranch_scc1 .LBB71_7
.LBB71_5:                               ; =>This Inner Loop Header: Depth=1
	s_delay_alu instid0(VALU_DEP_2)
	v_add_nc_u64_e32 v[18:19], s[16:17], v[14:15]
	v_cmp_gt_i64_e64 s2, s[8:9], v[14:15]
	global_store_b64 v[16:17], v[6:7], off
	global_store_b64 v[12:13], v[6:7], off
	v_cmp_gt_i64_e32 vcc_lo, s[4:5], v[18:19]
	s_and_b32 s3, vcc_lo, s2
	s_wait_xcnt 0x0
	s_and_saveexec_b32 s2, s3
	s_cbranch_execz .LBB71_4
; %bb.6:                                ;   in Loop: Header=BB71_5 Depth=1
	global_load_b128 v[18:21], v[10:11], off offset:-8
	s_wait_loadcnt 0x0
	v_sub_nc_u64_e64 v[18:19], v[18:19], s[14:15]
	v_sub_nc_u64_e64 v[20:21], v[20:21], s[14:15]
	global_store_b64 v[16:17], v[18:19], off
	global_store_b64 v[12:13], v[20:21], off
	s_branch .LBB71_4
.LBB71_7:
	v_cmp_lt_i64_e64 s2, s[6:7], 1
	s_and_b32 vcc_lo, exec_lo, s2
	s_cbranch_vccnz .LBB71_52
; %bb.8:
	v_mbcnt_lo_u32_b32 v10, -1, 0
	s_clause 0x5
	s_load_b128 s[24:27], s[0:1], 0x80
	s_load_b64 s[28:29], s[0:1], 0x70
	s_load_b64 s[2:3], s[0:1], 0x60
	;; [unrolled: 1-line block ×4, first 2 shown]
	s_load_b32 s18, s[0:1], 0x0
	s_lshl_b64 s[30:31], s[10:11], 5
	v_mov_b64_e32 v[18:19], 0
	v_xor_b32_e32 v15, 1, v10
	v_xor_b32_e32 v13, 2, v10
	;; [unrolled: 1-line block ×5, first 2 shown]
	s_wait_xcnt 0x0
	s_mul_u64 s[0:1], s[30:31], s[20:21]
	v_mov_b64_e32 v[16:17], 0
	s_lshl_b64 s[20:21], s[0:1], 3
	s_lshl_b64 s[0:1], s[0:1], 2
	v_cmp_gt_i32_e32 vcc_lo, 32, v6
	v_mov_b32_e32 v43, 0x7c
	s_mov_b32 s19, 0
	s_mov_b32 s40, 0
	;; [unrolled: 1-line block ×3, first 2 shown]
	v_cndmask_b32_e32 v14, v10, v6, vcc_lo
	v_cmp_gt_i32_e32 vcc_lo, 32, v11
	s_wait_kmcnt 0x0
	s_add_nc_u64 s[20:21], s[24:25], s[20:21]
	s_add_nc_u64 s[0:1], s[26:27], s[0:1]
	v_lshl_add_u64 v[6:7], v[8:9], 3, s[20:21]
	v_lshl_add_u64 v[8:9], v[8:9], 2, s[0:1]
	v_cndmask_b32_e32 v11, v10, v11, vcc_lo
	v_cmp_gt_i32_e32 vcc_lo, 32, v12
	v_cmp_eq_u32_e64 s0, 31, v0
	s_lshl_b64 s[20:21], s[22:23], 3
	s_cmp_lg_u32 s18, 0
	v_dual_cndmask_b32 v12, v10, v12 :: v_dual_lshlrev_b32 v39, 2, v11
	v_cmp_gt_i32_e32 vcc_lo, 32, v13
	s_mov_b32 s13, s19
	s_add_nc_u64 s[20:21], s[28:29], s[20:21]
	s_cselect_b32 s38, -1, 0
	v_dual_cndmask_b32 v13, v10, v13 :: v_dual_lshlrev_b32 v40, 2, v12
	v_cmp_gt_i32_e32 vcc_lo, 32, v15
	v_lshlrev_b32_e32 v38, 2, v14
	s_add_nc_u64 s[22:23], s[22:23], -1
	s_lshl_b64 s[24:25], s[8:9], 2
	v_dual_cndmask_b32 v10, v10, v15 :: v_dual_lshlrev_b32 v41, 2, v13
	v_mov_b64_e32 v[14:15], 0
	s_mov_b64 s[26:27], 0xffffffff
	s_lshl_b64 s[28:29], s[8:9], 7
	s_ashr_i32 s30, s9, 31
	v_dual_lshlrev_b32 v42, 2, v10 :: v_dual_mov_b32 v10, 0
	v_lshlrev_b32_e32 v12, 2, v0
	s_sub_co_i32 s39, 0, s8
	s_delay_alu instid0(VALU_DEP_2) | instskip(NEXT) | instid1(VALU_DEP_1)
	v_mov_b32_e32 v13, v10
	v_add_nc_u64_e32 v[12:13], s[2:3], v[12:13]
	s_branch .LBB71_10
.LBB71_9:                               ;   in Loop: Header=BB71_10 Depth=1
	s_wait_dscnt 0x2
	v_add_nc_u64_e32 v[18:19], 1, v[18:19]
	s_delay_alu instid0(VALU_DEP_1) | instskip(SKIP_1) | instid1(SALU_CYCLE_1)
	v_cmp_le_i64_e32 vcc_lo, s[6:7], v[18:19]
	s_or_b32 s40, vcc_lo, s40
	s_and_not1_b32 exec_lo, exec_lo, s40
	s_cbranch_execz .LBB71_52
.LBB71_10:                              ; =>This Loop Header: Depth=1
                                        ;     Child Loop BB71_14 Depth 2
                                        ;       Child Loop BB71_17 Depth 3
                                        ;     Child Loop BB71_33 Depth 2
	v_mov_b64_e32 v[20:21], s[6:7]
	s_and_not1_b32 vcc_lo, exec_lo, s33
	s_cbranch_vccnz .LBB71_23
; %bb.11:                               ;   in Loop: Header=BB71_10 Depth=1
	v_mov_b64_e32 v[20:21], s[6:7]
	s_mov_b64 s[34:35], 0
	s_branch .LBB71_14
.LBB71_12:                              ;   in Loop: Header=BB71_14 Depth=2
	s_wait_xcnt 0x0
	s_or_b32 exec_lo, exec_lo, s18
.LBB71_13:                              ;   in Loop: Header=BB71_14 Depth=2
	s_delay_alu instid0(SALU_CYCLE_1) | instskip(SKIP_1) | instid1(SALU_CYCLE_1)
	s_or_b32 exec_lo, exec_lo, s1
	s_add_nc_u64 s[34:35], s[34:35], 1
	s_cmp_eq_u64 s[34:35], s[10:11]
	s_cbranch_scc1 .LBB71_23
.LBB71_14:                              ;   Parent Loop BB71_10 Depth=1
                                        ; =>  This Loop Header: Depth=2
                                        ;       Child Loop BB71_17 Depth 3
	s_lshl_b64 s[36:37], s[34:35], 3
	v_mov_b64_e32 v[28:29], s[6:7]
	v_add_nc_u64_e32 v[22:23], s[36:37], v[2:3]
	v_add_nc_u64_e32 v[24:25], s[36:37], v[4:5]
	;; [unrolled: 1-line block ×3, first 2 shown]
	s_mov_b32 s1, exec_lo
	s_clause 0x1
	global_load_b64 v[34:35], v[22:23], off
	global_load_b64 v[32:33], v[24:25], off
	s_wait_xcnt 0x0
	v_lshl_add_u64 v[24:25], s[34:35], 2, v[8:9]
	global_store_b32 v[24:25], v10, off
	global_store_b64 v[26:27], v[28:29], off
	s_wait_loadcnt 0x0
	s_wait_xcnt 0x0
	v_cmpx_lt_i64_e64 v[34:35], v[32:33]
	s_cbranch_execz .LBB71_13
; %bb.15:                               ;   in Loop: Header=BB71_14 Depth=2
	v_lshl_add_u64 v[36:37], v[34:35], 3, s[4:5]
	s_mov_b32 s18, 0
                                        ; implicit-def: $sgpr31
                                        ; implicit-def: $sgpr37
                                        ; implicit-def: $sgpr36
	s_branch .LBB71_17
.LBB71_16:                              ;   in Loop: Header=BB71_17 Depth=3
	s_or_b32 exec_lo, exec_lo, s41
	s_delay_alu instid0(SALU_CYCLE_1) | instskip(NEXT) | instid1(SALU_CYCLE_1)
	s_and_b32 s41, exec_lo, s37
	s_or_b32 s18, s41, s18
	s_and_not1_b32 s31, s31, exec_lo
	s_and_b32 s41, s36, exec_lo
	s_delay_alu instid0(SALU_CYCLE_1)
	s_or_b32 s31, s31, s41
	s_and_not1_b32 exec_lo, exec_lo, s18
	s_cbranch_execz .LBB71_19
.LBB71_17:                              ;   Parent Loop BB71_10 Depth=1
                                        ;     Parent Loop BB71_14 Depth=2
                                        ; =>    This Inner Loop Header: Depth=3
	global_load_b64 v[28:29], v[36:37], off
	s_or_b32 s36, s36, exec_lo
	s_or_b32 s37, s37, exec_lo
	s_mov_b32 s41, exec_lo
	s_wait_loadcnt 0x0
	v_sub_nc_u64_e64 v[30:31], v[28:29], s[14:15]
	v_mov_b64_e32 v[28:29], v[34:35]
                                        ; implicit-def: $vgpr34_vgpr35
	s_wait_xcnt 0x0
	s_delay_alu instid0(VALU_DEP_2)
	v_cmpx_lt_i64_e64 v[30:31], v[18:19]
	s_cbranch_execz .LBB71_16
; %bb.18:                               ;   in Loop: Header=BB71_17 Depth=3
	s_delay_alu instid0(VALU_DEP_2) | instskip(SKIP_3) | instid1(VALU_DEP_2)
	v_add_nc_u64_e32 v[34:35], 1, v[28:29]
	v_add_nc_u64_e32 v[36:37], 8, v[36:37]
	s_and_not1_b32 s37, s37, exec_lo
	s_and_not1_b32 s36, s36, exec_lo
	v_cmp_ge_i64_e32 vcc_lo, v[34:35], v[32:33]
	s_and_b32 s42, vcc_lo, exec_lo
	s_delay_alu instid0(SALU_CYCLE_1)
	s_or_b32 s37, s37, s42
	s_branch .LBB71_16
.LBB71_19:                              ;   in Loop: Header=BB71_14 Depth=2
	s_or_b32 exec_lo, exec_lo, s18
	v_lshl_add_u64 v[32:33], v[28:29], 2, s[16:17]
	s_xor_b32 s18, s31, -1
	s_delay_alu instid0(SALU_CYCLE_1) | instskip(NEXT) | instid1(SALU_CYCLE_1)
	s_and_saveexec_b32 s31, s18
	s_xor_b32 s18, exec_lo, s31
	s_cbranch_execz .LBB71_21
; %bb.20:                               ;   in Loop: Header=BB71_14 Depth=2
	global_load_b32 v11, v[32:33], off
                                        ; implicit-def: $vgpr32_vgpr33
                                        ; implicit-def: $vgpr22_vgpr23
	s_wait_loadcnt 0x0
	global_store_b32 v[24:25], v11, off
	global_store_b64 v[26:27], v[30:31], off
                                        ; implicit-def: $vgpr24_vgpr25
                                        ; implicit-def: $vgpr26_vgpr27
.LBB71_21:                              ;   in Loop: Header=BB71_14 Depth=2
	s_wait_xcnt 0x0
	s_and_not1_saveexec_b32 s18, s18
	s_cbranch_execz .LBB71_12
; %bb.22:                               ;   in Loop: Header=BB71_14 Depth=2
	global_load_b32 v11, v[32:33], off
	v_min_i64 v[20:21], v[30:31], v[20:21]
	global_store_b64 v[26:27], v[30:31], off
	s_wait_loadcnt 0x0
	global_store_b32 v[24:25], v11, off
	global_store_b64 v[22:23], v[28:29], off
	s_branch .LBB71_12
.LBB71_23:                              ;   in Loop: Header=BB71_10 Depth=1
	ds_bpermute_b32 v18, v38, v20
	ds_bpermute_b32 v19, v38, v21
	s_wait_dscnt 0x0
	v_min_i64 v[18:19], v[18:19], v[20:21]
	ds_bpermute_b32 v20, v39, v18
	ds_bpermute_b32 v21, v39, v19
	s_wait_dscnt 0x0
	v_min_i64 v[18:19], v[20:21], v[18:19]
	ds_bpermute_b32 v20, v40, v18
	ds_bpermute_b32 v21, v40, v19
	s_wait_dscnt 0x0
	v_min_i64 v[18:19], v[20:21], v[18:19]
	ds_bpermute_b32 v20, v41, v18
	ds_bpermute_b32 v21, v41, v19
	s_wait_dscnt 0x0
	v_min_i64 v[18:19], v[20:21], v[18:19]
	ds_bpermute_b32 v20, v42, v18
	ds_bpermute_b32 v21, v42, v19
	s_wait_dscnt 0x0
	v_min_i64 v[18:19], v[20:21], v[18:19]
	s_delay_alu instid0(VALU_DEP_1) | instskip(SKIP_1) | instid1(SALU_CYCLE_1)
	v_cmp_gt_i64_e32 vcc_lo, s[6:7], v[18:19]
	s_and_b32 s1, s0, vcc_lo
	s_and_saveexec_b32 s36, s1
	s_cbranch_execz .LBB71_29
; %bb.24:                               ;   in Loop: Header=BB71_10 Depth=1
	v_or_b32_e32 v11, s9, v19
                                        ; implicit-def: $vgpr20_vgpr21
	s_mov_b32 s1, exec_lo
	s_delay_alu instid0(VALU_DEP_1)
	v_cmpx_ne_u64_e32 0, v[10:11]
	s_xor_b32 s37, exec_lo, s1
	s_cbranch_execnz .LBB71_50
; %bb.25:                               ;   in Loop: Header=BB71_10 Depth=1
	s_and_not1_saveexec_b32 s1, s37
	s_cbranch_execnz .LBB71_51
.LBB71_26:                              ;   in Loop: Header=BB71_10 Depth=1
	s_or_b32 exec_lo, exec_lo, s1
	s_delay_alu instid0(SALU_CYCLE_1) | instskip(NEXT) | instid1(VALU_DEP_1)
	s_mov_b32 s1, exec_lo
	v_cmpx_ge_i64_e64 v[20:21], v[16:17]
	s_cbranch_execz .LBB71_28
.LBB71_27:                              ;   in Loop: Header=BB71_10 Depth=1
	v_add_nc_u64_e32 v[22:23], s[12:13], v[20:21]
	v_lshl_add_u64 v[24:25], v[14:15], 3, s[20:21]
	v_add_nc_u64_e32 v[14:15], 1, v[14:15]
	v_add_nc_u64_e32 v[16:17], 1, v[20:21]
	global_store_b64 v[24:25], v[22:23], off
.LBB71_28:                              ;   in Loop: Header=BB71_10 Depth=1
	s_wait_xcnt 0x0
	s_or_b32 exec_lo, exec_lo, s1
.LBB71_29:                              ;   in Loop: Header=BB71_10 Depth=1
	s_delay_alu instid0(SALU_CYCLE_1)
	s_or_b32 exec_lo, exec_lo, s36
	ds_bpermute_b32 v18, v43, v18
	ds_bpermute_b32 v19, v43, v19
	;; [unrolled: 1-line block ×4, first 2 shown]
	s_and_not1_b32 vcc_lo, exec_lo, s33
	s_cbranch_vccnz .LBB71_9
; %bb.30:                               ;   in Loop: Header=BB71_10 Depth=1
	s_wait_dscnt 0x0
	v_dual_mov_b32 v11, v15 :: v_dual_mov_b32 v22, v14
	v_mov_b32_e32 v23, v10
	v_mov_b64_e32 v[28:29], v[12:13]
	s_mov_b64 s[34:35], s[10:11]
	s_delay_alu instid0(VALU_DEP_3) | instskip(NEXT) | instid1(VALU_DEP_1)
	v_add_nc_u64_e32 v[20:21], s[22:23], v[10:11]
	v_add_nc_u64_e32 v[24:25], v[20:21], v[22:23]
	;; [unrolled: 1-line block ×3, first 2 shown]
	s_delay_alu instid0(VALU_DEP_2) | instskip(NEXT) | instid1(VALU_DEP_2)
	v_mad_nc_u64_u32 v[26:27], s8, v24, v[0:1]
	v_mul_u64_e32 v[22:23], s[8:9], v[22:23]
	s_delay_alu instid0(VALU_DEP_2) | instskip(NEXT) | instid1(VALU_DEP_3)
	v_mad_u32 v11, s9, v24, v27
	v_mad_nc_u64_u32 v[20:21], s24, v26, s[2:3]
	s_delay_alu instid0(VALU_DEP_2) | instskip(NEXT) | instid1(VALU_DEP_2)
	v_mad_u32 v11, s8, v25, v11
	v_mad_u32 v21, s25, v26, v21
	v_mov_b64_e32 v[24:25], v[6:7]
	v_mov_b64_e32 v[26:27], v[8:9]
	s_delay_alu instid0(VALU_DEP_3)
	v_mad_u32 v21, s24, v11, v21
	s_branch .LBB71_33
.LBB71_31:                              ;   in Loop: Header=BB71_33 Depth=2
	s_or_b32 exec_lo, exec_lo, s1
	global_load_b32 v11, v[26:27], off
	v_lshl_add_u64 v[30:31], v[32:33], 2, v[20:21]
	s_wait_loadcnt 0x0
	global_store_b32 v[30:31], v11, off
.LBB71_32:                              ;   in Loop: Header=BB71_33 Depth=2
	s_wait_xcnt 0x0
	s_or_b32 exec_lo, exec_lo, s41
	v_add_nc_u64_e32 v[20:21], s[28:29], v[20:21]
	v_add_nc_u64_e32 v[28:29], 0x80, v[28:29]
	;; [unrolled: 1-line block ×4, first 2 shown]
	s_add_nc_u64 s[34:35], s[34:35], -1
	s_delay_alu instid0(SALU_CYCLE_1)
	s_cmp_eq_u64 s[34:35], 0
	s_cbranch_scc1 .LBB71_9
.LBB71_33:                              ;   Parent Loop BB71_10 Depth=1
                                        ; =>  This Inner Loop Header: Depth=2
	global_load_b64 v[30:31], v[24:25], off
	s_mov_b32 s41, exec_lo
	s_wait_loadcnt 0x0
	v_cmpx_gt_i64_e64 s[6:7], v[30:31]
	s_cbranch_execz .LBB71_32
; %bb.34:                               ;   in Loop: Header=BB71_33 Depth=2
	v_or_b32_e32 v36, s9, v31
                                        ; implicit-def: $vgpr32_vgpr33
	s_mov_b32 s1, exec_lo
	s_delay_alu instid0(VALU_DEP_1) | instskip(NEXT) | instid1(VALU_DEP_1)
	v_mov_b32_e32 v11, v36
	v_cmpx_ne_u64_e32 0, v[10:11]
	s_xor_b32 s42, exec_lo, s1
	s_cbranch_execz .LBB71_36
; %bb.35:                               ;   in Loop: Header=BB71_33 Depth=2
	s_mov_b32 s31, s30
	v_dual_mov_b32 v45, v10 :: v_dual_ashrrev_i32 v32, 31, v31
	s_add_nc_u64 s[36:37], s[8:9], s[30:31]
	s_delay_alu instid0(SALU_CYCLE_1) | instskip(NEXT) | instid1(VALU_DEP_1)
	s_xor_b64 s[36:37], s[36:37], s[30:31]
	v_mov_b32_e32 v33, v32
	s_cvt_f32_u32 s1, s36
	s_cvt_f32_u32 s18, s37
	s_sub_nc_u64 s[46:47], 0, s[36:37]
	s_delay_alu instid0(VALU_DEP_1) | instskip(NEXT) | instid1(SALU_CYCLE_1)
	v_add_nc_u64_e32 v[34:35], v[30:31], v[32:33]
	s_fmamk_f32 s1, s18, 0x4f800000, s1
	v_mov_b32_e32 v49, v10
	s_delay_alu instid0(SALU_CYCLE_2) | instskip(NEXT) | instid1(VALU_DEP_2)
	v_s_rcp_f32 s1, s1
	v_xor_b32_e32 v44, v34, v32
	s_delay_alu instid0(VALU_DEP_3) | instskip(SKIP_1) | instid1(TRANS32_DEP_1)
	v_dual_mov_b32 v53, v10 :: v_dual_bitop2_b32 v48, v35, v32 bitop3:0x14
	v_xor_b32_e32 v32, s30, v32
	s_mul_f32 s1, s1, 0x5f7ffffc
	s_delay_alu instid0(SALU_CYCLE_3) | instskip(NEXT) | instid1(SALU_CYCLE_3)
	s_mul_f32 s18, s1, 0x2f800000
	s_trunc_f32 s18, s18
	s_delay_alu instid0(SALU_CYCLE_3) | instskip(SKIP_1) | instid1(SALU_CYCLE_2)
	s_fmamk_f32 s1, s18, 0xcf800000, s1
	s_cvt_u32_f32 s45, s18
	s_cvt_u32_f32 s44, s1
	s_delay_alu instid0(SALU_CYCLE_3) | instskip(NEXT) | instid1(SALU_CYCLE_1)
	s_mul_u64 s[48:49], s[46:47], s[44:45]
	s_mul_hi_u32 s51, s44, s49
	s_mul_i32 s50, s44, s49
	s_mul_hi_u32 s18, s44, s48
	s_mul_i32 s31, s45, s48
	s_add_nc_u64 s[50:51], s[18:19], s[50:51]
	s_mul_hi_u32 s1, s45, s48
	s_mul_hi_u32 s43, s45, s49
	s_add_co_u32 s18, s50, s31
	s_add_co_ci_u32 s18, s51, s1
	s_mul_i32 s48, s45, s49
	s_add_co_ci_u32 s49, s43, 0
	s_delay_alu instid0(SALU_CYCLE_1) | instskip(NEXT) | instid1(SALU_CYCLE_1)
	s_add_nc_u64 s[48:49], s[18:19], s[48:49]
	s_add_co_u32 s44, s44, s48
	s_cselect_b32 s1, -1, 0
	s_delay_alu instid0(SALU_CYCLE_1) | instskip(SKIP_1) | instid1(SALU_CYCLE_1)
	s_cmp_lg_u32 s1, 0
	s_add_co_ci_u32 s45, s45, s49
	s_mul_u64 s[46:47], s[46:47], s[44:45]
	s_delay_alu instid0(SALU_CYCLE_1)
	s_mul_hi_u32 s49, s44, s47
	s_mul_i32 s48, s44, s47
	s_mul_hi_u32 s18, s44, s46
	s_mul_i32 s31, s45, s46
	s_add_nc_u64 s[48:49], s[18:19], s[48:49]
	s_mul_hi_u32 s1, s45, s46
	s_mul_hi_u32 s43, s45, s47
	s_add_co_u32 s18, s48, s31
	s_add_co_ci_u32 s18, s49, s1
	s_mul_i32 s46, s45, s47
	s_add_co_ci_u32 s47, s43, 0
	s_delay_alu instid0(SALU_CYCLE_1) | instskip(NEXT) | instid1(SALU_CYCLE_1)
	s_add_nc_u64 s[46:47], s[18:19], s[46:47]
	s_add_co_u32 s44, s44, s46
	s_cselect_b32 s1, -1, 0
	v_mul_hi_u32 v52, v44, s44
	s_cmp_lg_u32 s1, 0
	s_add_co_ci_u32 s18, s45, s47
	s_and_b64 s[46:47], s[44:45], s[26:27]
	v_mul_u64_e32 v[46:47], s[18:19], v[44:45]
	v_mul_u64_e32 v[34:35], s[46:47], v[48:49]
	;; [unrolled: 1-line block ×3, first 2 shown]
	s_delay_alu instid0(VALU_DEP_3) | instskip(NEXT) | instid1(VALU_DEP_1)
	v_add_nc_u64_e32 v[46:47], v[52:53], v[46:47]
	v_add_co_u32 v11, vcc_lo, v46, v34
	s_delay_alu instid0(VALU_DEP_2) | instskip(NEXT) | instid1(VALU_DEP_4)
	v_add_co_ci_u32_e32 v52, vcc_lo, v47, v35, vcc_lo
	v_add_co_ci_u32_e32 v51, vcc_lo, 0, v51, vcc_lo
	s_delay_alu instid0(VALU_DEP_1) | instskip(NEXT) | instid1(VALU_DEP_1)
	v_add_nc_u64_e32 v[34:35], v[52:53], v[50:51]
	v_mul_u64_e32 v[46:47], s[36:37], v[34:35]
	s_delay_alu instid0(VALU_DEP_1) | instskip(NEXT) | instid1(VALU_DEP_2)
	v_sub_nc_u32_e32 v11, v48, v47
	v_sub_co_u32 v33, vcc_lo, v44, v46
	s_delay_alu instid0(VALU_DEP_1) | instskip(NEXT) | instid1(VALU_DEP_3)
	v_sub_co_ci_u32_e64 v48, null, v48, v47, vcc_lo
	v_subrev_co_ci_u32_e64 v11, null, s37, v11, vcc_lo
	s_delay_alu instid0(VALU_DEP_3) | instskip(SKIP_1) | instid1(VALU_DEP_3)
	v_sub_co_u32 v37, s1, v33, s36
	v_add_nc_u64_e32 v[46:47], 1, v[34:35]
	v_subrev_co_ci_u32_e64 v11, null, 0, v11, s1
	s_delay_alu instid0(VALU_DEP_3) | instskip(SKIP_1) | instid1(VALU_DEP_3)
	v_cmp_le_u32_e32 vcc_lo, s36, v37
	v_cndmask_b32_e64 v37, 0, -1, vcc_lo
	v_cmp_le_u32_e32 vcc_lo, s37, v11
	v_cndmask_b32_e64 v44, 0, -1, vcc_lo
	;; [unrolled: 2-line block ×4, first 2 shown]
	v_cmp_eq_u32_e32 vcc_lo, s37, v11
	v_cndmask_b32_e32 v11, v44, v37, vcc_lo
	v_cmp_eq_u32_e32 vcc_lo, s37, v48
	v_add_nc_u64_e32 v[44:45], 2, v[34:35]
	v_cndmask_b32_e32 v33, v49, v33, vcc_lo
	s_delay_alu instid0(VALU_DEP_4) | instskip(NEXT) | instid1(VALU_DEP_2)
	v_cmp_ne_u32_e32 vcc_lo, 0, v11
	v_cmp_ne_u32_e64 s1, 0, v33
	s_delay_alu instid0(VALU_DEP_4) | instskip(NEXT) | instid1(VALU_DEP_1)
	v_dual_cndmask_b32 v11, v47, v45, vcc_lo :: v_dual_cndmask_b32 v33, v46, v44, vcc_lo
	v_dual_cndmask_b32 v34, v34, v33, s1 :: v_dual_mov_b32 v33, v32
	s_delay_alu instid0(VALU_DEP_1) | instskip(NEXT) | instid1(VALU_DEP_1)
	v_dual_cndmask_b32 v11, v35, v11, s1 :: v_dual_bitop2_b32 v34, v34, v32 bitop3:0x14
	v_xor_b32_e32 v35, v11, v32
	s_delay_alu instid0(VALU_DEP_1)
	v_sub_nc_u64_e32 v[32:33], v[34:35], v[32:33]
.LBB71_36:                              ;   in Loop: Header=BB71_33 Depth=2
	s_and_not1_saveexec_b32 s1, s42
	s_cbranch_execz .LBB71_38
; %bb.37:                               ;   in Loop: Header=BB71_33 Depth=2
	v_cvt_f32_u32_e32 v11, s8
	s_delay_alu instid0(VALU_DEP_1) | instskip(SKIP_1) | instid1(TRANS32_DEP_1)
	v_rcp_iflag_f32_e32 v11, v11
	v_nop
	v_mul_f32_e32 v11, 0x4f7ffffe, v11
	s_delay_alu instid0(VALU_DEP_1) | instskip(NEXT) | instid1(VALU_DEP_1)
	v_cvt_u32_f32_e32 v11, v11
	v_mul_lo_u32 v32, s39, v11
	s_delay_alu instid0(VALU_DEP_1) | instskip(NEXT) | instid1(VALU_DEP_1)
	v_mul_hi_u32 v32, v11, v32
	v_add_nc_u32_e32 v11, v11, v32
	s_delay_alu instid0(VALU_DEP_1) | instskip(NEXT) | instid1(VALU_DEP_1)
	v_mul_hi_u32 v11, v30, v11
	v_mul_lo_u32 v32, v11, s8
	s_delay_alu instid0(VALU_DEP_1) | instskip(NEXT) | instid1(VALU_DEP_1)
	v_dual_add_nc_u32 v33, 1, v11 :: v_dual_sub_nc_u32 v32, v30, v32
	v_subrev_nc_u32_e32 v34, s8, v32
	v_cmp_le_u32_e32 vcc_lo, s8, v32
	s_delay_alu instid0(VALU_DEP_2) | instskip(NEXT) | instid1(VALU_DEP_1)
	v_dual_cndmask_b32 v32, v32, v34 :: v_dual_cndmask_b32 v11, v11, v33
	v_cmp_le_u32_e32 vcc_lo, s8, v32
	s_delay_alu instid0(VALU_DEP_2) | instskip(NEXT) | instid1(VALU_DEP_1)
	v_add_nc_u32_e32 v33, 1, v11
	v_dual_cndmask_b32 v32, v11, v33 :: v_dual_mov_b32 v33, v10
.LBB71_38:                              ;   in Loop: Header=BB71_33 Depth=2
	s_or_b32 exec_lo, exec_lo, s1
	v_or_b32_e32 v11, s9, v19
                                        ; implicit-def: $vgpr34_vgpr35
	s_mov_b32 s1, exec_lo
	s_delay_alu instid0(VALU_DEP_1)
	v_cmpx_ne_u64_e32 0, v[10:11]
	s_xor_b32 s42, exec_lo, s1
	s_cbranch_execnz .LBB71_41
; %bb.39:                               ;   in Loop: Header=BB71_33 Depth=2
	s_and_not1_saveexec_b32 s1, s42
	s_cbranch_execnz .LBB71_42
.LBB71_40:                              ;   in Loop: Header=BB71_33 Depth=2
	s_or_b32 exec_lo, exec_lo, s1
	s_delay_alu instid0(VALU_DEP_1)
	v_cmp_eq_u64_e32 vcc_lo, v[32:33], v[34:35]
	s_and_b32 exec_lo, exec_lo, vcc_lo
	s_cbranch_execz .LBB71_32
	s_branch .LBB71_43
.LBB71_41:                              ;   in Loop: Header=BB71_33 Depth=2
	s_mov_b32 s31, s30
	v_dual_mov_b32 v47, v10 :: v_dual_ashrrev_i32 v34, 31, v19
	s_add_nc_u64 s[36:37], s[8:9], s[30:31]
	v_mov_b32_e32 v55, v10
	s_xor_b64 s[36:37], s[36:37], s[30:31]
	s_delay_alu instid0(VALU_DEP_2) | instskip(SKIP_3) | instid1(VALU_DEP_1)
	v_mov_b32_e32 v35, v34
	s_cvt_f32_u32 s1, s36
	s_cvt_f32_u32 s18, s37
	s_sub_nc_u64 s[46:47], 0, s[36:37]
	v_add_nc_u64_e32 v[44:45], v[18:19], v[34:35]
	s_delay_alu instid0(SALU_CYCLE_1) | instskip(SKIP_1) | instid1(SALU_CYCLE_2)
	s_fmamk_f32 s1, s18, 0x4f800000, s1
	v_mov_b32_e32 v51, v10
	v_s_rcp_f32 s1, s1
	s_delay_alu instid0(VALU_DEP_2) | instskip(NEXT) | instid1(VALU_DEP_3)
	v_xor_b32_e32 v46, v44, v34
	v_xor_b32_e32 v50, v45, v34
	;; [unrolled: 1-line block ×3, first 2 shown]
	s_delay_alu instid0(TRANS32_DEP_1) | instskip(NEXT) | instid1(SALU_CYCLE_3)
	s_mul_f32 s1, s1, 0x5f7ffffc
	s_mul_f32 s18, s1, 0x2f800000
	s_delay_alu instid0(SALU_CYCLE_3) | instskip(NEXT) | instid1(SALU_CYCLE_3)
	s_trunc_f32 s18, s18
	s_fmamk_f32 s1, s18, 0xcf800000, s1
	s_cvt_u32_f32 s45, s18
	s_delay_alu instid0(SALU_CYCLE_2) | instskip(NEXT) | instid1(SALU_CYCLE_3)
	s_cvt_u32_f32 s44, s1
	s_mul_u64 s[48:49], s[46:47], s[44:45]
	s_delay_alu instid0(SALU_CYCLE_1)
	s_mul_hi_u32 s51, s44, s49
	s_mul_i32 s50, s44, s49
	s_mul_hi_u32 s18, s44, s48
	s_mul_i32 s31, s45, s48
	s_add_nc_u64 s[50:51], s[18:19], s[50:51]
	s_mul_hi_u32 s1, s45, s48
	s_mul_hi_u32 s43, s45, s49
	s_add_co_u32 s18, s50, s31
	s_add_co_ci_u32 s18, s51, s1
	s_mul_i32 s48, s45, s49
	s_add_co_ci_u32 s49, s43, 0
	s_delay_alu instid0(SALU_CYCLE_1) | instskip(NEXT) | instid1(SALU_CYCLE_1)
	s_add_nc_u64 s[48:49], s[18:19], s[48:49]
	s_add_co_u32 s44, s44, s48
	s_cselect_b32 s1, -1, 0
	s_delay_alu instid0(SALU_CYCLE_1) | instskip(SKIP_1) | instid1(SALU_CYCLE_1)
	s_cmp_lg_u32 s1, 0
	s_add_co_ci_u32 s45, s45, s49
	s_mul_u64 s[46:47], s[46:47], s[44:45]
	s_delay_alu instid0(SALU_CYCLE_1)
	s_mul_hi_u32 s49, s44, s47
	s_mul_i32 s48, s44, s47
	s_mul_hi_u32 s18, s44, s46
	s_mul_i32 s31, s45, s46
	s_add_nc_u64 s[48:49], s[18:19], s[48:49]
	s_mul_hi_u32 s1, s45, s46
	s_mul_hi_u32 s43, s45, s47
	s_add_co_u32 s18, s48, s31
	s_add_co_ci_u32 s18, s49, s1
	s_mul_i32 s46, s45, s47
	s_add_co_ci_u32 s47, s43, 0
	s_delay_alu instid0(SALU_CYCLE_1) | instskip(NEXT) | instid1(SALU_CYCLE_1)
	s_add_nc_u64 s[46:47], s[18:19], s[46:47]
	s_add_co_u32 s44, s44, s46
	s_cselect_b32 s1, -1, 0
	v_mul_hi_u32 v54, v46, s44
	s_cmp_lg_u32 s1, 0
	s_add_co_ci_u32 s18, s45, s47
	s_and_b64 s[46:47], s[44:45], s[26:27]
	v_mul_u64_e32 v[48:49], s[18:19], v[46:47]
	v_mul_u64_e32 v[44:45], s[46:47], v[50:51]
	;; [unrolled: 1-line block ×3, first 2 shown]
	s_delay_alu instid0(VALU_DEP_3) | instskip(NEXT) | instid1(VALU_DEP_1)
	v_add_nc_u64_e32 v[48:49], v[54:55], v[48:49]
	v_add_co_u32 v11, vcc_lo, v48, v44
	s_delay_alu instid0(VALU_DEP_2) | instskip(NEXT) | instid1(VALU_DEP_4)
	v_add_co_ci_u32_e32 v54, vcc_lo, v49, v45, vcc_lo
	v_add_co_ci_u32_e32 v53, vcc_lo, 0, v53, vcc_lo
	s_delay_alu instid0(VALU_DEP_1) | instskip(NEXT) | instid1(VALU_DEP_1)
	v_add_nc_u64_e32 v[44:45], v[54:55], v[52:53]
	v_mul_u64_e32 v[48:49], s[36:37], v[44:45]
	s_delay_alu instid0(VALU_DEP_1) | instskip(NEXT) | instid1(VALU_DEP_2)
	v_sub_nc_u32_e32 v11, v50, v49
	v_sub_co_u32 v35, vcc_lo, v46, v48
	s_delay_alu instid0(VALU_DEP_1) | instskip(NEXT) | instid1(VALU_DEP_3)
	v_sub_co_ci_u32_e64 v50, null, v50, v49, vcc_lo
	v_subrev_co_ci_u32_e64 v11, null, s37, v11, vcc_lo
	s_delay_alu instid0(VALU_DEP_3) | instskip(SKIP_1) | instid1(VALU_DEP_3)
	v_sub_co_u32 v37, s1, v35, s36
	v_add_nc_u64_e32 v[48:49], 1, v[44:45]
	v_subrev_co_ci_u32_e64 v11, null, 0, v11, s1
	s_delay_alu instid0(VALU_DEP_3) | instskip(SKIP_1) | instid1(VALU_DEP_3)
	v_cmp_le_u32_e32 vcc_lo, s36, v37
	v_cndmask_b32_e64 v37, 0, -1, vcc_lo
	v_cmp_le_u32_e32 vcc_lo, s37, v11
	v_cndmask_b32_e64 v46, 0, -1, vcc_lo
	;; [unrolled: 2-line block ×4, first 2 shown]
	v_cmp_eq_u32_e32 vcc_lo, s37, v11
	v_cndmask_b32_e32 v11, v46, v37, vcc_lo
	v_cmp_eq_u32_e32 vcc_lo, s37, v50
	v_add_nc_u64_e32 v[46:47], 2, v[44:45]
	v_cndmask_b32_e32 v35, v51, v35, vcc_lo
	s_delay_alu instid0(VALU_DEP_4) | instskip(NEXT) | instid1(VALU_DEP_2)
	v_cmp_ne_u32_e32 vcc_lo, 0, v11
	v_cmp_ne_u32_e64 s1, 0, v35
	s_delay_alu instid0(VALU_DEP_4) | instskip(NEXT) | instid1(VALU_DEP_1)
	v_dual_cndmask_b32 v11, v49, v47, vcc_lo :: v_dual_cndmask_b32 v35, v48, v46, vcc_lo
	v_dual_cndmask_b32 v37, v44, v35, s1 :: v_dual_mov_b32 v35, v34
	s_delay_alu instid0(VALU_DEP_2) | instskip(NEXT) | instid1(VALU_DEP_1)
	v_cndmask_b32_e64 v11, v45, v11, s1
	v_xor_b32_e32 v45, v11, v34
	s_delay_alu instid0(VALU_DEP_3) | instskip(NEXT) | instid1(VALU_DEP_1)
	v_xor_b32_e32 v44, v37, v34
	v_sub_nc_u64_e32 v[34:35], v[44:45], v[34:35]
	s_and_not1_saveexec_b32 s1, s42
	s_cbranch_execz .LBB71_40
.LBB71_42:                              ;   in Loop: Header=BB71_33 Depth=2
	v_cvt_f32_u32_e32 v11, s8
	s_delay_alu instid0(VALU_DEP_1) | instskip(SKIP_1) | instid1(TRANS32_DEP_1)
	v_rcp_iflag_f32_e32 v11, v11
	v_nop
	v_mul_f32_e32 v11, 0x4f7ffffe, v11
	s_delay_alu instid0(VALU_DEP_1) | instskip(NEXT) | instid1(VALU_DEP_1)
	v_cvt_u32_f32_e32 v11, v11
	v_mul_lo_u32 v34, s39, v11
	s_delay_alu instid0(VALU_DEP_1) | instskip(NEXT) | instid1(VALU_DEP_1)
	v_mul_hi_u32 v34, v11, v34
	v_add_nc_u32_e32 v11, v11, v34
	s_delay_alu instid0(VALU_DEP_1) | instskip(NEXT) | instid1(VALU_DEP_1)
	v_mul_hi_u32 v11, v18, v11
	v_mul_lo_u32 v34, v11, s8
	s_delay_alu instid0(VALU_DEP_1) | instskip(NEXT) | instid1(VALU_DEP_1)
	v_dual_add_nc_u32 v35, 1, v11 :: v_dual_sub_nc_u32 v34, v18, v34
	v_subrev_nc_u32_e32 v37, s8, v34
	v_cmp_le_u32_e32 vcc_lo, s8, v34
	s_delay_alu instid0(VALU_DEP_2) | instskip(NEXT) | instid1(VALU_DEP_1)
	v_dual_cndmask_b32 v34, v34, v37 :: v_dual_cndmask_b32 v11, v11, v35
	v_cmp_le_u32_e32 vcc_lo, s8, v34
	s_delay_alu instid0(VALU_DEP_2) | instskip(NEXT) | instid1(VALU_DEP_1)
	v_add_nc_u32_e32 v35, 1, v11
	v_dual_cndmask_b32 v34, v11, v35 :: v_dual_mov_b32 v35, v10
	s_or_b32 exec_lo, exec_lo, s1
	s_delay_alu instid0(VALU_DEP_1)
	v_cmp_eq_u64_e32 vcc_lo, v[32:33], v[34:35]
	s_and_b32 exec_lo, exec_lo, vcc_lo
	s_cbranch_execz .LBB71_32
.LBB71_43:                              ;   in Loop: Header=BB71_33 Depth=2
	s_and_b32 vcc_lo, exec_lo, s38
	s_cbranch_vccz .LBB71_45
; %bb.44:                               ;   in Loop: Header=BB71_33 Depth=2
	global_load_b32 v11, v[26:27], off
	v_mul_u64_e32 v[32:33], s[8:9], v[32:33]
	s_delay_alu instid0(VALU_DEP_1) | instskip(NEXT) | instid1(VALU_DEP_1)
	v_sub_nc_u64_e32 v[32:33], v[30:31], v[32:33]
	v_add_nc_u64_e32 v[32:33], v[32:33], v[22:23]
	s_delay_alu instid0(VALU_DEP_1) | instskip(NEXT) | instid1(VALU_DEP_1)
	v_mad_nc_u64_u32 v[34:35], s24, v32, v[28:29]
	v_mad_u32 v32, s25, v32, v35
	s_delay_alu instid0(VALU_DEP_1)
	v_mad_u32 v35, s24, v33, v32
	s_wait_loadcnt 0x0
	global_store_b32 v[34:35], v11, off
	s_cbranch_execnz .LBB71_32
	s_branch .LBB71_46
.LBB71_45:                              ;   in Loop: Header=BB71_33 Depth=2
.LBB71_46:                              ;   in Loop: Header=BB71_33 Depth=2
	s_wait_xcnt 0x0
	v_mov_b32_e32 v11, v36
                                        ; implicit-def: $vgpr32_vgpr33
	s_mov_b32 s1, exec_lo
	s_delay_alu instid0(VALU_DEP_1)
	v_cmpx_ne_u64_e32 0, v[10:11]
	s_xor_b32 s42, exec_lo, s1
	s_cbranch_execz .LBB71_48
; %bb.47:                               ;   in Loop: Header=BB71_33 Depth=2
	s_mov_b32 s31, s30
	v_dual_mov_b32 v35, v10 :: v_dual_ashrrev_i32 v32, 31, v31
	s_add_nc_u64 s[36:37], s[8:9], s[30:31]
	s_delay_alu instid0(SALU_CYCLE_1) | instskip(NEXT) | instid1(VALU_DEP_1)
	s_xor_b64 s[36:37], s[36:37], s[30:31]
	v_mov_b32_e32 v33, v32
	s_cvt_f32_u32 s1, s36
	s_cvt_f32_u32 s18, s37
	s_sub_nc_u64 s[46:47], 0, s[36:37]
	s_delay_alu instid0(VALU_DEP_1) | instskip(NEXT) | instid1(SALU_CYCLE_1)
	v_add_nc_u64_e32 v[30:31], v[30:31], v[32:33]
	s_fmamk_f32 s1, s18, 0x4f800000, s1
	v_mov_b32_e32 v45, v10
	s_delay_alu instid0(SALU_CYCLE_2) | instskip(NEXT) | instid1(VALU_DEP_2)
	v_s_rcp_f32 s1, s1
	v_xor_b32_e32 v34, v30, v32
	s_delay_alu instid0(VALU_DEP_3) | instskip(NEXT) | instid1(TRANS32_DEP_1)
	v_dual_mov_b32 v49, v10 :: v_dual_bitop2_b32 v44, v31, v32 bitop3:0x14
	s_mul_f32 s1, s1, 0x5f7ffffc
	s_delay_alu instid0(SALU_CYCLE_3) | instskip(NEXT) | instid1(SALU_CYCLE_3)
	s_mul_f32 s18, s1, 0x2f800000
	s_trunc_f32 s18, s18
	s_delay_alu instid0(SALU_CYCLE_3) | instskip(SKIP_1) | instid1(SALU_CYCLE_2)
	s_fmamk_f32 s1, s18, 0xcf800000, s1
	s_cvt_u32_f32 s45, s18
	s_cvt_u32_f32 s44, s1
	s_delay_alu instid0(SALU_CYCLE_3) | instskip(NEXT) | instid1(SALU_CYCLE_1)
	s_mul_u64 s[48:49], s[46:47], s[44:45]
	s_mul_hi_u32 s51, s44, s49
	s_mul_i32 s50, s44, s49
	s_mul_hi_u32 s18, s44, s48
	s_mul_i32 s31, s45, s48
	s_add_nc_u64 s[50:51], s[18:19], s[50:51]
	s_mul_hi_u32 s1, s45, s48
	s_mul_hi_u32 s43, s45, s49
	s_add_co_u32 s18, s50, s31
	s_add_co_ci_u32 s18, s51, s1
	s_mul_i32 s48, s45, s49
	s_add_co_ci_u32 s49, s43, 0
	s_delay_alu instid0(SALU_CYCLE_1) | instskip(NEXT) | instid1(SALU_CYCLE_1)
	s_add_nc_u64 s[48:49], s[18:19], s[48:49]
	s_add_co_u32 s44, s44, s48
	s_cselect_b32 s1, -1, 0
	s_delay_alu instid0(SALU_CYCLE_1) | instskip(SKIP_1) | instid1(SALU_CYCLE_1)
	s_cmp_lg_u32 s1, 0
	s_add_co_ci_u32 s45, s45, s49
	s_mul_u64 s[46:47], s[46:47], s[44:45]
	s_delay_alu instid0(SALU_CYCLE_1)
	s_mul_hi_u32 s49, s44, s47
	s_mul_i32 s48, s44, s47
	s_mul_hi_u32 s18, s44, s46
	s_mul_i32 s31, s45, s46
	s_add_nc_u64 s[48:49], s[18:19], s[48:49]
	s_mul_hi_u32 s1, s45, s46
	s_mul_hi_u32 s43, s45, s47
	s_add_co_u32 s18, s48, s31
	s_add_co_ci_u32 s18, s49, s1
	s_mul_i32 s46, s45, s47
	s_add_co_ci_u32 s47, s43, 0
	s_delay_alu instid0(SALU_CYCLE_1) | instskip(NEXT) | instid1(SALU_CYCLE_1)
	s_add_nc_u64 s[46:47], s[18:19], s[46:47]
	s_add_co_u32 s44, s44, s46
	s_cselect_b32 s1, -1, 0
	v_mul_hi_u32 v48, v34, s44
	s_cmp_lg_u32 s1, 0
	s_add_co_ci_u32 s18, s45, s47
	s_and_b64 s[46:47], s[44:45], s[26:27]
	v_mul_u64_e32 v[36:37], s[18:19], v[34:35]
	v_mul_u64_e32 v[30:31], s[46:47], v[44:45]
	;; [unrolled: 1-line block ×3, first 2 shown]
	s_delay_alu instid0(VALU_DEP_3) | instskip(NEXT) | instid1(VALU_DEP_1)
	v_add_nc_u64_e32 v[36:37], v[48:49], v[36:37]
	v_add_co_u32 v11, vcc_lo, v36, v30
	s_delay_alu instid0(VALU_DEP_2) | instskip(NEXT) | instid1(VALU_DEP_4)
	v_add_co_ci_u32_e32 v48, vcc_lo, v37, v31, vcc_lo
	v_add_co_ci_u32_e32 v47, vcc_lo, 0, v47, vcc_lo
	s_delay_alu instid0(VALU_DEP_1) | instskip(NEXT) | instid1(VALU_DEP_1)
	v_add_nc_u64_e32 v[30:31], v[48:49], v[46:47]
	v_mul_u64_e32 v[30:31], s[36:37], v[30:31]
	s_delay_alu instid0(VALU_DEP_1) | instskip(NEXT) | instid1(VALU_DEP_2)
	v_sub_nc_u32_e32 v11, v44, v31
	v_sub_co_u32 v30, vcc_lo, v34, v30
	s_delay_alu instid0(VALU_DEP_1) | instskip(NEXT) | instid1(VALU_DEP_3)
	v_sub_co_ci_u32_e64 v31, null, v44, v31, vcc_lo
	v_subrev_co_ci_u32_e64 v11, null, s37, v11, vcc_lo
	s_delay_alu instid0(VALU_DEP_3) | instskip(SKIP_1) | instid1(VALU_DEP_3)
	v_sub_co_u32 v34, vcc_lo, v30, s36
	v_cmp_le_u32_e64 s1, s36, v30
	v_subrev_co_ci_u32_e64 v35, null, 0, v11, vcc_lo
	v_subrev_co_ci_u32_e64 v11, null, s37, v11, vcc_lo
	s_delay_alu instid0(VALU_DEP_3) | instskip(SKIP_2) | instid1(VALU_DEP_2)
	v_cndmask_b32_e64 v36, 0, -1, s1
	v_cmp_le_u32_e64 s1, s36, v34
	v_cmp_le_u32_e32 vcc_lo, s37, v31
	v_cndmask_b32_e64 v37, 0, -1, s1
	v_cmp_le_u32_e64 s1, s37, v35
	v_cndmask_b32_e64 v45, 0, -1, vcc_lo
	v_cmp_eq_u32_e32 vcc_lo, s37, v35
	s_delay_alu instid0(VALU_DEP_3) | instskip(SKIP_1) | instid1(VALU_DEP_1)
	v_cndmask_b32_e64 v44, 0, -1, s1
	v_cmp_eq_u32_e64 s1, s37, v31
	v_dual_cndmask_b32 v37, v44, v37, vcc_lo :: v_dual_cndmask_b32 v36, v45, v36, s1
	v_sub_co_u32 v44, vcc_lo, v34, s36
	s_delay_alu instid0(VALU_DEP_1) | instskip(NEXT) | instid1(VALU_DEP_3)
	v_subrev_co_ci_u32_e64 v11, null, 0, v11, vcc_lo
	v_cmp_ne_u32_e32 vcc_lo, 0, v37
	s_delay_alu instid0(VALU_DEP_2) | instskip(SKIP_1) | instid1(VALU_DEP_2)
	v_dual_cndmask_b32 v11, v35, v11 :: v_dual_cndmask_b32 v34, v34, v44
	v_cmp_ne_u32_e32 vcc_lo, 0, v36
	v_dual_cndmask_b32 v11, v31, v11 :: v_dual_cndmask_b32 v30, v30, v34
	s_delay_alu instid0(VALU_DEP_1) | instskip(NEXT) | instid1(VALU_DEP_2)
	v_xor_b32_e32 v31, v11, v32
	v_xor_b32_e32 v30, v30, v32
	s_delay_alu instid0(VALU_DEP_1)
	v_sub_nc_u64_e32 v[32:33], v[30:31], v[32:33]
                                        ; implicit-def: $vgpr30_vgpr31
.LBB71_48:                              ;   in Loop: Header=BB71_33 Depth=2
	s_and_not1_saveexec_b32 s1, s42
	s_cbranch_execz .LBB71_31
; %bb.49:                               ;   in Loop: Header=BB71_33 Depth=2
	v_cvt_f32_u32_e32 v11, s8
	v_mov_b32_e32 v33, v10
	s_delay_alu instid0(VALU_DEP_2) | instskip(SKIP_1) | instid1(TRANS32_DEP_1)
	v_rcp_iflag_f32_e32 v11, v11
	v_nop
	v_mul_f32_e32 v11, 0x4f7ffffe, v11
	s_delay_alu instid0(VALU_DEP_1) | instskip(NEXT) | instid1(VALU_DEP_1)
	v_cvt_u32_f32_e32 v11, v11
	v_mul_lo_u32 v31, s39, v11
	s_delay_alu instid0(VALU_DEP_1) | instskip(NEXT) | instid1(VALU_DEP_1)
	v_mul_hi_u32 v31, v11, v31
	v_add_nc_u32_e32 v11, v11, v31
	s_delay_alu instid0(VALU_DEP_1) | instskip(NEXT) | instid1(VALU_DEP_1)
	v_mul_hi_u32 v11, v30, v11
	v_mul_lo_u32 v11, v11, s8
	s_delay_alu instid0(VALU_DEP_1) | instskip(NEXT) | instid1(VALU_DEP_1)
	v_sub_nc_u32_e32 v11, v30, v11
	v_subrev_nc_u32_e32 v30, s8, v11
	v_cmp_le_u32_e32 vcc_lo, s8, v11
	s_delay_alu instid0(VALU_DEP_2) | instskip(NEXT) | instid1(VALU_DEP_1)
	v_cndmask_b32_e32 v11, v11, v30, vcc_lo
	v_subrev_nc_u32_e32 v30, s8, v11
	v_cmp_le_u32_e32 vcc_lo, s8, v11
	s_delay_alu instid0(VALU_DEP_2)
	v_cndmask_b32_e32 v32, v11, v30, vcc_lo
	s_branch .LBB71_31
.LBB71_50:                              ;   in Loop: Header=BB71_10 Depth=1
	s_mov_b32 s31, s30
	v_dual_mov_b32 v25, v10 :: v_dual_ashrrev_i32 v20, 31, v19
	s_add_nc_u64 s[34:35], s[8:9], s[30:31]
	s_delay_alu instid0(SALU_CYCLE_1) | instskip(NEXT) | instid1(VALU_DEP_1)
	s_xor_b64 s[34:35], s[34:35], s[30:31]
	v_mov_b32_e32 v21, v20
	s_cvt_f32_u32 s1, s34
	s_cvt_f32_u32 s18, s35
	s_sub_nc_u64 s[44:45], 0, s[34:35]
	s_delay_alu instid0(VALU_DEP_1) | instskip(NEXT) | instid1(SALU_CYCLE_1)
	v_add_nc_u64_e32 v[22:23], v[18:19], v[20:21]
	s_fmamk_f32 s1, s18, 0x4f800000, s1
	v_mov_b32_e32 v29, v10
	s_delay_alu instid0(SALU_CYCLE_2) | instskip(NEXT) | instid1(VALU_DEP_2)
	v_s_rcp_f32 s1, s1
	v_xor_b32_e32 v24, v22, v20
	s_delay_alu instid0(VALU_DEP_3) | instskip(SKIP_1) | instid1(TRANS32_DEP_1)
	v_dual_mov_b32 v33, v10 :: v_dual_bitop2_b32 v28, v23, v20 bitop3:0x14
	v_xor_b32_e32 v20, s30, v20
	s_mul_f32 s1, s1, 0x5f7ffffc
	s_delay_alu instid0(SALU_CYCLE_3) | instskip(NEXT) | instid1(SALU_CYCLE_3)
	s_mul_f32 s18, s1, 0x2f800000
	s_trunc_f32 s18, s18
	s_delay_alu instid0(SALU_CYCLE_3) | instskip(SKIP_1) | instid1(SALU_CYCLE_2)
	s_fmamk_f32 s1, s18, 0xcf800000, s1
	s_cvt_u32_f32 s43, s18
	s_cvt_u32_f32 s42, s1
	s_delay_alu instid0(SALU_CYCLE_3) | instskip(NEXT) | instid1(SALU_CYCLE_1)
	s_mul_u64 s[46:47], s[44:45], s[42:43]
	s_mul_hi_u32 s49, s42, s47
	s_mul_i32 s48, s42, s47
	s_mul_hi_u32 s18, s42, s46
	s_mul_i32 s31, s43, s46
	s_add_nc_u64 s[48:49], s[18:19], s[48:49]
	s_mul_hi_u32 s1, s43, s46
	s_mul_hi_u32 s41, s43, s47
	s_add_co_u32 s18, s48, s31
	s_add_co_ci_u32 s18, s49, s1
	s_mul_i32 s46, s43, s47
	s_add_co_ci_u32 s47, s41, 0
	s_delay_alu instid0(SALU_CYCLE_1) | instskip(NEXT) | instid1(SALU_CYCLE_1)
	s_add_nc_u64 s[46:47], s[18:19], s[46:47]
	s_add_co_u32 s42, s42, s46
	s_cselect_b32 s1, -1, 0
	s_delay_alu instid0(SALU_CYCLE_1) | instskip(SKIP_1) | instid1(SALU_CYCLE_1)
	s_cmp_lg_u32 s1, 0
	s_add_co_ci_u32 s43, s43, s47
	s_mul_u64 s[44:45], s[44:45], s[42:43]
	s_delay_alu instid0(SALU_CYCLE_1)
	s_mul_hi_u32 s47, s42, s45
	s_mul_i32 s46, s42, s45
	s_mul_hi_u32 s18, s42, s44
	s_mul_i32 s31, s43, s44
	s_add_nc_u64 s[46:47], s[18:19], s[46:47]
	s_mul_hi_u32 s1, s43, s44
	s_mul_hi_u32 s41, s43, s45
	s_add_co_u32 s18, s46, s31
	s_add_co_ci_u32 s18, s47, s1
	s_mul_i32 s44, s43, s45
	s_add_co_ci_u32 s45, s41, 0
	s_delay_alu instid0(SALU_CYCLE_1) | instskip(NEXT) | instid1(SALU_CYCLE_1)
	s_add_nc_u64 s[44:45], s[18:19], s[44:45]
	s_add_co_u32 s42, s42, s44
	s_cselect_b32 s1, -1, 0
	v_mul_hi_u32 v32, v24, s42
	s_cmp_lg_u32 s1, 0
	s_add_co_ci_u32 s18, s43, s45
	s_and_b64 s[44:45], s[42:43], s[26:27]
	v_mul_u64_e32 v[26:27], s[18:19], v[24:25]
	v_mul_u64_e32 v[22:23], s[44:45], v[28:29]
	;; [unrolled: 1-line block ×3, first 2 shown]
	s_delay_alu instid0(VALU_DEP_3) | instskip(NEXT) | instid1(VALU_DEP_1)
	v_add_nc_u64_e32 v[26:27], v[32:33], v[26:27]
	v_add_co_u32 v11, vcc_lo, v26, v22
	s_delay_alu instid0(VALU_DEP_2) | instskip(NEXT) | instid1(VALU_DEP_4)
	v_add_co_ci_u32_e32 v32, vcc_lo, v27, v23, vcc_lo
	v_add_co_ci_u32_e32 v31, vcc_lo, 0, v31, vcc_lo
	s_delay_alu instid0(VALU_DEP_1) | instskip(NEXT) | instid1(VALU_DEP_1)
	v_add_nc_u64_e32 v[22:23], v[32:33], v[30:31]
	v_mul_u64_e32 v[26:27], s[34:35], v[22:23]
	s_delay_alu instid0(VALU_DEP_1) | instskip(NEXT) | instid1(VALU_DEP_2)
	v_sub_nc_u32_e32 v11, v28, v27
	v_sub_co_u32 v21, vcc_lo, v24, v26
	s_delay_alu instid0(VALU_DEP_1) | instskip(NEXT) | instid1(VALU_DEP_3)
	v_sub_co_ci_u32_e64 v28, null, v28, v27, vcc_lo
	v_subrev_co_ci_u32_e64 v11, null, s35, v11, vcc_lo
	s_delay_alu instid0(VALU_DEP_3) | instskip(SKIP_1) | instid1(VALU_DEP_3)
	v_sub_co_u32 v24, s1, v21, s34
	v_add_nc_u64_e32 v[26:27], 1, v[22:23]
	v_subrev_co_ci_u32_e64 v11, null, 0, v11, s1
	s_delay_alu instid0(VALU_DEP_3) | instskip(SKIP_1) | instid1(VALU_DEP_3)
	v_cmp_le_u32_e32 vcc_lo, s34, v24
	v_cndmask_b32_e64 v24, 0, -1, vcc_lo
	v_cmp_le_u32_e32 vcc_lo, s35, v11
	v_cndmask_b32_e64 v25, 0, -1, vcc_lo
	v_cmp_le_u32_e32 vcc_lo, s34, v21
	v_cndmask_b32_e64 v21, 0, -1, vcc_lo
	v_cmp_le_u32_e32 vcc_lo, s35, v28
	v_cndmask_b32_e64 v29, 0, -1, vcc_lo
	v_cmp_eq_u32_e32 vcc_lo, s35, v11
	v_cndmask_b32_e32 v11, v25, v24, vcc_lo
	v_cmp_eq_u32_e32 vcc_lo, s35, v28
	v_add_nc_u64_e32 v[24:25], 2, v[22:23]
	v_cndmask_b32_e32 v21, v29, v21, vcc_lo
	s_delay_alu instid0(VALU_DEP_4) | instskip(NEXT) | instid1(VALU_DEP_2)
	v_cmp_ne_u32_e32 vcc_lo, 0, v11
	v_cmp_ne_u32_e64 s1, 0, v21
	s_delay_alu instid0(VALU_DEP_4) | instskip(NEXT) | instid1(VALU_DEP_1)
	v_dual_cndmask_b32 v11, v27, v25, vcc_lo :: v_dual_cndmask_b32 v21, v26, v24, vcc_lo
	v_dual_cndmask_b32 v22, v22, v21, s1 :: v_dual_mov_b32 v21, v20
	s_delay_alu instid0(VALU_DEP_1) | instskip(NEXT) | instid1(VALU_DEP_1)
	v_dual_cndmask_b32 v11, v23, v11, s1 :: v_dual_bitop2_b32 v22, v22, v20 bitop3:0x14
	v_xor_b32_e32 v23, v11, v20
	s_delay_alu instid0(VALU_DEP_1)
	v_sub_nc_u64_e32 v[20:21], v[22:23], v[20:21]
	s_and_not1_saveexec_b32 s1, s37
	s_cbranch_execz .LBB71_26
.LBB71_51:                              ;   in Loop: Header=BB71_10 Depth=1
	v_cvt_f32_u32_e32 v11, s8
	s_delay_alu instid0(VALU_DEP_1) | instskip(SKIP_1) | instid1(TRANS32_DEP_1)
	v_rcp_iflag_f32_e32 v11, v11
	v_nop
	v_mul_f32_e32 v11, 0x4f7ffffe, v11
	s_delay_alu instid0(VALU_DEP_1) | instskip(NEXT) | instid1(VALU_DEP_1)
	v_cvt_u32_f32_e32 v11, v11
	v_mul_lo_u32 v20, s39, v11
	s_delay_alu instid0(VALU_DEP_1) | instskip(NEXT) | instid1(VALU_DEP_1)
	v_mul_hi_u32 v20, v11, v20
	v_add_nc_u32_e32 v11, v11, v20
	s_delay_alu instid0(VALU_DEP_1) | instskip(NEXT) | instid1(VALU_DEP_1)
	v_mul_hi_u32 v11, v18, v11
	v_mul_lo_u32 v20, v11, s8
	s_delay_alu instid0(VALU_DEP_1) | instskip(NEXT) | instid1(VALU_DEP_1)
	v_dual_add_nc_u32 v21, 1, v11 :: v_dual_sub_nc_u32 v20, v18, v20
	v_subrev_nc_u32_e32 v22, s8, v20
	v_cmp_le_u32_e32 vcc_lo, s8, v20
	s_delay_alu instid0(VALU_DEP_2) | instskip(NEXT) | instid1(VALU_DEP_1)
	v_dual_cndmask_b32 v20, v20, v22 :: v_dual_cndmask_b32 v11, v11, v21
	v_cmp_le_u32_e32 vcc_lo, s8, v20
	s_delay_alu instid0(VALU_DEP_2) | instskip(NEXT) | instid1(VALU_DEP_1)
	v_add_nc_u32_e32 v21, 1, v11
	v_dual_cndmask_b32 v20, v11, v21 :: v_dual_mov_b32 v21, v10
	s_or_b32 exec_lo, exec_lo, s1
	s_delay_alu instid0(SALU_CYCLE_1) | instskip(NEXT) | instid1(VALU_DEP_1)
	s_mov_b32 s1, exec_lo
	v_cmpx_ge_i64_e64 v[20:21], v[16:17]
	s_cbranch_execnz .LBB71_27
	s_branch .LBB71_28
.LBB71_52:
	s_endpgm
	.section	.rodata,"a",@progbits
	.p2align	6, 0x0
	.amdhsa_kernel _ZN9rocsparseL21csr2bsr_65_inf_kernelILj32EfllEEv20rocsparse_direction_T2_S2_S2_S2_S2_S2_21rocsparse_index_base_PKT0_PKT1_PKS2_S3_PS4_PS7_PS2_SD_SE_SC_
		.amdhsa_group_segment_fixed_size 0
		.amdhsa_private_segment_fixed_size 0
		.amdhsa_kernarg_size 144
		.amdhsa_user_sgpr_count 2
		.amdhsa_user_sgpr_dispatch_ptr 0
		.amdhsa_user_sgpr_queue_ptr 0
		.amdhsa_user_sgpr_kernarg_segment_ptr 1
		.amdhsa_user_sgpr_dispatch_id 0
		.amdhsa_user_sgpr_kernarg_preload_length 0
		.amdhsa_user_sgpr_kernarg_preload_offset 0
		.amdhsa_user_sgpr_private_segment_size 0
		.amdhsa_wavefront_size32 1
		.amdhsa_uses_dynamic_stack 0
		.amdhsa_enable_private_segment 0
		.amdhsa_system_sgpr_workgroup_id_x 1
		.amdhsa_system_sgpr_workgroup_id_y 0
		.amdhsa_system_sgpr_workgroup_id_z 0
		.amdhsa_system_sgpr_workgroup_info 0
		.amdhsa_system_vgpr_workitem_id 0
		.amdhsa_next_free_vgpr 56
		.amdhsa_next_free_sgpr 52
		.amdhsa_named_barrier_count 0
		.amdhsa_reserve_vcc 1
		.amdhsa_float_round_mode_32 0
		.amdhsa_float_round_mode_16_64 0
		.amdhsa_float_denorm_mode_32 3
		.amdhsa_float_denorm_mode_16_64 3
		.amdhsa_fp16_overflow 0
		.amdhsa_memory_ordered 1
		.amdhsa_forward_progress 1
		.amdhsa_inst_pref_size 39
		.amdhsa_round_robin_scheduling 0
		.amdhsa_exception_fp_ieee_invalid_op 0
		.amdhsa_exception_fp_denorm_src 0
		.amdhsa_exception_fp_ieee_div_zero 0
		.amdhsa_exception_fp_ieee_overflow 0
		.amdhsa_exception_fp_ieee_underflow 0
		.amdhsa_exception_fp_ieee_inexact 0
		.amdhsa_exception_int_div_zero 0
	.end_amdhsa_kernel
	.section	.text._ZN9rocsparseL21csr2bsr_65_inf_kernelILj32EfllEEv20rocsparse_direction_T2_S2_S2_S2_S2_S2_21rocsparse_index_base_PKT0_PKT1_PKS2_S3_PS4_PS7_PS2_SD_SE_SC_,"axG",@progbits,_ZN9rocsparseL21csr2bsr_65_inf_kernelILj32EfllEEv20rocsparse_direction_T2_S2_S2_S2_S2_S2_21rocsparse_index_base_PKT0_PKT1_PKS2_S3_PS4_PS7_PS2_SD_SE_SC_,comdat
.Lfunc_end71:
	.size	_ZN9rocsparseL21csr2bsr_65_inf_kernelILj32EfllEEv20rocsparse_direction_T2_S2_S2_S2_S2_S2_21rocsparse_index_base_PKT0_PKT1_PKS2_S3_PS4_PS7_PS2_SD_SE_SC_, .Lfunc_end71-_ZN9rocsparseL21csr2bsr_65_inf_kernelILj32EfllEEv20rocsparse_direction_T2_S2_S2_S2_S2_S2_21rocsparse_index_base_PKT0_PKT1_PKS2_S3_PS4_PS7_PS2_SD_SE_SC_
                                        ; -- End function
	.set _ZN9rocsparseL21csr2bsr_65_inf_kernelILj32EfllEEv20rocsparse_direction_T2_S2_S2_S2_S2_S2_21rocsparse_index_base_PKT0_PKT1_PKS2_S3_PS4_PS7_PS2_SD_SE_SC_.num_vgpr, 56
	.set _ZN9rocsparseL21csr2bsr_65_inf_kernelILj32EfllEEv20rocsparse_direction_T2_S2_S2_S2_S2_S2_21rocsparse_index_base_PKT0_PKT1_PKS2_S3_PS4_PS7_PS2_SD_SE_SC_.num_agpr, 0
	.set _ZN9rocsparseL21csr2bsr_65_inf_kernelILj32EfllEEv20rocsparse_direction_T2_S2_S2_S2_S2_S2_21rocsparse_index_base_PKT0_PKT1_PKS2_S3_PS4_PS7_PS2_SD_SE_SC_.numbered_sgpr, 52
	.set _ZN9rocsparseL21csr2bsr_65_inf_kernelILj32EfllEEv20rocsparse_direction_T2_S2_S2_S2_S2_S2_21rocsparse_index_base_PKT0_PKT1_PKS2_S3_PS4_PS7_PS2_SD_SE_SC_.num_named_barrier, 0
	.set _ZN9rocsparseL21csr2bsr_65_inf_kernelILj32EfllEEv20rocsparse_direction_T2_S2_S2_S2_S2_S2_21rocsparse_index_base_PKT0_PKT1_PKS2_S3_PS4_PS7_PS2_SD_SE_SC_.private_seg_size, 0
	.set _ZN9rocsparseL21csr2bsr_65_inf_kernelILj32EfllEEv20rocsparse_direction_T2_S2_S2_S2_S2_S2_21rocsparse_index_base_PKT0_PKT1_PKS2_S3_PS4_PS7_PS2_SD_SE_SC_.uses_vcc, 1
	.set _ZN9rocsparseL21csr2bsr_65_inf_kernelILj32EfllEEv20rocsparse_direction_T2_S2_S2_S2_S2_S2_21rocsparse_index_base_PKT0_PKT1_PKS2_S3_PS4_PS7_PS2_SD_SE_SC_.uses_flat_scratch, 0
	.set _ZN9rocsparseL21csr2bsr_65_inf_kernelILj32EfllEEv20rocsparse_direction_T2_S2_S2_S2_S2_S2_21rocsparse_index_base_PKT0_PKT1_PKS2_S3_PS4_PS7_PS2_SD_SE_SC_.has_dyn_sized_stack, 0
	.set _ZN9rocsparseL21csr2bsr_65_inf_kernelILj32EfllEEv20rocsparse_direction_T2_S2_S2_S2_S2_S2_21rocsparse_index_base_PKT0_PKT1_PKS2_S3_PS4_PS7_PS2_SD_SE_SC_.has_recursion, 0
	.set _ZN9rocsparseL21csr2bsr_65_inf_kernelILj32EfllEEv20rocsparse_direction_T2_S2_S2_S2_S2_S2_21rocsparse_index_base_PKT0_PKT1_PKS2_S3_PS4_PS7_PS2_SD_SE_SC_.has_indirect_call, 0
	.section	.AMDGPU.csdata,"",@progbits
; Kernel info:
; codeLenInByte = 4904
; TotalNumSgprs: 54
; NumVgprs: 56
; ScratchSize: 0
; MemoryBound: 0
; FloatMode: 240
; IeeeMode: 1
; LDSByteSize: 0 bytes/workgroup (compile time only)
; SGPRBlocks: 0
; VGPRBlocks: 3
; NumSGPRsForWavesPerEU: 54
; NumVGPRsForWavesPerEU: 56
; NamedBarCnt: 0
; Occupancy: 16
; WaveLimiterHint : 1
; COMPUTE_PGM_RSRC2:SCRATCH_EN: 0
; COMPUTE_PGM_RSRC2:USER_SGPR: 2
; COMPUTE_PGM_RSRC2:TRAP_HANDLER: 0
; COMPUTE_PGM_RSRC2:TGID_X_EN: 1
; COMPUTE_PGM_RSRC2:TGID_Y_EN: 0
; COMPUTE_PGM_RSRC2:TGID_Z_EN: 0
; COMPUTE_PGM_RSRC2:TIDIG_COMP_CNT: 0
	.section	.text._ZN9rocsparseL35csr2bsr_block_dim_equals_one_kernelILj256E21rocsparse_complex_numIfEiiEEvT2_S3_S3_S3_21rocsparse_index_base_PKT0_PKT1_PKS3_S4_PS5_PS8_PS3_,"axG",@progbits,_ZN9rocsparseL35csr2bsr_block_dim_equals_one_kernelILj256E21rocsparse_complex_numIfEiiEEvT2_S3_S3_S3_21rocsparse_index_base_PKT0_PKT1_PKS3_S4_PS5_PS8_PS3_,comdat
	.globl	_ZN9rocsparseL35csr2bsr_block_dim_equals_one_kernelILj256E21rocsparse_complex_numIfEiiEEvT2_S3_S3_S3_21rocsparse_index_base_PKT0_PKT1_PKS3_S4_PS5_PS8_PS3_ ; -- Begin function _ZN9rocsparseL35csr2bsr_block_dim_equals_one_kernelILj256E21rocsparse_complex_numIfEiiEEvT2_S3_S3_S3_21rocsparse_index_base_PKT0_PKT1_PKS3_S4_PS5_PS8_PS3_
	.p2align	8
	.type	_ZN9rocsparseL35csr2bsr_block_dim_equals_one_kernelILj256E21rocsparse_complex_numIfEiiEEvT2_S3_S3_S3_21rocsparse_index_base_PKT0_PKT1_PKS3_S4_PS5_PS8_PS3_,@function
_ZN9rocsparseL35csr2bsr_block_dim_equals_one_kernelILj256E21rocsparse_complex_numIfEiiEEvT2_S3_S3_S3_21rocsparse_index_base_PKT0_PKT1_PKS3_S4_PS5_PS8_PS3_: ; @_ZN9rocsparseL35csr2bsr_block_dim_equals_one_kernelILj256E21rocsparse_complex_numIfEiiEEvT2_S3_S3_S3_21rocsparse_index_base_PKT0_PKT1_PKS3_S4_PS5_PS8_PS3_
; %bb.0:
	s_clause 0x1
	s_load_b32 s2, s[0:1], 0x0
	s_load_b128 s[4:7], s[0:1], 0x18
	s_bfe_u32 s3, ttmp6, 0x4000c
	s_and_b32 s8, ttmp6, 15
	s_add_co_i32 s3, s3, 1
	s_getreg_b32 s9, hwreg(HW_REG_IB_STS2, 6, 4)
	s_mul_i32 s3, ttmp9, s3
	s_delay_alu instid0(SALU_CYCLE_1)
	s_add_co_i32 s8, s8, s3
	s_wait_kmcnt 0x0
	s_ashr_i32 s3, s2, 31
	s_cmp_eq_u32 s9, 0
	s_cselect_b32 s8, ttmp9, s8
	s_lshl_b64 s[2:3], s[2:3], 2
	v_lshl_or_b32 v0, s8, 8, v0
	s_add_nc_u64 s[2:3], s[6:7], s[2:3]
	s_clause 0x1
	s_load_b32 s9, s[2:3], 0x0
	s_load_b32 s10, s[6:7], 0x0
	s_wait_xcnt 0x0
	s_mov_b32 s7, 0
	s_mov_b32 s2, exec_lo
	s_wait_kmcnt 0x0
	s_sub_co_i32 s6, s9, s10
	s_delay_alu instid0(SALU_CYCLE_1)
	v_cmpx_gt_i32_e64 s6, v0
	s_cbranch_execz .LBB72_3
; %bb.1:
	s_clause 0x3
	s_load_b96 s[8:10], s[0:1], 0x28
	s_load_b64 s[2:3], s[0:1], 0x38
	s_load_b32 s11, s[0:1], 0x10
	s_load_b96 s[12:14], s[0:1], 0x48
	s_wait_kmcnt 0x0
	s_sub_co_i32 s0, s10, s11
	s_lshl_b32 s1, s14, 8
.LBB72_2:                               ; =>This Inner Loop Header: Depth=1
	global_load_b32 v1, v0, s[8:9] scale_offset
	s_wait_loadcnt 0x0
	v_add_nc_u32_e32 v1, s0, v1
	s_clause 0x1
	global_store_b32 v0, v1, s[12:13] scale_offset
	global_load_b64 v[2:3], v0, s[4:5] scale_offset
	s_wait_loadcnt 0x0
	global_store_b64 v0, v[2:3], s[2:3] scale_offset
	s_wait_xcnt 0x0
	v_add_nc_u32_e32 v0, s1, v0
	s_delay_alu instid0(VALU_DEP_1) | instskip(SKIP_1) | instid1(SALU_CYCLE_1)
	v_cmp_le_i32_e32 vcc_lo, s6, v0
	s_or_b32 s7, vcc_lo, s7
	s_and_not1_b32 exec_lo, exec_lo, s7
	s_cbranch_execnz .LBB72_2
.LBB72_3:
	s_endpgm
	.section	.rodata,"a",@progbits
	.p2align	6, 0x0
	.amdhsa_kernel _ZN9rocsparseL35csr2bsr_block_dim_equals_one_kernelILj256E21rocsparse_complex_numIfEiiEEvT2_S3_S3_S3_21rocsparse_index_base_PKT0_PKT1_PKS3_S4_PS5_PS8_PS3_
		.amdhsa_group_segment_fixed_size 0
		.amdhsa_private_segment_fixed_size 0
		.amdhsa_kernarg_size 336
		.amdhsa_user_sgpr_count 2
		.amdhsa_user_sgpr_dispatch_ptr 0
		.amdhsa_user_sgpr_queue_ptr 0
		.amdhsa_user_sgpr_kernarg_segment_ptr 1
		.amdhsa_user_sgpr_dispatch_id 0
		.amdhsa_user_sgpr_kernarg_preload_length 0
		.amdhsa_user_sgpr_kernarg_preload_offset 0
		.amdhsa_user_sgpr_private_segment_size 0
		.amdhsa_wavefront_size32 1
		.amdhsa_uses_dynamic_stack 0
		.amdhsa_enable_private_segment 0
		.amdhsa_system_sgpr_workgroup_id_x 1
		.amdhsa_system_sgpr_workgroup_id_y 0
		.amdhsa_system_sgpr_workgroup_id_z 0
		.amdhsa_system_sgpr_workgroup_info 0
		.amdhsa_system_vgpr_workitem_id 0
		.amdhsa_next_free_vgpr 4
		.amdhsa_next_free_sgpr 15
		.amdhsa_named_barrier_count 0
		.amdhsa_reserve_vcc 1
		.amdhsa_float_round_mode_32 0
		.amdhsa_float_round_mode_16_64 0
		.amdhsa_float_denorm_mode_32 3
		.amdhsa_float_denorm_mode_16_64 3
		.amdhsa_fp16_overflow 0
		.amdhsa_memory_ordered 1
		.amdhsa_forward_progress 1
		.amdhsa_inst_pref_size 3
		.amdhsa_round_robin_scheduling 0
		.amdhsa_exception_fp_ieee_invalid_op 0
		.amdhsa_exception_fp_denorm_src 0
		.amdhsa_exception_fp_ieee_div_zero 0
		.amdhsa_exception_fp_ieee_overflow 0
		.amdhsa_exception_fp_ieee_underflow 0
		.amdhsa_exception_fp_ieee_inexact 0
		.amdhsa_exception_int_div_zero 0
	.end_amdhsa_kernel
	.section	.text._ZN9rocsparseL35csr2bsr_block_dim_equals_one_kernelILj256E21rocsparse_complex_numIfEiiEEvT2_S3_S3_S3_21rocsparse_index_base_PKT0_PKT1_PKS3_S4_PS5_PS8_PS3_,"axG",@progbits,_ZN9rocsparseL35csr2bsr_block_dim_equals_one_kernelILj256E21rocsparse_complex_numIfEiiEEvT2_S3_S3_S3_21rocsparse_index_base_PKT0_PKT1_PKS3_S4_PS5_PS8_PS3_,comdat
.Lfunc_end72:
	.size	_ZN9rocsparseL35csr2bsr_block_dim_equals_one_kernelILj256E21rocsparse_complex_numIfEiiEEvT2_S3_S3_S3_21rocsparse_index_base_PKT0_PKT1_PKS3_S4_PS5_PS8_PS3_, .Lfunc_end72-_ZN9rocsparseL35csr2bsr_block_dim_equals_one_kernelILj256E21rocsparse_complex_numIfEiiEEvT2_S3_S3_S3_21rocsparse_index_base_PKT0_PKT1_PKS3_S4_PS5_PS8_PS3_
                                        ; -- End function
	.set _ZN9rocsparseL35csr2bsr_block_dim_equals_one_kernelILj256E21rocsparse_complex_numIfEiiEEvT2_S3_S3_S3_21rocsparse_index_base_PKT0_PKT1_PKS3_S4_PS5_PS8_PS3_.num_vgpr, 4
	.set _ZN9rocsparseL35csr2bsr_block_dim_equals_one_kernelILj256E21rocsparse_complex_numIfEiiEEvT2_S3_S3_S3_21rocsparse_index_base_PKT0_PKT1_PKS3_S4_PS5_PS8_PS3_.num_agpr, 0
	.set _ZN9rocsparseL35csr2bsr_block_dim_equals_one_kernelILj256E21rocsparse_complex_numIfEiiEEvT2_S3_S3_S3_21rocsparse_index_base_PKT0_PKT1_PKS3_S4_PS5_PS8_PS3_.numbered_sgpr, 15
	.set _ZN9rocsparseL35csr2bsr_block_dim_equals_one_kernelILj256E21rocsparse_complex_numIfEiiEEvT2_S3_S3_S3_21rocsparse_index_base_PKT0_PKT1_PKS3_S4_PS5_PS8_PS3_.num_named_barrier, 0
	.set _ZN9rocsparseL35csr2bsr_block_dim_equals_one_kernelILj256E21rocsparse_complex_numIfEiiEEvT2_S3_S3_S3_21rocsparse_index_base_PKT0_PKT1_PKS3_S4_PS5_PS8_PS3_.private_seg_size, 0
	.set _ZN9rocsparseL35csr2bsr_block_dim_equals_one_kernelILj256E21rocsparse_complex_numIfEiiEEvT2_S3_S3_S3_21rocsparse_index_base_PKT0_PKT1_PKS3_S4_PS5_PS8_PS3_.uses_vcc, 1
	.set _ZN9rocsparseL35csr2bsr_block_dim_equals_one_kernelILj256E21rocsparse_complex_numIfEiiEEvT2_S3_S3_S3_21rocsparse_index_base_PKT0_PKT1_PKS3_S4_PS5_PS8_PS3_.uses_flat_scratch, 0
	.set _ZN9rocsparseL35csr2bsr_block_dim_equals_one_kernelILj256E21rocsparse_complex_numIfEiiEEvT2_S3_S3_S3_21rocsparse_index_base_PKT0_PKT1_PKS3_S4_PS5_PS8_PS3_.has_dyn_sized_stack, 0
	.set _ZN9rocsparseL35csr2bsr_block_dim_equals_one_kernelILj256E21rocsparse_complex_numIfEiiEEvT2_S3_S3_S3_21rocsparse_index_base_PKT0_PKT1_PKS3_S4_PS5_PS8_PS3_.has_recursion, 0
	.set _ZN9rocsparseL35csr2bsr_block_dim_equals_one_kernelILj256E21rocsparse_complex_numIfEiiEEvT2_S3_S3_S3_21rocsparse_index_base_PKT0_PKT1_PKS3_S4_PS5_PS8_PS3_.has_indirect_call, 0
	.section	.AMDGPU.csdata,"",@progbits
; Kernel info:
; codeLenInByte = 284
; TotalNumSgprs: 17
; NumVgprs: 4
; ScratchSize: 0
; MemoryBound: 0
; FloatMode: 240
; IeeeMode: 1
; LDSByteSize: 0 bytes/workgroup (compile time only)
; SGPRBlocks: 0
; VGPRBlocks: 0
; NumSGPRsForWavesPerEU: 17
; NumVGPRsForWavesPerEU: 4
; NamedBarCnt: 0
; Occupancy: 16
; WaveLimiterHint : 0
; COMPUTE_PGM_RSRC2:SCRATCH_EN: 0
; COMPUTE_PGM_RSRC2:USER_SGPR: 2
; COMPUTE_PGM_RSRC2:TRAP_HANDLER: 0
; COMPUTE_PGM_RSRC2:TGID_X_EN: 1
; COMPUTE_PGM_RSRC2:TGID_Y_EN: 0
; COMPUTE_PGM_RSRC2:TGID_Z_EN: 0
; COMPUTE_PGM_RSRC2:TIDIG_COMP_CNT: 0
	.section	.text._ZN9rocsparseL42csr2bsr_wavefront_per_row_multipass_kernelILj256ELj16ELj4E21rocsparse_complex_numIfEiiEEv20rocsparse_direction_T4_S4_S4_S4_S4_21rocsparse_index_base_PKT2_PKT3_PKS4_S5_PS6_PS9_PS4_,"axG",@progbits,_ZN9rocsparseL42csr2bsr_wavefront_per_row_multipass_kernelILj256ELj16ELj4E21rocsparse_complex_numIfEiiEEv20rocsparse_direction_T4_S4_S4_S4_S4_21rocsparse_index_base_PKT2_PKT3_PKS4_S5_PS6_PS9_PS4_,comdat
	.globl	_ZN9rocsparseL42csr2bsr_wavefront_per_row_multipass_kernelILj256ELj16ELj4E21rocsparse_complex_numIfEiiEEv20rocsparse_direction_T4_S4_S4_S4_S4_21rocsparse_index_base_PKT2_PKT3_PKS4_S5_PS6_PS9_PS4_ ; -- Begin function _ZN9rocsparseL42csr2bsr_wavefront_per_row_multipass_kernelILj256ELj16ELj4E21rocsparse_complex_numIfEiiEEv20rocsparse_direction_T4_S4_S4_S4_S4_21rocsparse_index_base_PKT2_PKT3_PKS4_S5_PS6_PS9_PS4_
	.p2align	8
	.type	_ZN9rocsparseL42csr2bsr_wavefront_per_row_multipass_kernelILj256ELj16ELj4E21rocsparse_complex_numIfEiiEEv20rocsparse_direction_T4_S4_S4_S4_S4_21rocsparse_index_base_PKT2_PKT3_PKS4_S5_PS6_PS9_PS4_,@function
_ZN9rocsparseL42csr2bsr_wavefront_per_row_multipass_kernelILj256ELj16ELj4E21rocsparse_complex_numIfEiiEEv20rocsparse_direction_T4_S4_S4_S4_S4_21rocsparse_index_base_PKT2_PKT3_PKS4_S5_PS6_PS9_PS4_: ; @_ZN9rocsparseL42csr2bsr_wavefront_per_row_multipass_kernelILj256ELj16ELj4E21rocsparse_complex_numIfEiiEEv20rocsparse_direction_T4_S4_S4_S4_S4_21rocsparse_index_base_PKT2_PKT3_PKS4_S5_PS6_PS9_PS4_
; %bb.0:
	s_clause 0x1
	s_load_b128 s[4:7], s[0:1], 0xc
	s_load_b64 s[12:13], s[0:1], 0x0
	s_bfe_u32 s2, ttmp6, 0x4000c
	s_and_b32 s3, ttmp6, 15
	s_add_co_i32 s2, s2, 1
	s_getreg_b32 s8, hwreg(HW_REG_IB_STS2, 6, 4)
	s_mul_i32 s2, ttmp9, s2
	v_dual_lshrrev_b32 v14, 4, v0 :: v_dual_mov_b32 v2, 0
	s_add_co_i32 s3, s3, s2
	s_cmp_eq_u32 s8, 0
	v_bfe_u32 v3, v0, 2, 2
	s_cselect_b32 s2, ttmp9, s3
	s_load_b64 s[8:9], s[0:1], 0x28
	v_lshl_or_b32 v1, s2, 4, v14
	v_mov_b32_e32 v23, 0
	s_wait_kmcnt 0x0
	s_delay_alu instid0(VALU_DEP_2) | instskip(SKIP_1) | instid1(VALU_DEP_2)
	v_mad_u32 v4, v1, s6, v3
	v_cmp_gt_i32_e32 vcc_lo, s6, v3
	v_cmp_gt_i32_e64 s2, s13, v4
	s_and_b32 s2, vcc_lo, s2
	s_delay_alu instid0(SALU_CYCLE_1)
	s_and_saveexec_b32 s3, s2
	s_cbranch_execz .LBB73_2
; %bb.1:
	global_load_b32 v5, v4, s[8:9] scale_offset
	s_wait_loadcnt 0x0
	v_subrev_nc_u32_e32 v23, s7, v5
.LBB73_2:
	s_or_b32 exec_lo, exec_lo, s3
	v_mov_b32_e32 v15, 0
	s_and_saveexec_b32 s3, s2
	s_cbranch_execz .LBB73_4
; %bb.3:
	global_load_b32 v4, v4, s[8:9] offset:4 scale_offset
	s_wait_loadcnt 0x0
	v_subrev_nc_u32_e32 v15, s7, v4
.LBB73_4:
	s_or_b32 exec_lo, exec_lo, s3
	s_load_b32 s16, s[0:1], 0x38
	s_mov_b32 s3, exec_lo
	v_cmpx_gt_i32_e64 s4, v1
	s_cbranch_execz .LBB73_6
; %bb.5:
	s_load_b64 s[8:9], s[0:1], 0x48
	s_wait_kmcnt 0x0
	global_load_b32 v1, v1, s[8:9] scale_offset
	s_wait_loadcnt 0x0
	v_subrev_nc_u32_e32 v2, s16, v1
.LBB73_6:
	s_or_b32 exec_lo, exec_lo, s3
	s_cmp_lt_i32 s5, 1
	s_cbranch_scc1 .LBB73_24
; %bb.7:
	s_load_b64 s[18:19], s[0:1], 0x40
	v_dual_lshlrev_b32 v4, 5, v3 :: v_dual_bitop2_b32 v16, 3, v0 bitop3:0x40
	v_and_b32_e32 v1, 0xf0, v0
	v_mbcnt_lo_u32_b32 v10, -1, 0
	s_clause 0x2
	s_load_b64 s[2:3], s[0:1], 0x50
	s_load_b64 s[8:9], s[0:1], 0x30
	;; [unrolled: 1-line block ×3, first 2 shown]
	v_mul_lo_u32 v0, s6, v16
	v_lshlrev_b32_e32 v6, 3, v16
	v_lshl_or_b32 v17, v1, 3, v4
	v_dual_mov_b32 v1, 0 :: v_dual_bitop2_b32 v4, 2, v10 bitop3:0x14
	v_xor_b32_e32 v7, 1, v10
	s_wait_xcnt 0x0
	v_cmp_gt_u32_e64 s0, s6, v16
	s_mov_b32 s13, 0
	v_cmp_gt_i32_e64 s1, 32, v4
	v_dual_mov_b32 v26, 1 :: v_dual_bitop2_b32 v18, v17, v6 bitop3:0x54
	s_delay_alu instid0(VALU_DEP_2)
	v_dual_cndmask_b32 v8, v10, v4, s1 :: v_dual_bitop2_b32 v12, 8, v10 bitop3:0x14
	s_wait_kmcnt 0x0
	v_lshl_add_u64 v[4:5], v[0:1], 3, s[18:19]
	v_lshlrev_b32_e32 v0, 3, v3
	s_and_b32 s1, vcc_lo, s0
	v_cmp_gt_i32_e32 vcc_lo, 32, v7
	s_cmp_lg_u32 s12, 0
	v_lshlrev_b32_e32 v19, 2, v8
	s_cselect_b32 s4, -1, 0
	s_abs_i32 s17, s6
	v_add_nc_u64_e32 v[4:5], v[4:5], v[0:1]
	v_mul_lo_u32 v0, s6, v3
	v_cndmask_b32_e32 v7, v10, v7, vcc_lo
	s_cvt_f32_u32 s0, s17
	v_cmp_gt_i32_e32 vcc_lo, 32, v12
	v_lshlrev_b32_e32 v3, 2, v10
	s_mov_b32 s12, s6
	v_rcp_iflag_f32_e32 v11, s0
	v_dual_mov_b32 v7, v1 :: v_dual_lshlrev_b32 v20, 2, v7
	s_delay_alu instid0(VALU_DEP_2) | instskip(SKIP_3) | instid1(TRANS32_DEP_1)
	v_or_b32_e32 v21, 12, v3
	s_mul_u64 s[14:15], s[12:13], s[12:13]
	v_lshl_add_u64 v[8:9], v[0:1], 3, s[18:19]
	v_xor_b32_e32 v0, 4, v10
	v_readfirstlane_b32 s0, v11
	v_cndmask_b32_e32 v11, v10, v12, vcc_lo
	s_sub_co_i32 s12, 0, s17
	v_add_nc_u64_e32 v[6:7], v[8:9], v[6:7]
	v_cmp_gt_i32_e32 vcc_lo, 32, v0
	s_mul_f32 s0, s0, 0x4f7ffffe
	v_mov_b64_e32 v[8:9], 0
	v_lshlrev_b32_e32 v22, 2, v11
	s_ashr_i32 s18, s6, 31
	v_cndmask_b32_e32 v0, v10, v0, vcc_lo
	s_cvt_u32_f32 s0, s0
	v_dual_mov_b32 v3, 0 :: v_dual_bitop2_b32 v25, 60, v3 bitop3:0x54
	s_mov_b32 s19, s13
	s_delay_alu instid0(SALU_CYCLE_1) | instskip(SKIP_2) | instid1(SALU_CYCLE_1)
	s_mul_i32 s12, s12, s0
	v_lshlrev_b32_e32 v24, 2, v0
	s_mul_hi_u32 s12, s0, s12
	s_add_co_i32 s12, s0, s12
	s_branch .LBB73_10
.LBB73_8:                               ;   in Loop: Header=BB73_10 Depth=1
	s_wait_xcnt 0x0
	s_or_b32 exec_lo, exec_lo, s20
	v_mov_b32_e32 v0, 1
.LBB73_9:                               ;   in Loop: Header=BB73_10 Depth=1
	s_or_b32 exec_lo, exec_lo, s0
	ds_bpermute_b32 v3, v22, v27
	s_wait_storecnt_dscnt 0x0
	v_dual_add_nc_u32 v2, v0, v2 :: v_dual_min_i32 v3, v3, v27
	ds_bpermute_b32 v10, v24, v3
	s_wait_dscnt 0x0
	v_min_i32_e32 v3, v10, v3
	ds_bpermute_b32 v10, v19, v3
	s_wait_dscnt 0x0
	v_min_i32_e32 v3, v10, v3
	;; [unrolled: 3-line block ×3, first 2 shown]
	ds_bpermute_b32 v3, v25, v3
	s_wait_dscnt 0x0
	v_cmp_le_i32_e32 vcc_lo, s5, v3
	s_or_b32 s19, vcc_lo, s19
	s_delay_alu instid0(SALU_CYCLE_1)
	s_and_not1_b32 exec_lo, exec_lo, s19
	s_cbranch_execz .LBB73_24
.LBB73_10:                              ; =>This Loop Header: Depth=1
                                        ;     Child Loop BB73_13 Depth 2
	v_dual_mov_b32 v27, s5 :: v_dual_add_nc_u32 v10, v23, v16
	v_mov_b32_e32 v11, v15
	s_mov_b32 s20, exec_lo
	ds_store_b8 v14, v1 offset:2048
	ds_store_b64 v18, v[8:9]
	s_wait_dscnt 0x0
	v_cmpx_lt_i32_e64 v10, v15
	s_cbranch_execz .LBB73_18
; %bb.11:                               ;   in Loop: Header=BB73_10 Depth=1
	v_mul_lo_u32 v12, v3, s6
	v_dual_mov_b32 v27, s5 :: v_dual_mov_b32 v11, v15
	s_mov_b32 s21, 0
	s_branch .LBB73_13
.LBB73_12:                              ;   in Loop: Header=BB73_13 Depth=2
	s_wait_xcnt 0x0
	s_or_b32 exec_lo, exec_lo, s0
	v_add_nc_u32_e32 v10, 4, v10
	s_xor_b32 s22, vcc_lo, -1
	s_delay_alu instid0(VALU_DEP_1) | instskip(SKIP_1) | instid1(SALU_CYCLE_1)
	v_cmp_ge_i32_e64 s0, v10, v15
	s_or_b32 s0, s22, s0
	s_and_b32 s0, exec_lo, s0
	s_delay_alu instid0(SALU_CYCLE_1) | instskip(NEXT) | instid1(SALU_CYCLE_1)
	s_or_b32 s21, s0, s21
	s_and_not1_b32 exec_lo, exec_lo, s21
	s_cbranch_execz .LBB73_17
.LBB73_13:                              ;   Parent Loop BB73_10 Depth=1
                                        ; =>  This Inner Loop Header: Depth=2
	global_load_b32 v0, v10, s[8:9] scale_offset
	s_wait_loadcnt 0x0
	v_subrev_nc_u32_e32 v13, s7, v0
	s_delay_alu instid0(VALU_DEP_1) | instskip(NEXT) | instid1(VALU_DEP_1)
	v_sub_nc_u32_e32 v0, 0, v13
	v_max_i32_e32 v0, v13, v0
	s_delay_alu instid0(VALU_DEP_1) | instskip(NEXT) | instid1(VALU_DEP_1)
	v_mul_u64_e32 v[28:29], s[12:13], v[0:1]
	v_mul_lo_u32 v23, v29, s17
	s_delay_alu instid0(VALU_DEP_1) | instskip(NEXT) | instid1(VALU_DEP_1)
	v_dual_sub_nc_u32 v0, v0, v23 :: v_dual_add_nc_u32 v23, 1, v29
	v_cmp_le_u32_e32 vcc_lo, s17, v0
	s_delay_alu instid0(VALU_DEP_2) | instskip(SKIP_1) | instid1(VALU_DEP_1)
	v_dual_cndmask_b32 v23, v29, v23, vcc_lo :: v_dual_ashrrev_i32 v29, 31, v13
	v_subrev_nc_u32_e32 v28, s17, v0
	v_dual_cndmask_b32 v0, v0, v28, vcc_lo :: v_dual_add_nc_u32 v28, 1, v23
	s_delay_alu instid0(VALU_DEP_1) | instskip(NEXT) | instid1(VALU_DEP_2)
	v_cmp_le_u32_e32 vcc_lo, s17, v0
	v_dual_cndmask_b32 v0, v23, v28, vcc_lo :: v_dual_bitop2_b32 v29, s18, v29 bitop3:0x14
	s_delay_alu instid0(VALU_DEP_1) | instskip(NEXT) | instid1(VALU_DEP_1)
	v_xor_b32_e32 v0, v0, v29
	v_dual_mov_b32 v0, v11 :: v_dual_sub_nc_u32 v23, v0, v29
	s_delay_alu instid0(VALU_DEP_1) | instskip(SKIP_3) | instid1(SALU_CYCLE_1)
	v_cmp_ne_u32_e64 s0, v23, v3
	v_cmp_eq_u32_e32 vcc_lo, v23, v3
	s_wait_xcnt 0x0
	s_and_saveexec_b32 s22, s0
	s_xor_b32 s0, exec_lo, s22
; %bb.14:                               ;   in Loop: Header=BB73_13 Depth=2
	v_min_i32_e32 v27, v23, v27
                                        ; implicit-def: $vgpr13
                                        ; implicit-def: $vgpr0
; %bb.15:                               ;   in Loop: Header=BB73_13 Depth=2
	s_or_saveexec_b32 s0, s0
	v_mov_b32_e32 v11, v10
	s_xor_b32 exec_lo, exec_lo, s0
	s_cbranch_execz .LBB73_12
; %bb.16:                               ;   in Loop: Header=BB73_13 Depth=2
	v_ashrrev_i32_e32 v11, 31, v10
	s_delay_alu instid0(VALU_DEP_1)
	v_lshl_add_u64 v[28:29], v[10:11], 3, s[10:11]
	v_sub_nc_u32_e32 v11, v13, v12
	global_load_b64 v[28:29], v[28:29], off
	v_lshl_add_u32 v13, v11, 3, v17
	v_mov_b32_e32 v11, v0
	ds_store_b8 v14, v26 offset:2048
	s_wait_loadcnt 0x0
	ds_store_b64 v13, v[28:29]
	s_branch .LBB73_12
.LBB73_17:                              ;   in Loop: Header=BB73_10 Depth=1
	s_or_b32 exec_lo, exec_lo, s21
.LBB73_18:                              ;   in Loop: Header=BB73_10 Depth=1
	s_delay_alu instid0(SALU_CYCLE_1)
	s_or_b32 exec_lo, exec_lo, s20
	ds_bpermute_b32 v0, v19, v11
	s_wait_dscnt 0x0
	v_min_i32_e32 v0, v0, v11
	ds_load_u8 v11, v14 offset:2048
	ds_bpermute_b32 v10, v20, v0
	s_wait_dscnt 0x0
	v_min_i32_e32 v0, v10, v0
	ds_bpermute_b32 v23, v21, v0
	v_and_b32_e32 v0, 1, v11
	s_delay_alu instid0(VALU_DEP_1)
	v_cmp_eq_u32_e32 vcc_lo, 1, v0
	v_mov_b32_e32 v0, 0
	s_and_saveexec_b32 s0, vcc_lo
	s_cbranch_execz .LBB73_9
; %bb.19:                               ;   in Loop: Header=BB73_10 Depth=1
	v_add_nc_u32_e32 v0, s16, v3
	global_store_b32 v2, v0, s[2:3] scale_offset
	s_wait_xcnt 0x0
	s_and_saveexec_b32 s20, s1
	s_cbranch_execz .LBB73_8
; %bb.20:                               ;   in Loop: Header=BB73_10 Depth=1
	v_ashrrev_i32_e32 v3, 31, v2
	ds_load_b64 v[12:13], v18
	s_and_b32 vcc_lo, exec_lo, s4
	v_mul_u64_e32 v[10:11], s[14:15], v[2:3]
	s_cbranch_vccz .LBB73_22
; %bb.21:                               ;   in Loop: Header=BB73_10 Depth=1
	s_delay_alu instid0(VALU_DEP_1)
	v_lshl_add_u64 v[28:29], v[10:11], 3, v[4:5]
	s_wait_dscnt 0x0
	global_store_b64 v[28:29], v[12:13], off
	s_cbranch_execnz .LBB73_8
	s_branch .LBB73_23
.LBB73_22:                              ;   in Loop: Header=BB73_10 Depth=1
.LBB73_23:                              ;   in Loop: Header=BB73_10 Depth=1
	s_delay_alu instid0(VALU_DEP_1)
	v_lshl_add_u64 v[10:11], v[10:11], 3, v[6:7]
	s_wait_dscnt 0x0
	global_store_b64 v[10:11], v[12:13], off
	s_branch .LBB73_8
.LBB73_24:
	s_endpgm
	.section	.rodata,"a",@progbits
	.p2align	6, 0x0
	.amdhsa_kernel _ZN9rocsparseL42csr2bsr_wavefront_per_row_multipass_kernelILj256ELj16ELj4E21rocsparse_complex_numIfEiiEEv20rocsparse_direction_T4_S4_S4_S4_S4_21rocsparse_index_base_PKT2_PKT3_PKS4_S5_PS6_PS9_PS4_
		.amdhsa_group_segment_fixed_size 2064
		.amdhsa_private_segment_fixed_size 0
		.amdhsa_kernarg_size 88
		.amdhsa_user_sgpr_count 2
		.amdhsa_user_sgpr_dispatch_ptr 0
		.amdhsa_user_sgpr_queue_ptr 0
		.amdhsa_user_sgpr_kernarg_segment_ptr 1
		.amdhsa_user_sgpr_dispatch_id 0
		.amdhsa_user_sgpr_kernarg_preload_length 0
		.amdhsa_user_sgpr_kernarg_preload_offset 0
		.amdhsa_user_sgpr_private_segment_size 0
		.amdhsa_wavefront_size32 1
		.amdhsa_uses_dynamic_stack 0
		.amdhsa_enable_private_segment 0
		.amdhsa_system_sgpr_workgroup_id_x 1
		.amdhsa_system_sgpr_workgroup_id_y 0
		.amdhsa_system_sgpr_workgroup_id_z 0
		.amdhsa_system_sgpr_workgroup_info 0
		.amdhsa_system_vgpr_workitem_id 0
		.amdhsa_next_free_vgpr 30
		.amdhsa_next_free_sgpr 23
		.amdhsa_named_barrier_count 0
		.amdhsa_reserve_vcc 1
		.amdhsa_float_round_mode_32 0
		.amdhsa_float_round_mode_16_64 0
		.amdhsa_float_denorm_mode_32 3
		.amdhsa_float_denorm_mode_16_64 3
		.amdhsa_fp16_overflow 0
		.amdhsa_memory_ordered 1
		.amdhsa_forward_progress 1
		.amdhsa_inst_pref_size 11
		.amdhsa_round_robin_scheduling 0
		.amdhsa_exception_fp_ieee_invalid_op 0
		.amdhsa_exception_fp_denorm_src 0
		.amdhsa_exception_fp_ieee_div_zero 0
		.amdhsa_exception_fp_ieee_overflow 0
		.amdhsa_exception_fp_ieee_underflow 0
		.amdhsa_exception_fp_ieee_inexact 0
		.amdhsa_exception_int_div_zero 0
	.end_amdhsa_kernel
	.section	.text._ZN9rocsparseL42csr2bsr_wavefront_per_row_multipass_kernelILj256ELj16ELj4E21rocsparse_complex_numIfEiiEEv20rocsparse_direction_T4_S4_S4_S4_S4_21rocsparse_index_base_PKT2_PKT3_PKS4_S5_PS6_PS9_PS4_,"axG",@progbits,_ZN9rocsparseL42csr2bsr_wavefront_per_row_multipass_kernelILj256ELj16ELj4E21rocsparse_complex_numIfEiiEEv20rocsparse_direction_T4_S4_S4_S4_S4_21rocsparse_index_base_PKT2_PKT3_PKS4_S5_PS6_PS9_PS4_,comdat
.Lfunc_end73:
	.size	_ZN9rocsparseL42csr2bsr_wavefront_per_row_multipass_kernelILj256ELj16ELj4E21rocsparse_complex_numIfEiiEEv20rocsparse_direction_T4_S4_S4_S4_S4_21rocsparse_index_base_PKT2_PKT3_PKS4_S5_PS6_PS9_PS4_, .Lfunc_end73-_ZN9rocsparseL42csr2bsr_wavefront_per_row_multipass_kernelILj256ELj16ELj4E21rocsparse_complex_numIfEiiEEv20rocsparse_direction_T4_S4_S4_S4_S4_21rocsparse_index_base_PKT2_PKT3_PKS4_S5_PS6_PS9_PS4_
                                        ; -- End function
	.set _ZN9rocsparseL42csr2bsr_wavefront_per_row_multipass_kernelILj256ELj16ELj4E21rocsparse_complex_numIfEiiEEv20rocsparse_direction_T4_S4_S4_S4_S4_21rocsparse_index_base_PKT2_PKT3_PKS4_S5_PS6_PS9_PS4_.num_vgpr, 30
	.set _ZN9rocsparseL42csr2bsr_wavefront_per_row_multipass_kernelILj256ELj16ELj4E21rocsparse_complex_numIfEiiEEv20rocsparse_direction_T4_S4_S4_S4_S4_21rocsparse_index_base_PKT2_PKT3_PKS4_S5_PS6_PS9_PS4_.num_agpr, 0
	.set _ZN9rocsparseL42csr2bsr_wavefront_per_row_multipass_kernelILj256ELj16ELj4E21rocsparse_complex_numIfEiiEEv20rocsparse_direction_T4_S4_S4_S4_S4_21rocsparse_index_base_PKT2_PKT3_PKS4_S5_PS6_PS9_PS4_.numbered_sgpr, 23
	.set _ZN9rocsparseL42csr2bsr_wavefront_per_row_multipass_kernelILj256ELj16ELj4E21rocsparse_complex_numIfEiiEEv20rocsparse_direction_T4_S4_S4_S4_S4_21rocsparse_index_base_PKT2_PKT3_PKS4_S5_PS6_PS9_PS4_.num_named_barrier, 0
	.set _ZN9rocsparseL42csr2bsr_wavefront_per_row_multipass_kernelILj256ELj16ELj4E21rocsparse_complex_numIfEiiEEv20rocsparse_direction_T4_S4_S4_S4_S4_21rocsparse_index_base_PKT2_PKT3_PKS4_S5_PS6_PS9_PS4_.private_seg_size, 0
	.set _ZN9rocsparseL42csr2bsr_wavefront_per_row_multipass_kernelILj256ELj16ELj4E21rocsparse_complex_numIfEiiEEv20rocsparse_direction_T4_S4_S4_S4_S4_21rocsparse_index_base_PKT2_PKT3_PKS4_S5_PS6_PS9_PS4_.uses_vcc, 1
	.set _ZN9rocsparseL42csr2bsr_wavefront_per_row_multipass_kernelILj256ELj16ELj4E21rocsparse_complex_numIfEiiEEv20rocsparse_direction_T4_S4_S4_S4_S4_21rocsparse_index_base_PKT2_PKT3_PKS4_S5_PS6_PS9_PS4_.uses_flat_scratch, 0
	.set _ZN9rocsparseL42csr2bsr_wavefront_per_row_multipass_kernelILj256ELj16ELj4E21rocsparse_complex_numIfEiiEEv20rocsparse_direction_T4_S4_S4_S4_S4_21rocsparse_index_base_PKT2_PKT3_PKS4_S5_PS6_PS9_PS4_.has_dyn_sized_stack, 0
	.set _ZN9rocsparseL42csr2bsr_wavefront_per_row_multipass_kernelILj256ELj16ELj4E21rocsparse_complex_numIfEiiEEv20rocsparse_direction_T4_S4_S4_S4_S4_21rocsparse_index_base_PKT2_PKT3_PKS4_S5_PS6_PS9_PS4_.has_recursion, 0
	.set _ZN9rocsparseL42csr2bsr_wavefront_per_row_multipass_kernelILj256ELj16ELj4E21rocsparse_complex_numIfEiiEEv20rocsparse_direction_T4_S4_S4_S4_S4_21rocsparse_index_base_PKT2_PKT3_PKS4_S5_PS6_PS9_PS4_.has_indirect_call, 0
	.section	.AMDGPU.csdata,"",@progbits
; Kernel info:
; codeLenInByte = 1324
; TotalNumSgprs: 25
; NumVgprs: 30
; ScratchSize: 0
; MemoryBound: 0
; FloatMode: 240
; IeeeMode: 1
; LDSByteSize: 2064 bytes/workgroup (compile time only)
; SGPRBlocks: 0
; VGPRBlocks: 1
; NumSGPRsForWavesPerEU: 25
; NumVGPRsForWavesPerEU: 30
; NamedBarCnt: 0
; Occupancy: 16
; WaveLimiterHint : 0
; COMPUTE_PGM_RSRC2:SCRATCH_EN: 0
; COMPUTE_PGM_RSRC2:USER_SGPR: 2
; COMPUTE_PGM_RSRC2:TRAP_HANDLER: 0
; COMPUTE_PGM_RSRC2:TGID_X_EN: 1
; COMPUTE_PGM_RSRC2:TGID_Y_EN: 0
; COMPUTE_PGM_RSRC2:TGID_Z_EN: 0
; COMPUTE_PGM_RSRC2:TIDIG_COMP_CNT: 0
	.section	.text._ZN9rocsparseL42csr2bsr_wavefront_per_row_multipass_kernelILj256ELj64ELj8E21rocsparse_complex_numIfEiiEEv20rocsparse_direction_T4_S4_S4_S4_S4_21rocsparse_index_base_PKT2_PKT3_PKS4_S5_PS6_PS9_PS4_,"axG",@progbits,_ZN9rocsparseL42csr2bsr_wavefront_per_row_multipass_kernelILj256ELj64ELj8E21rocsparse_complex_numIfEiiEEv20rocsparse_direction_T4_S4_S4_S4_S4_21rocsparse_index_base_PKT2_PKT3_PKS4_S5_PS6_PS9_PS4_,comdat
	.globl	_ZN9rocsparseL42csr2bsr_wavefront_per_row_multipass_kernelILj256ELj64ELj8E21rocsparse_complex_numIfEiiEEv20rocsparse_direction_T4_S4_S4_S4_S4_21rocsparse_index_base_PKT2_PKT3_PKS4_S5_PS6_PS9_PS4_ ; -- Begin function _ZN9rocsparseL42csr2bsr_wavefront_per_row_multipass_kernelILj256ELj64ELj8E21rocsparse_complex_numIfEiiEEv20rocsparse_direction_T4_S4_S4_S4_S4_21rocsparse_index_base_PKT2_PKT3_PKS4_S5_PS6_PS9_PS4_
	.p2align	8
	.type	_ZN9rocsparseL42csr2bsr_wavefront_per_row_multipass_kernelILj256ELj64ELj8E21rocsparse_complex_numIfEiiEEv20rocsparse_direction_T4_S4_S4_S4_S4_21rocsparse_index_base_PKT2_PKT3_PKS4_S5_PS6_PS9_PS4_,@function
_ZN9rocsparseL42csr2bsr_wavefront_per_row_multipass_kernelILj256ELj64ELj8E21rocsparse_complex_numIfEiiEEv20rocsparse_direction_T4_S4_S4_S4_S4_21rocsparse_index_base_PKT2_PKT3_PKS4_S5_PS6_PS9_PS4_: ; @_ZN9rocsparseL42csr2bsr_wavefront_per_row_multipass_kernelILj256ELj64ELj8E21rocsparse_complex_numIfEiiEEv20rocsparse_direction_T4_S4_S4_S4_S4_21rocsparse_index_base_PKT2_PKT3_PKS4_S5_PS6_PS9_PS4_
; %bb.0:
	s_clause 0x1
	s_load_b128 s[4:7], s[0:1], 0xc
	s_load_b64 s[12:13], s[0:1], 0x0
	s_bfe_u32 s2, ttmp6, 0x4000c
	s_and_b32 s3, ttmp6, 15
	s_add_co_i32 s2, s2, 1
	s_getreg_b32 s8, hwreg(HW_REG_IB_STS2, 6, 4)
	s_mul_i32 s2, ttmp9, s2
	v_dual_lshrrev_b32 v14, 6, v0 :: v_dual_mov_b32 v2, 0
	s_add_co_i32 s3, s3, s2
	s_cmp_eq_u32 s8, 0
	v_bfe_u32 v3, v0, 3, 3
	s_cselect_b32 s2, ttmp9, s3
	s_load_b64 s[8:9], s[0:1], 0x28
	v_lshl_or_b32 v1, s2, 2, v14
	v_mov_b32_e32 v23, 0
	s_wait_kmcnt 0x0
	s_delay_alu instid0(VALU_DEP_2) | instskip(SKIP_1) | instid1(VALU_DEP_2)
	v_mad_u32 v4, v1, s6, v3
	v_cmp_gt_i32_e32 vcc_lo, s6, v3
	v_cmp_gt_i32_e64 s2, s13, v4
	s_and_b32 s2, vcc_lo, s2
	s_delay_alu instid0(SALU_CYCLE_1)
	s_and_saveexec_b32 s3, s2
	s_cbranch_execz .LBB74_2
; %bb.1:
	global_load_b32 v5, v4, s[8:9] scale_offset
	s_wait_loadcnt 0x0
	v_subrev_nc_u32_e32 v23, s7, v5
.LBB74_2:
	s_or_b32 exec_lo, exec_lo, s3
	v_mov_b32_e32 v15, 0
	s_and_saveexec_b32 s3, s2
	s_cbranch_execz .LBB74_4
; %bb.3:
	global_load_b32 v4, v4, s[8:9] offset:4 scale_offset
	s_wait_loadcnt 0x0
	v_subrev_nc_u32_e32 v15, s7, v4
.LBB74_4:
	s_or_b32 exec_lo, exec_lo, s3
	s_load_b32 s16, s[0:1], 0x38
	s_mov_b32 s3, exec_lo
	v_cmpx_gt_i32_e64 s4, v1
	s_cbranch_execz .LBB74_6
; %bb.5:
	s_load_b64 s[8:9], s[0:1], 0x48
	s_wait_kmcnt 0x0
	global_load_b32 v1, v1, s[8:9] scale_offset
	s_wait_loadcnt 0x0
	v_subrev_nc_u32_e32 v2, s16, v1
.LBB74_6:
	s_or_b32 exec_lo, exec_lo, s3
	s_cmp_lt_i32 s5, 1
	s_cbranch_scc1 .LBB74_24
; %bb.7:
	s_load_b64 s[14:15], s[0:1], 0x40
	v_dual_lshlrev_b32 v5, 6, v3 :: v_dual_bitop2_b32 v16, 7, v0 bitop3:0x40
	v_and_b32_e32 v4, 0xc0, v0
	v_mbcnt_lo_u32_b32 v10, -1, 0
	v_mov_b32_e32 v1, 0
	s_delay_alu instid0(VALU_DEP_4)
	v_mul_lo_u32 v0, s6, v16
	s_clause 0x2
	s_load_b64 s[2:3], s[0:1], 0x50
	s_load_b64 s[8:9], s[0:1], 0x30
	;; [unrolled: 1-line block ×3, first 2 shown]
	v_lshl_or_b32 v17, v4, 3, v5
	v_dual_lshlrev_b32 v6, 3, v16 :: v_dual_bitop2_b32 v4, 4, v10 bitop3:0x14
	v_xor_b32_e32 v7, 2, v10
	s_wait_xcnt 0x0
	v_cmp_gt_u32_e64 s0, s6, v16
	s_mov_b32 s13, 0
	v_cmp_gt_i32_e64 s1, 32, v4
	v_xor_b32_e32 v8, 1, v10
	v_lshl_or_b32 v22, v10, 2, 28
	v_bfrev_b32_e32 v27, 0.5
	s_mov_b32 s19, s13
	v_cndmask_b32_e64 v9, v10, v4, s1
	s_wait_kmcnt 0x0
	v_lshl_add_u64 v[4:5], v[0:1], 3, s[14:15]
	v_dual_lshlrev_b32 v0, 3, v3 :: v_dual_bitop2_b32 v18, v17, v6 bitop3:0x54
	v_cmp_gt_i32_e64 s1, 32, v7
	v_dual_mov_b32 v28, 1 :: v_dual_lshlrev_b32 v19, 2, v9
	s_delay_alu instid0(VALU_DEP_3) | instskip(SKIP_1) | instid1(VALU_DEP_4)
	v_add_nc_u64_e32 v[4:5], v[4:5], v[0:1]
	v_mul_lo_u32 v0, s6, v3
	v_cndmask_b32_e64 v7, v10, v7, s1
	v_cmp_gt_i32_e64 s1, 32, v8
	s_delay_alu instid0(VALU_DEP_1)
	v_dual_lshlrev_b32 v20, 2, v7 :: v_dual_cndmask_b32 v3, v10, v8, s1
	s_and_b32 s1, vcc_lo, s0
	s_cmp_lg_u32 s12, 0
	v_mov_b32_e32 v7, v1
	v_lshl_add_u64 v[8:9], v[0:1], 3, s[14:15]
	v_lshlrev_b32_e32 v21, 2, v3
	s_cselect_b32 s4, -1, 0
	s_abs_i32 s17, s6
	s_mov_b32 s12, s6
	s_cvt_f32_u32 s0, s17
	v_add_nc_u64_e32 v[6:7], v[8:9], v[6:7]
	v_xor_b32_e32 v9, 8, v10
	v_or_b32_e32 v3, 32, v10
	v_rcp_iflag_f32_e32 v0, s0
	s_mul_u64 s[14:15], s[12:13], s[12:13]
	s_sub_co_i32 s12, 0, s17
	s_ashr_i32 s18, s6, 31
	v_cmp_gt_i32_e32 vcc_lo, 32, v3
	v_xor_b32_e32 v8, 16, v10
	s_delay_alu instid0(TRANS32_DEP_1) | instskip(SKIP_1) | instid1(VALU_DEP_3)
	v_readfirstlane_b32 s0, v0
	v_cndmask_b32_e32 v0, v10, v3, vcc_lo
	v_cmp_gt_i32_e32 vcc_lo, 32, v8
	s_mul_f32 s0, s0, 0x4f7ffffe
	v_cndmask_b32_e32 v3, v10, v8, vcc_lo
	v_cmp_gt_i32_e32 vcc_lo, 32, v9
	s_delay_alu instid0(SALU_CYCLE_1) | instskip(NEXT) | instid1(VALU_DEP_2)
	s_cvt_u32_f32 s0, s0
	v_dual_lshlrev_b32 v24, 2, v0 :: v_dual_lshlrev_b32 v25, 2, v3
	v_cndmask_b32_e32 v8, v10, v9, vcc_lo
	s_delay_alu instid0(SALU_CYCLE_1) | instskip(SKIP_2) | instid1(VALU_DEP_2)
	s_mul_i32 s12, s12, s0
	v_mov_b32_e32 v3, 0
	s_mul_hi_u32 s12, s0, s12
	v_lshlrev_b32_e32 v26, 2, v8
	v_mov_b64_e32 v[8:9], 0
	s_add_co_i32 s12, s0, s12
	s_branch .LBB74_10
.LBB74_8:                               ;   in Loop: Header=BB74_10 Depth=1
	s_wait_xcnt 0x0
	s_or_b32 exec_lo, exec_lo, s20
	v_mov_b32_e32 v0, 1
.LBB74_9:                               ;   in Loop: Header=BB74_10 Depth=1
	s_or_b32 exec_lo, exec_lo, s0
	ds_bpermute_b32 v3, v24, v29
	s_wait_storecnt_dscnt 0x0
	v_dual_add_nc_u32 v2, v0, v2 :: v_dual_min_i32 v3, v3, v29
	ds_bpermute_b32 v10, v25, v3
	s_wait_dscnt 0x0
	v_min_i32_e32 v3, v10, v3
	ds_bpermute_b32 v10, v26, v3
	s_wait_dscnt 0x0
	v_min_i32_e32 v3, v10, v3
	;; [unrolled: 3-line block ×5, first 2 shown]
	ds_bpermute_b32 v3, v27, v3
	s_wait_dscnt 0x0
	v_cmp_le_i32_e32 vcc_lo, s5, v3
	s_or_b32 s19, vcc_lo, s19
	s_delay_alu instid0(SALU_CYCLE_1)
	s_and_not1_b32 exec_lo, exec_lo, s19
	s_cbranch_execz .LBB74_24
.LBB74_10:                              ; =>This Loop Header: Depth=1
                                        ;     Child Loop BB74_13 Depth 2
	v_dual_mov_b32 v29, s5 :: v_dual_add_nc_u32 v10, v23, v16
	v_mov_b32_e32 v11, v15
	s_mov_b32 s20, exec_lo
	ds_store_b8 v14, v1 offset:2048
	ds_store_b64 v18, v[8:9]
	s_wait_dscnt 0x0
	v_cmpx_lt_i32_e64 v10, v15
	s_cbranch_execz .LBB74_18
; %bb.11:                               ;   in Loop: Header=BB74_10 Depth=1
	v_mul_lo_u32 v12, v3, s6
	v_dual_mov_b32 v29, s5 :: v_dual_mov_b32 v11, v15
	s_mov_b32 s21, 0
	s_branch .LBB74_13
.LBB74_12:                              ;   in Loop: Header=BB74_13 Depth=2
	s_wait_xcnt 0x0
	s_or_b32 exec_lo, exec_lo, s0
	v_add_nc_u32_e32 v10, 8, v10
	s_xor_b32 s22, vcc_lo, -1
	s_delay_alu instid0(VALU_DEP_1) | instskip(SKIP_1) | instid1(SALU_CYCLE_1)
	v_cmp_ge_i32_e64 s0, v10, v15
	s_or_b32 s0, s22, s0
	s_and_b32 s0, exec_lo, s0
	s_delay_alu instid0(SALU_CYCLE_1) | instskip(NEXT) | instid1(SALU_CYCLE_1)
	s_or_b32 s21, s0, s21
	s_and_not1_b32 exec_lo, exec_lo, s21
	s_cbranch_execz .LBB74_17
.LBB74_13:                              ;   Parent Loop BB74_10 Depth=1
                                        ; =>  This Inner Loop Header: Depth=2
	global_load_b32 v0, v10, s[8:9] scale_offset
	s_wait_loadcnt 0x0
	v_subrev_nc_u32_e32 v13, s7, v0
	s_delay_alu instid0(VALU_DEP_1) | instskip(NEXT) | instid1(VALU_DEP_1)
	v_sub_nc_u32_e32 v0, 0, v13
	v_max_i32_e32 v0, v13, v0
	s_delay_alu instid0(VALU_DEP_1) | instskip(NEXT) | instid1(VALU_DEP_1)
	v_mul_u64_e32 v[30:31], s[12:13], v[0:1]
	v_mul_lo_u32 v23, v31, s17
	s_delay_alu instid0(VALU_DEP_1) | instskip(SKIP_1) | instid1(VALU_DEP_2)
	v_sub_nc_u32_e32 v0, v0, v23
	v_add_nc_u32_e32 v23, 1, v31
	v_cmp_le_u32_e32 vcc_lo, s17, v0
	s_delay_alu instid0(VALU_DEP_2) | instskip(SKIP_1) | instid1(VALU_DEP_1)
	v_dual_cndmask_b32 v23, v31, v23, vcc_lo :: v_dual_ashrrev_i32 v31, 31, v13
	v_subrev_nc_u32_e32 v30, s17, v0
	v_dual_cndmask_b32 v0, v0, v30, vcc_lo :: v_dual_add_nc_u32 v30, 1, v23
	s_delay_alu instid0(VALU_DEP_1) | instskip(NEXT) | instid1(VALU_DEP_2)
	v_cmp_le_u32_e32 vcc_lo, s17, v0
	v_dual_cndmask_b32 v0, v23, v30, vcc_lo :: v_dual_bitop2_b32 v31, s18, v31 bitop3:0x14
	s_delay_alu instid0(VALU_DEP_1) | instskip(NEXT) | instid1(VALU_DEP_1)
	v_xor_b32_e32 v0, v0, v31
	v_dual_mov_b32 v0, v11 :: v_dual_sub_nc_u32 v23, v0, v31
	s_delay_alu instid0(VALU_DEP_1) | instskip(SKIP_3) | instid1(SALU_CYCLE_1)
	v_cmp_ne_u32_e64 s0, v23, v3
	v_cmp_eq_u32_e32 vcc_lo, v23, v3
	s_wait_xcnt 0x0
	s_and_saveexec_b32 s22, s0
	s_xor_b32 s0, exec_lo, s22
; %bb.14:                               ;   in Loop: Header=BB74_13 Depth=2
	v_min_i32_e32 v29, v23, v29
                                        ; implicit-def: $vgpr13
                                        ; implicit-def: $vgpr0
; %bb.15:                               ;   in Loop: Header=BB74_13 Depth=2
	s_or_saveexec_b32 s0, s0
	v_mov_b32_e32 v11, v10
	s_xor_b32 exec_lo, exec_lo, s0
	s_cbranch_execz .LBB74_12
; %bb.16:                               ;   in Loop: Header=BB74_13 Depth=2
	v_ashrrev_i32_e32 v11, 31, v10
	s_delay_alu instid0(VALU_DEP_1)
	v_lshl_add_u64 v[30:31], v[10:11], 3, s[10:11]
	v_sub_nc_u32_e32 v11, v13, v12
	global_load_b64 v[30:31], v[30:31], off
	v_lshl_add_u32 v13, v11, 3, v17
	v_mov_b32_e32 v11, v0
	ds_store_b8 v14, v28 offset:2048
	s_wait_loadcnt 0x0
	ds_store_b64 v13, v[30:31]
	s_branch .LBB74_12
.LBB74_17:                              ;   in Loop: Header=BB74_10 Depth=1
	s_or_b32 exec_lo, exec_lo, s21
.LBB74_18:                              ;   in Loop: Header=BB74_10 Depth=1
	s_delay_alu instid0(SALU_CYCLE_1)
	s_or_b32 exec_lo, exec_lo, s20
	ds_bpermute_b32 v0, v19, v11
	s_wait_dscnt 0x0
	v_min_i32_e32 v0, v0, v11
	ds_load_u8 v11, v14 offset:2048
	ds_bpermute_b32 v10, v20, v0
	s_wait_dscnt 0x0
	v_min_i32_e32 v0, v10, v0
	ds_bpermute_b32 v10, v21, v0
	s_wait_dscnt 0x0
	v_min_i32_e32 v0, v10, v0
	ds_bpermute_b32 v23, v22, v0
	v_and_b32_e32 v0, 1, v11
	s_delay_alu instid0(VALU_DEP_1)
	v_cmp_eq_u32_e32 vcc_lo, 1, v0
	v_mov_b32_e32 v0, 0
	s_and_saveexec_b32 s0, vcc_lo
	s_cbranch_execz .LBB74_9
; %bb.19:                               ;   in Loop: Header=BB74_10 Depth=1
	v_add_nc_u32_e32 v0, s16, v3
	global_store_b32 v2, v0, s[2:3] scale_offset
	s_wait_xcnt 0x0
	s_and_saveexec_b32 s20, s1
	s_cbranch_execz .LBB74_8
; %bb.20:                               ;   in Loop: Header=BB74_10 Depth=1
	v_ashrrev_i32_e32 v3, 31, v2
	ds_load_b64 v[12:13], v18
	s_and_b32 vcc_lo, exec_lo, s4
	v_mul_u64_e32 v[10:11], s[14:15], v[2:3]
	s_cbranch_vccz .LBB74_22
; %bb.21:                               ;   in Loop: Header=BB74_10 Depth=1
	s_delay_alu instid0(VALU_DEP_1)
	v_lshl_add_u64 v[30:31], v[10:11], 3, v[4:5]
	s_wait_dscnt 0x0
	global_store_b64 v[30:31], v[12:13], off
	s_cbranch_execnz .LBB74_8
	s_branch .LBB74_23
.LBB74_22:                              ;   in Loop: Header=BB74_10 Depth=1
.LBB74_23:                              ;   in Loop: Header=BB74_10 Depth=1
	s_delay_alu instid0(VALU_DEP_1)
	v_lshl_add_u64 v[10:11], v[10:11], 3, v[6:7]
	s_wait_dscnt 0x0
	global_store_b64 v[10:11], v[12:13], off
	s_branch .LBB74_8
.LBB74_24:
	s_endpgm
	.section	.rodata,"a",@progbits
	.p2align	6, 0x0
	.amdhsa_kernel _ZN9rocsparseL42csr2bsr_wavefront_per_row_multipass_kernelILj256ELj64ELj8E21rocsparse_complex_numIfEiiEEv20rocsparse_direction_T4_S4_S4_S4_S4_21rocsparse_index_base_PKT2_PKT3_PKS4_S5_PS6_PS9_PS4_
		.amdhsa_group_segment_fixed_size 2052
		.amdhsa_private_segment_fixed_size 0
		.amdhsa_kernarg_size 88
		.amdhsa_user_sgpr_count 2
		.amdhsa_user_sgpr_dispatch_ptr 0
		.amdhsa_user_sgpr_queue_ptr 0
		.amdhsa_user_sgpr_kernarg_segment_ptr 1
		.amdhsa_user_sgpr_dispatch_id 0
		.amdhsa_user_sgpr_kernarg_preload_length 0
		.amdhsa_user_sgpr_kernarg_preload_offset 0
		.amdhsa_user_sgpr_private_segment_size 0
		.amdhsa_wavefront_size32 1
		.amdhsa_uses_dynamic_stack 0
		.amdhsa_enable_private_segment 0
		.amdhsa_system_sgpr_workgroup_id_x 1
		.amdhsa_system_sgpr_workgroup_id_y 0
		.amdhsa_system_sgpr_workgroup_id_z 0
		.amdhsa_system_sgpr_workgroup_info 0
		.amdhsa_system_vgpr_workitem_id 0
		.amdhsa_next_free_vgpr 32
		.amdhsa_next_free_sgpr 23
		.amdhsa_named_barrier_count 0
		.amdhsa_reserve_vcc 1
		.amdhsa_float_round_mode_32 0
		.amdhsa_float_round_mode_16_64 0
		.amdhsa_float_denorm_mode_32 3
		.amdhsa_float_denorm_mode_16_64 3
		.amdhsa_fp16_overflow 0
		.amdhsa_memory_ordered 1
		.amdhsa_forward_progress 1
		.amdhsa_inst_pref_size 12
		.amdhsa_round_robin_scheduling 0
		.amdhsa_exception_fp_ieee_invalid_op 0
		.amdhsa_exception_fp_denorm_src 0
		.amdhsa_exception_fp_ieee_div_zero 0
		.amdhsa_exception_fp_ieee_overflow 0
		.amdhsa_exception_fp_ieee_underflow 0
		.amdhsa_exception_fp_ieee_inexact 0
		.amdhsa_exception_int_div_zero 0
	.end_amdhsa_kernel
	.section	.text._ZN9rocsparseL42csr2bsr_wavefront_per_row_multipass_kernelILj256ELj64ELj8E21rocsparse_complex_numIfEiiEEv20rocsparse_direction_T4_S4_S4_S4_S4_21rocsparse_index_base_PKT2_PKT3_PKS4_S5_PS6_PS9_PS4_,"axG",@progbits,_ZN9rocsparseL42csr2bsr_wavefront_per_row_multipass_kernelILj256ELj64ELj8E21rocsparse_complex_numIfEiiEEv20rocsparse_direction_T4_S4_S4_S4_S4_21rocsparse_index_base_PKT2_PKT3_PKS4_S5_PS6_PS9_PS4_,comdat
.Lfunc_end74:
	.size	_ZN9rocsparseL42csr2bsr_wavefront_per_row_multipass_kernelILj256ELj64ELj8E21rocsparse_complex_numIfEiiEEv20rocsparse_direction_T4_S4_S4_S4_S4_21rocsparse_index_base_PKT2_PKT3_PKS4_S5_PS6_PS9_PS4_, .Lfunc_end74-_ZN9rocsparseL42csr2bsr_wavefront_per_row_multipass_kernelILj256ELj64ELj8E21rocsparse_complex_numIfEiiEEv20rocsparse_direction_T4_S4_S4_S4_S4_21rocsparse_index_base_PKT2_PKT3_PKS4_S5_PS6_PS9_PS4_
                                        ; -- End function
	.set _ZN9rocsparseL42csr2bsr_wavefront_per_row_multipass_kernelILj256ELj64ELj8E21rocsparse_complex_numIfEiiEEv20rocsparse_direction_T4_S4_S4_S4_S4_21rocsparse_index_base_PKT2_PKT3_PKS4_S5_PS6_PS9_PS4_.num_vgpr, 32
	.set _ZN9rocsparseL42csr2bsr_wavefront_per_row_multipass_kernelILj256ELj64ELj8E21rocsparse_complex_numIfEiiEEv20rocsparse_direction_T4_S4_S4_S4_S4_21rocsparse_index_base_PKT2_PKT3_PKS4_S5_PS6_PS9_PS4_.num_agpr, 0
	.set _ZN9rocsparseL42csr2bsr_wavefront_per_row_multipass_kernelILj256ELj64ELj8E21rocsparse_complex_numIfEiiEEv20rocsparse_direction_T4_S4_S4_S4_S4_21rocsparse_index_base_PKT2_PKT3_PKS4_S5_PS6_PS9_PS4_.numbered_sgpr, 23
	.set _ZN9rocsparseL42csr2bsr_wavefront_per_row_multipass_kernelILj256ELj64ELj8E21rocsparse_complex_numIfEiiEEv20rocsparse_direction_T4_S4_S4_S4_S4_21rocsparse_index_base_PKT2_PKT3_PKS4_S5_PS6_PS9_PS4_.num_named_barrier, 0
	.set _ZN9rocsparseL42csr2bsr_wavefront_per_row_multipass_kernelILj256ELj64ELj8E21rocsparse_complex_numIfEiiEEv20rocsparse_direction_T4_S4_S4_S4_S4_21rocsparse_index_base_PKT2_PKT3_PKS4_S5_PS6_PS9_PS4_.private_seg_size, 0
	.set _ZN9rocsparseL42csr2bsr_wavefront_per_row_multipass_kernelILj256ELj64ELj8E21rocsparse_complex_numIfEiiEEv20rocsparse_direction_T4_S4_S4_S4_S4_21rocsparse_index_base_PKT2_PKT3_PKS4_S5_PS6_PS9_PS4_.uses_vcc, 1
	.set _ZN9rocsparseL42csr2bsr_wavefront_per_row_multipass_kernelILj256ELj64ELj8E21rocsparse_complex_numIfEiiEEv20rocsparse_direction_T4_S4_S4_S4_S4_21rocsparse_index_base_PKT2_PKT3_PKS4_S5_PS6_PS9_PS4_.uses_flat_scratch, 0
	.set _ZN9rocsparseL42csr2bsr_wavefront_per_row_multipass_kernelILj256ELj64ELj8E21rocsparse_complex_numIfEiiEEv20rocsparse_direction_T4_S4_S4_S4_S4_21rocsparse_index_base_PKT2_PKT3_PKS4_S5_PS6_PS9_PS4_.has_dyn_sized_stack, 0
	.set _ZN9rocsparseL42csr2bsr_wavefront_per_row_multipass_kernelILj256ELj64ELj8E21rocsparse_complex_numIfEiiEEv20rocsparse_direction_T4_S4_S4_S4_S4_21rocsparse_index_base_PKT2_PKT3_PKS4_S5_PS6_PS9_PS4_.has_recursion, 0
	.set _ZN9rocsparseL42csr2bsr_wavefront_per_row_multipass_kernelILj256ELj64ELj8E21rocsparse_complex_numIfEiiEEv20rocsparse_direction_T4_S4_S4_S4_S4_21rocsparse_index_base_PKT2_PKT3_PKS4_S5_PS6_PS9_PS4_.has_indirect_call, 0
	.section	.AMDGPU.csdata,"",@progbits
; Kernel info:
; codeLenInByte = 1428
; TotalNumSgprs: 25
; NumVgprs: 32
; ScratchSize: 0
; MemoryBound: 0
; FloatMode: 240
; IeeeMode: 1
; LDSByteSize: 2052 bytes/workgroup (compile time only)
; SGPRBlocks: 0
; VGPRBlocks: 1
; NumSGPRsForWavesPerEU: 25
; NumVGPRsForWavesPerEU: 32
; NamedBarCnt: 0
; Occupancy: 16
; WaveLimiterHint : 0
; COMPUTE_PGM_RSRC2:SCRATCH_EN: 0
; COMPUTE_PGM_RSRC2:USER_SGPR: 2
; COMPUTE_PGM_RSRC2:TRAP_HANDLER: 0
; COMPUTE_PGM_RSRC2:TGID_X_EN: 1
; COMPUTE_PGM_RSRC2:TGID_Y_EN: 0
; COMPUTE_PGM_RSRC2:TGID_Z_EN: 0
; COMPUTE_PGM_RSRC2:TIDIG_COMP_CNT: 0
	.section	.text._ZN9rocsparseL42csr2bsr_wavefront_per_row_multipass_kernelILj256ELj32ELj8E21rocsparse_complex_numIfEiiEEv20rocsparse_direction_T4_S4_S4_S4_S4_21rocsparse_index_base_PKT2_PKT3_PKS4_S5_PS6_PS9_PS4_,"axG",@progbits,_ZN9rocsparseL42csr2bsr_wavefront_per_row_multipass_kernelILj256ELj32ELj8E21rocsparse_complex_numIfEiiEEv20rocsparse_direction_T4_S4_S4_S4_S4_21rocsparse_index_base_PKT2_PKT3_PKS4_S5_PS6_PS9_PS4_,comdat
	.globl	_ZN9rocsparseL42csr2bsr_wavefront_per_row_multipass_kernelILj256ELj32ELj8E21rocsparse_complex_numIfEiiEEv20rocsparse_direction_T4_S4_S4_S4_S4_21rocsparse_index_base_PKT2_PKT3_PKS4_S5_PS6_PS9_PS4_ ; -- Begin function _ZN9rocsparseL42csr2bsr_wavefront_per_row_multipass_kernelILj256ELj32ELj8E21rocsparse_complex_numIfEiiEEv20rocsparse_direction_T4_S4_S4_S4_S4_21rocsparse_index_base_PKT2_PKT3_PKS4_S5_PS6_PS9_PS4_
	.p2align	8
	.type	_ZN9rocsparseL42csr2bsr_wavefront_per_row_multipass_kernelILj256ELj32ELj8E21rocsparse_complex_numIfEiiEEv20rocsparse_direction_T4_S4_S4_S4_S4_21rocsparse_index_base_PKT2_PKT3_PKS4_S5_PS6_PS9_PS4_,@function
_ZN9rocsparseL42csr2bsr_wavefront_per_row_multipass_kernelILj256ELj32ELj8E21rocsparse_complex_numIfEiiEEv20rocsparse_direction_T4_S4_S4_S4_S4_21rocsparse_index_base_PKT2_PKT3_PKS4_S5_PS6_PS9_PS4_: ; @_ZN9rocsparseL42csr2bsr_wavefront_per_row_multipass_kernelILj256ELj32ELj8E21rocsparse_complex_numIfEiiEEv20rocsparse_direction_T4_S4_S4_S4_S4_21rocsparse_index_base_PKT2_PKT3_PKS4_S5_PS6_PS9_PS4_
; %bb.0:
	s_clause 0x1
	s_load_b128 s[4:7], s[0:1], 0xc
	s_load_b64 s[12:13], s[0:1], 0x0
	s_bfe_u32 s2, ttmp6, 0x4000c
	s_and_b32 s3, ttmp6, 15
	s_add_co_i32 s2, s2, 1
	s_getreg_b32 s8, hwreg(HW_REG_IB_STS2, 6, 4)
	s_mul_i32 s2, ttmp9, s2
	v_dual_mov_b32 v2, 0 :: v_dual_lshrrev_b32 v1, 5, v0
	s_add_co_i32 s3, s3, s2
	s_cmp_eq_u32 s8, 0
	v_bfe_u32 v3, v0, 2, 3
	s_cselect_b32 s2, ttmp9, s3
	s_load_b64 s[8:9], s[0:1], 0x28
	v_lshl_or_b32 v4, s2, 3, v1
	v_mov_b32_e32 v32, 0
	s_wait_kmcnt 0x0
	s_delay_alu instid0(VALU_DEP_2) | instskip(SKIP_1) | instid1(VALU_DEP_2)
	v_mad_u32 v5, v4, s6, v3
	v_cmp_gt_i32_e32 vcc_lo, s6, v3
	v_cmp_gt_i32_e64 s2, s13, v5
	s_and_b32 s2, vcc_lo, s2
	s_delay_alu instid0(SALU_CYCLE_1)
	s_and_saveexec_b32 s3, s2
	s_cbranch_execz .LBB75_2
; %bb.1:
	global_load_b32 v6, v5, s[8:9] scale_offset
	s_wait_loadcnt 0x0
	v_subrev_nc_u32_e32 v32, s7, v6
.LBB75_2:
	s_or_b32 exec_lo, exec_lo, s3
	v_mov_b32_e32 v22, 0
	s_and_saveexec_b32 s3, s2
	s_cbranch_execz .LBB75_4
; %bb.3:
	global_load_b32 v5, v5, s[8:9] offset:4 scale_offset
	s_wait_loadcnt 0x0
	v_subrev_nc_u32_e32 v22, s7, v5
.LBB75_4:
	s_or_b32 exec_lo, exec_lo, s3
	s_load_b32 s16, s[0:1], 0x38
	s_mov_b32 s3, exec_lo
	v_cmpx_gt_i32_e64 s4, v4
	s_cbranch_execz .LBB75_6
; %bb.5:
	s_load_b64 s[8:9], s[0:1], 0x48
	s_wait_kmcnt 0x0
	global_load_b32 v2, v4, s[8:9] scale_offset
	s_wait_loadcnt 0x0
	v_subrev_nc_u32_e32 v2, s16, v2
.LBB75_6:
	s_or_b32 exec_lo, exec_lo, s3
	s_cmp_lt_i32 s5, 1
	s_cbranch_scc1 .LBB75_29
; %bb.7:
	s_clause 0x3
	s_load_b64 s[18:19], s[0:1], 0x40
	s_load_b64 s[2:3], s[0:1], 0x50
	s_load_b64 s[8:9], s[0:1], 0x30
	s_load_b64 s[10:11], s[0:1], 0x20
	v_mbcnt_lo_u32_b32 v10, -1, 0
	v_dual_lshlrev_b32 v6, 6, v3 :: v_dual_bitop2_b32 v0, 3, v0 bitop3:0x40
	v_dual_mov_b32 v5, 0 :: v_dual_lshlrev_b32 v4, 3, v3
	s_delay_alu instid0(VALU_DEP_3) | instskip(SKIP_1) | instid1(VALU_DEP_3)
	v_xor_b32_e32 v8, 2, v10
	s_cmp_lg_u32 s12, 0
	v_lshl_or_b32 v23, v1, 9, v6
	s_cselect_b32 s4, -1, 0
	s_abs_i32 s17, s6
	s_wait_xcnt 0x0
	v_cmp_gt_i32_e64 s0, 32, v8
	v_xor_b32_e32 v9, 1, v10
	s_cvt_f32_u32 s1, s17
	s_mov_b32 s13, 0
	s_mov_b32 s12, s6
	v_lshl_or_b32 v24, v10, 2, 12
	s_wait_kmcnt 0x0
	v_add_nc_u64_e32 v[6:7], s[18:19], v[4:5]
	v_mul_lo_u32 v4, s6, v3
	v_cndmask_b32_e64 v3, v10, v8, s0
	v_cmp_gt_i32_e64 s0, 32, v9
	s_mul_u64 s[14:15], s[12:13], s[12:13]
	v_xor_b32_e32 v11, 16, v10
	v_mov_b64_e32 v[14:15], 0
	v_dual_lshlrev_b32 v26, 2, v3 :: v_dual_cndmask_b32 v8, v10, v9, s0
	v_xor_b32_e32 v12, 8, v10
	s_delay_alu instid0(VALU_DEP_4)
	v_cmp_gt_i32_e64 s0, 32, v11
	v_xor_b32_e32 v3, 4, v10
	v_lshl_or_b32 v25, v0, 3, v23
	v_lshlrev_b32_e32 v27, 2, v8
	v_lshl_add_u64 v[8:9], v[4:5], 3, s[18:19]
	v_cndmask_b32_e64 v4, v10, v11, s0
	v_cmp_gt_i32_e64 s0, 32, v12
	v_rcp_iflag_f32_e32 v11, s1
	s_sub_co_i32 s19, 0, s17
	v_dual_mov_b32 v31, 0x7c :: v_dual_mov_b32 v20, 0
	v_cndmask_b32_e64 v12, v10, v12, s0
	v_cmp_gt_i32_e64 s0, 32, v3
	v_mov_b32_e32 v33, 1
	s_delay_alu instid0(TRANS32_DEP_1)
	v_readfirstlane_b32 s1, v11
	v_mov_b32_e32 v11, v5
	s_mov_b32 s20, s13
	v_cndmask_b32_e64 v3, v10, v3, s0
	v_mul_lo_u32 v10, v0, s6
	s_mul_f32 s12, s1, 0x4f7ffffe
	v_lshlrev_b32_e32 v28, 2, v4
	v_cmp_gt_u32_e64 s0, s6, v0
	v_dual_lshlrev_b32 v30, 2, v3 :: v_dual_bitop2_b32 v3, 4, v0 bitop3:0x54
	v_mov_b32_e32 v13, v5
	s_cvt_u32_f32 s12, s12
	v_lshlrev_b32_e32 v29, 2, v12
	s_and_b32 s18, s0, vcc_lo
	v_cmp_gt_u32_e64 s1, s6, v3
	s_mul_i32 s19, s19, s12
	v_lshl_add_u32 v12, s6, 2, v10
	s_mul_hi_u32 s0, s12, s19
	s_ashr_i32 s19, s6, 31
	s_and_b32 s1, vcc_lo, s1
	s_add_co_i32 s12, s12, s0
	s_branch .LBB75_10
.LBB75_8:                               ;   in Loop: Header=BB75_10 Depth=1
	s_wait_xcnt 0x0
	s_or_b32 exec_lo, exec_lo, s21
	v_mov_b32_e32 v3, 1
.LBB75_9:                               ;   in Loop: Header=BB75_10 Depth=1
	s_or_b32 exec_lo, exec_lo, s0
	ds_bpermute_b32 v4, v28, v34
	s_wait_storecnt_dscnt 0x0
	v_add_nc_u32_e32 v2, v3, v2
	v_min_i32_e32 v4, v4, v34
	ds_bpermute_b32 v16, v29, v4
	s_wait_dscnt 0x0
	v_min_i32_e32 v4, v16, v4
	ds_bpermute_b32 v16, v30, v4
	s_wait_dscnt 0x0
	v_min_i32_e32 v4, v16, v4
	ds_bpermute_b32 v16, v26, v4
	s_wait_dscnt 0x0
	v_min_i32_e32 v4, v16, v4
	ds_bpermute_b32 v16, v27, v4
	s_wait_dscnt 0x0
	v_min_i32_e32 v4, v16, v4
	ds_bpermute_b32 v20, v31, v4
	s_wait_dscnt 0x0
	v_cmp_le_i32_e32 vcc_lo, s5, v20
	s_or_b32 s20, vcc_lo, s20
	s_delay_alu instid0(SALU_CYCLE_1)
	s_and_not1_b32 exec_lo, exec_lo, s20
	s_cbranch_execz .LBB75_29
.LBB75_10:                              ; =>This Loop Header: Depth=1
                                        ;     Child Loop BB75_13 Depth 2
	v_dual_add_nc_u32 v16, v32, v0 :: v_dual_mov_b32 v34, s5
	v_mov_b32_e32 v17, v22
	s_mov_b32 s21, exec_lo
	ds_store_b8 v1, v5 offset:4096
	ds_store_2addr_b64 v25, v[14:15], v[14:15] offset1:4
	s_wait_dscnt 0x0
	v_cmpx_lt_i32_e64 v16, v22
	s_cbranch_execz .LBB75_18
; %bb.11:                               ;   in Loop: Header=BB75_10 Depth=1
	v_mul_lo_u32 v3, v20, s6
	v_dual_mov_b32 v34, s5 :: v_dual_mov_b32 v17, v22
	s_mov_b32 s22, 0
	s_branch .LBB75_13
.LBB75_12:                              ;   in Loop: Header=BB75_13 Depth=2
	s_wait_xcnt 0x0
	s_or_b32 exec_lo, exec_lo, s0
	v_add_nc_u32_e32 v16, 4, v16
	s_xor_b32 s23, vcc_lo, -1
	s_delay_alu instid0(VALU_DEP_1) | instskip(SKIP_1) | instid1(SALU_CYCLE_1)
	v_cmp_ge_i32_e64 s0, v16, v22
	s_or_b32 s0, s23, s0
	s_and_b32 s0, exec_lo, s0
	s_delay_alu instid0(SALU_CYCLE_1) | instskip(NEXT) | instid1(SALU_CYCLE_1)
	s_or_b32 s22, s0, s22
	s_and_not1_b32 exec_lo, exec_lo, s22
	s_cbranch_execz .LBB75_17
.LBB75_13:                              ;   Parent Loop BB75_10 Depth=1
                                        ; =>  This Inner Loop Header: Depth=2
	global_load_b32 v4, v16, s[8:9] scale_offset
	s_wait_loadcnt 0x0
	v_subrev_nc_u32_e32 v18, s7, v4
	s_delay_alu instid0(VALU_DEP_1) | instskip(NEXT) | instid1(VALU_DEP_1)
	v_dual_sub_nc_u32 v4, 0, v18 :: v_dual_ashrrev_i32 v32, 31, v18
	v_max_i32_e32 v4, v18, v4
	s_delay_alu instid0(VALU_DEP_1) | instskip(NEXT) | instid1(VALU_DEP_1)
	v_mul_u64_e32 v[36:37], s[12:13], v[4:5]
	v_mul_lo_u32 v19, v37, s17
	s_delay_alu instid0(VALU_DEP_1) | instskip(NEXT) | instid1(VALU_DEP_1)
	v_dual_sub_nc_u32 v4, v4, v19 :: v_dual_add_nc_u32 v19, 1, v37
	v_subrev_nc_u32_e32 v21, s17, v4
	v_cmp_le_u32_e32 vcc_lo, s17, v4
	s_delay_alu instid0(VALU_DEP_2) | instskip(NEXT) | instid1(VALU_DEP_1)
	v_dual_cndmask_b32 v19, v37, v19 :: v_dual_cndmask_b32 v4, v4, v21
	v_add_nc_u32_e32 v21, 1, v19
	s_delay_alu instid0(VALU_DEP_2) | instskip(NEXT) | instid1(VALU_DEP_2)
	v_cmp_le_u32_e32 vcc_lo, s17, v4
	v_dual_cndmask_b32 v4, v19, v21, vcc_lo :: v_dual_bitop2_b32 v32, s19, v32 bitop3:0x14
	s_delay_alu instid0(VALU_DEP_1) | instskip(NEXT) | instid1(VALU_DEP_1)
	v_xor_b32_e32 v4, v4, v32
	v_dual_mov_b32 v4, v17 :: v_dual_sub_nc_u32 v19, v4, v32
	s_delay_alu instid0(VALU_DEP_1) | instskip(SKIP_3) | instid1(SALU_CYCLE_1)
	v_cmp_ne_u32_e64 s0, v19, v20
	v_cmp_eq_u32_e32 vcc_lo, v19, v20
	s_wait_xcnt 0x0
	s_and_saveexec_b32 s23, s0
	s_xor_b32 s0, exec_lo, s23
; %bb.14:                               ;   in Loop: Header=BB75_13 Depth=2
	v_min_i32_e32 v34, v19, v34
                                        ; implicit-def: $vgpr18
                                        ; implicit-def: $vgpr4
; %bb.15:                               ;   in Loop: Header=BB75_13 Depth=2
	s_or_saveexec_b32 s0, s0
	v_mov_b32_e32 v17, v16
	s_xor_b32 exec_lo, exec_lo, s0
	s_cbranch_execz .LBB75_12
; %bb.16:                               ;   in Loop: Header=BB75_13 Depth=2
	v_ashrrev_i32_e32 v17, 31, v16
	s_delay_alu instid0(VALU_DEP_1)
	v_lshl_add_u64 v[36:37], v[16:17], 3, s[10:11]
	v_sub_nc_u32_e32 v17, v18, v3
	global_load_b64 v[36:37], v[36:37], off
	v_lshl_add_u32 v18, v17, 3, v23
	v_mov_b32_e32 v17, v4
	ds_store_b8 v1, v33 offset:4096
	s_wait_loadcnt 0x0
	ds_store_b64 v18, v[36:37]
	s_branch .LBB75_12
.LBB75_17:                              ;   in Loop: Header=BB75_10 Depth=1
	s_or_b32 exec_lo, exec_lo, s22
.LBB75_18:                              ;   in Loop: Header=BB75_10 Depth=1
	s_delay_alu instid0(SALU_CYCLE_1)
	s_or_b32 exec_lo, exec_lo, s21
	ds_bpermute_b32 v3, v26, v17
	s_wait_dscnt 0x0
	ds_load_u8 v16, v1 offset:4096
	v_min_i32_e32 v3, v3, v17
	ds_bpermute_b32 v4, v27, v3
	s_wait_dscnt 0x0
	v_min_i32_e32 v3, v4, v3
	ds_bpermute_b32 v32, v24, v3
	v_and_b32_e32 v3, 1, v16
	s_delay_alu instid0(VALU_DEP_1)
	v_cmp_eq_u32_e32 vcc_lo, 1, v3
	v_mov_b32_e32 v3, 0
	s_and_saveexec_b32 s0, vcc_lo
	s_cbranch_execz .LBB75_9
; %bb.19:                               ;   in Loop: Header=BB75_10 Depth=1
	v_ashrrev_i32_e32 v3, 31, v2
	s_delay_alu instid0(VALU_DEP_1) | instskip(SKIP_3) | instid1(VALU_DEP_1)
	v_mul_u64_e32 v[16:17], s[14:15], v[2:3]
	v_add_nc_u32_e32 v3, s16, v20
	global_store_b32 v2, v3, s[2:3] scale_offset
	v_lshlrev_b64_e32 v[16:17], 3, v[16:17]
	v_add_nc_u64_e32 v[18:19], v[6:7], v[16:17]
	v_add_nc_u64_e32 v[16:17], v[8:9], v[16:17]
	s_wait_xcnt 0x0
	s_and_saveexec_b32 s21, s18
	s_cbranch_execz .LBB75_23
; %bb.20:                               ;   in Loop: Header=BB75_10 Depth=1
	ds_load_b64 v[20:21], v25
	s_and_b32 vcc_lo, exec_lo, s4
	s_cbranch_vccz .LBB75_26
; %bb.21:                               ;   in Loop: Header=BB75_10 Depth=1
	v_lshl_add_u64 v[36:37], v[10:11], 3, v[18:19]
	s_wait_dscnt 0x0
	global_store_b64 v[36:37], v[20:21], off
	s_cbranch_execnz .LBB75_23
.LBB75_22:                              ;   in Loop: Header=BB75_10 Depth=1
	v_lshlrev_b32_e32 v4, 3, v0
	s_wait_xcnt 0x0
	s_delay_alu instid0(VALU_DEP_1)
	v_add_nc_u64_e32 v[36:37], v[16:17], v[4:5]
	s_wait_dscnt 0x0
	global_store_b64 v[36:37], v[20:21], off
.LBB75_23:                              ;   in Loop: Header=BB75_10 Depth=1
	s_wait_xcnt 0x0
	s_or_b32 exec_lo, exec_lo, s21
	s_and_saveexec_b32 s21, s1
	s_cbranch_execz .LBB75_8
; %bb.24:                               ;   in Loop: Header=BB75_10 Depth=1
	s_and_not1_b32 vcc_lo, exec_lo, s4
	s_cbranch_vccnz .LBB75_27
; %bb.25:                               ;   in Loop: Header=BB75_10 Depth=1
	s_wait_dscnt 0x0
	ds_load_b64 v[20:21], v25 offset:32
	v_lshl_add_u64 v[18:19], v[12:13], 3, v[18:19]
	s_wait_dscnt 0x0
	global_store_b64 v[18:19], v[20:21], off
	s_cbranch_execnz .LBB75_8
	s_branch .LBB75_28
.LBB75_26:                              ;   in Loop: Header=BB75_10 Depth=1
	s_branch .LBB75_22
.LBB75_27:                              ;   in Loop: Header=BB75_10 Depth=1
.LBB75_28:                              ;   in Loop: Header=BB75_10 Depth=1
	s_wait_xcnt 0x0
	ds_load_b64 v[18:19], v25 offset:32
	v_lshlrev_b32_e32 v4, 3, v0
	s_delay_alu instid0(VALU_DEP_1)
	v_add_nc_u64_e32 v[16:17], v[16:17], v[4:5]
	s_wait_dscnt 0x0
	global_store_b64 v[16:17], v[18:19], off offset:32
	s_branch .LBB75_8
.LBB75_29:
	s_endpgm
	.section	.rodata,"a",@progbits
	.p2align	6, 0x0
	.amdhsa_kernel _ZN9rocsparseL42csr2bsr_wavefront_per_row_multipass_kernelILj256ELj32ELj8E21rocsparse_complex_numIfEiiEEv20rocsparse_direction_T4_S4_S4_S4_S4_21rocsparse_index_base_PKT2_PKT3_PKS4_S5_PS6_PS9_PS4_
		.amdhsa_group_segment_fixed_size 4104
		.amdhsa_private_segment_fixed_size 0
		.amdhsa_kernarg_size 88
		.amdhsa_user_sgpr_count 2
		.amdhsa_user_sgpr_dispatch_ptr 0
		.amdhsa_user_sgpr_queue_ptr 0
		.amdhsa_user_sgpr_kernarg_segment_ptr 1
		.amdhsa_user_sgpr_dispatch_id 0
		.amdhsa_user_sgpr_kernarg_preload_length 0
		.amdhsa_user_sgpr_kernarg_preload_offset 0
		.amdhsa_user_sgpr_private_segment_size 0
		.amdhsa_wavefront_size32 1
		.amdhsa_uses_dynamic_stack 0
		.amdhsa_enable_private_segment 0
		.amdhsa_system_sgpr_workgroup_id_x 1
		.amdhsa_system_sgpr_workgroup_id_y 0
		.amdhsa_system_sgpr_workgroup_id_z 0
		.amdhsa_system_sgpr_workgroup_info 0
		.amdhsa_system_vgpr_workitem_id 0
		.amdhsa_next_free_vgpr 38
		.amdhsa_next_free_sgpr 24
		.amdhsa_named_barrier_count 0
		.amdhsa_reserve_vcc 1
		.amdhsa_float_round_mode_32 0
		.amdhsa_float_round_mode_16_64 0
		.amdhsa_float_denorm_mode_32 3
		.amdhsa_float_denorm_mode_16_64 3
		.amdhsa_fp16_overflow 0
		.amdhsa_memory_ordered 1
		.amdhsa_forward_progress 1
		.amdhsa_inst_pref_size 12
		.amdhsa_round_robin_scheduling 0
		.amdhsa_exception_fp_ieee_invalid_op 0
		.amdhsa_exception_fp_denorm_src 0
		.amdhsa_exception_fp_ieee_div_zero 0
		.amdhsa_exception_fp_ieee_overflow 0
		.amdhsa_exception_fp_ieee_underflow 0
		.amdhsa_exception_fp_ieee_inexact 0
		.amdhsa_exception_int_div_zero 0
	.end_amdhsa_kernel
	.section	.text._ZN9rocsparseL42csr2bsr_wavefront_per_row_multipass_kernelILj256ELj32ELj8E21rocsparse_complex_numIfEiiEEv20rocsparse_direction_T4_S4_S4_S4_S4_21rocsparse_index_base_PKT2_PKT3_PKS4_S5_PS6_PS9_PS4_,"axG",@progbits,_ZN9rocsparseL42csr2bsr_wavefront_per_row_multipass_kernelILj256ELj32ELj8E21rocsparse_complex_numIfEiiEEv20rocsparse_direction_T4_S4_S4_S4_S4_21rocsparse_index_base_PKT2_PKT3_PKS4_S5_PS6_PS9_PS4_,comdat
.Lfunc_end75:
	.size	_ZN9rocsparseL42csr2bsr_wavefront_per_row_multipass_kernelILj256ELj32ELj8E21rocsparse_complex_numIfEiiEEv20rocsparse_direction_T4_S4_S4_S4_S4_21rocsparse_index_base_PKT2_PKT3_PKS4_S5_PS6_PS9_PS4_, .Lfunc_end75-_ZN9rocsparseL42csr2bsr_wavefront_per_row_multipass_kernelILj256ELj32ELj8E21rocsparse_complex_numIfEiiEEv20rocsparse_direction_T4_S4_S4_S4_S4_21rocsparse_index_base_PKT2_PKT3_PKS4_S5_PS6_PS9_PS4_
                                        ; -- End function
	.set _ZN9rocsparseL42csr2bsr_wavefront_per_row_multipass_kernelILj256ELj32ELj8E21rocsparse_complex_numIfEiiEEv20rocsparse_direction_T4_S4_S4_S4_S4_21rocsparse_index_base_PKT2_PKT3_PKS4_S5_PS6_PS9_PS4_.num_vgpr, 38
	.set _ZN9rocsparseL42csr2bsr_wavefront_per_row_multipass_kernelILj256ELj32ELj8E21rocsparse_complex_numIfEiiEEv20rocsparse_direction_T4_S4_S4_S4_S4_21rocsparse_index_base_PKT2_PKT3_PKS4_S5_PS6_PS9_PS4_.num_agpr, 0
	.set _ZN9rocsparseL42csr2bsr_wavefront_per_row_multipass_kernelILj256ELj32ELj8E21rocsparse_complex_numIfEiiEEv20rocsparse_direction_T4_S4_S4_S4_S4_21rocsparse_index_base_PKT2_PKT3_PKS4_S5_PS6_PS9_PS4_.numbered_sgpr, 24
	.set _ZN9rocsparseL42csr2bsr_wavefront_per_row_multipass_kernelILj256ELj32ELj8E21rocsparse_complex_numIfEiiEEv20rocsparse_direction_T4_S4_S4_S4_S4_21rocsparse_index_base_PKT2_PKT3_PKS4_S5_PS6_PS9_PS4_.num_named_barrier, 0
	.set _ZN9rocsparseL42csr2bsr_wavefront_per_row_multipass_kernelILj256ELj32ELj8E21rocsparse_complex_numIfEiiEEv20rocsparse_direction_T4_S4_S4_S4_S4_21rocsparse_index_base_PKT2_PKT3_PKS4_S5_PS6_PS9_PS4_.private_seg_size, 0
	.set _ZN9rocsparseL42csr2bsr_wavefront_per_row_multipass_kernelILj256ELj32ELj8E21rocsparse_complex_numIfEiiEEv20rocsparse_direction_T4_S4_S4_S4_S4_21rocsparse_index_base_PKT2_PKT3_PKS4_S5_PS6_PS9_PS4_.uses_vcc, 1
	.set _ZN9rocsparseL42csr2bsr_wavefront_per_row_multipass_kernelILj256ELj32ELj8E21rocsparse_complex_numIfEiiEEv20rocsparse_direction_T4_S4_S4_S4_S4_21rocsparse_index_base_PKT2_PKT3_PKS4_S5_PS6_PS9_PS4_.uses_flat_scratch, 0
	.set _ZN9rocsparseL42csr2bsr_wavefront_per_row_multipass_kernelILj256ELj32ELj8E21rocsparse_complex_numIfEiiEEv20rocsparse_direction_T4_S4_S4_S4_S4_21rocsparse_index_base_PKT2_PKT3_PKS4_S5_PS6_PS9_PS4_.has_dyn_sized_stack, 0
	.set _ZN9rocsparseL42csr2bsr_wavefront_per_row_multipass_kernelILj256ELj32ELj8E21rocsparse_complex_numIfEiiEEv20rocsparse_direction_T4_S4_S4_S4_S4_21rocsparse_index_base_PKT2_PKT3_PKS4_S5_PS6_PS9_PS4_.has_recursion, 0
	.set _ZN9rocsparseL42csr2bsr_wavefront_per_row_multipass_kernelILj256ELj32ELj8E21rocsparse_complex_numIfEiiEEv20rocsparse_direction_T4_S4_S4_S4_S4_21rocsparse_index_base_PKT2_PKT3_PKS4_S5_PS6_PS9_PS4_.has_indirect_call, 0
	.section	.AMDGPU.csdata,"",@progbits
; Kernel info:
; codeLenInByte = 1504
; TotalNumSgprs: 26
; NumVgprs: 38
; ScratchSize: 0
; MemoryBound: 0
; FloatMode: 240
; IeeeMode: 1
; LDSByteSize: 4104 bytes/workgroup (compile time only)
; SGPRBlocks: 0
; VGPRBlocks: 2
; NumSGPRsForWavesPerEU: 26
; NumVGPRsForWavesPerEU: 38
; NamedBarCnt: 0
; Occupancy: 16
; WaveLimiterHint : 0
; COMPUTE_PGM_RSRC2:SCRATCH_EN: 0
; COMPUTE_PGM_RSRC2:USER_SGPR: 2
; COMPUTE_PGM_RSRC2:TRAP_HANDLER: 0
; COMPUTE_PGM_RSRC2:TGID_X_EN: 1
; COMPUTE_PGM_RSRC2:TGID_Y_EN: 0
; COMPUTE_PGM_RSRC2:TGID_Z_EN: 0
; COMPUTE_PGM_RSRC2:TIDIG_COMP_CNT: 0
	.section	.text._ZN9rocsparseL42csr2bsr_wavefront_per_row_multipass_kernelILj256ELj64ELj16E21rocsparse_complex_numIfEiiEEv20rocsparse_direction_T4_S4_S4_S4_S4_21rocsparse_index_base_PKT2_PKT3_PKS4_S5_PS6_PS9_PS4_,"axG",@progbits,_ZN9rocsparseL42csr2bsr_wavefront_per_row_multipass_kernelILj256ELj64ELj16E21rocsparse_complex_numIfEiiEEv20rocsparse_direction_T4_S4_S4_S4_S4_21rocsparse_index_base_PKT2_PKT3_PKS4_S5_PS6_PS9_PS4_,comdat
	.globl	_ZN9rocsparseL42csr2bsr_wavefront_per_row_multipass_kernelILj256ELj64ELj16E21rocsparse_complex_numIfEiiEEv20rocsparse_direction_T4_S4_S4_S4_S4_21rocsparse_index_base_PKT2_PKT3_PKS4_S5_PS6_PS9_PS4_ ; -- Begin function _ZN9rocsparseL42csr2bsr_wavefront_per_row_multipass_kernelILj256ELj64ELj16E21rocsparse_complex_numIfEiiEEv20rocsparse_direction_T4_S4_S4_S4_S4_21rocsparse_index_base_PKT2_PKT3_PKS4_S5_PS6_PS9_PS4_
	.p2align	8
	.type	_ZN9rocsparseL42csr2bsr_wavefront_per_row_multipass_kernelILj256ELj64ELj16E21rocsparse_complex_numIfEiiEEv20rocsparse_direction_T4_S4_S4_S4_S4_21rocsparse_index_base_PKT2_PKT3_PKS4_S5_PS6_PS9_PS4_,@function
_ZN9rocsparseL42csr2bsr_wavefront_per_row_multipass_kernelILj256ELj64ELj16E21rocsparse_complex_numIfEiiEEv20rocsparse_direction_T4_S4_S4_S4_S4_21rocsparse_index_base_PKT2_PKT3_PKS4_S5_PS6_PS9_PS4_: ; @_ZN9rocsparseL42csr2bsr_wavefront_per_row_multipass_kernelILj256ELj64ELj16E21rocsparse_complex_numIfEiiEEv20rocsparse_direction_T4_S4_S4_S4_S4_21rocsparse_index_base_PKT2_PKT3_PKS4_S5_PS6_PS9_PS4_
; %bb.0:
	s_clause 0x1
	s_load_b128 s[4:7], s[0:1], 0xc
	s_load_b64 s[14:15], s[0:1], 0x0
	s_bfe_u32 s2, ttmp6, 0x4000c
	s_and_b32 s3, ttmp6, 15
	s_add_co_i32 s2, s2, 1
	s_getreg_b32 s8, hwreg(HW_REG_IB_STS2, 6, 4)
	s_mul_i32 s2, ttmp9, s2
	v_dual_mov_b32 v2, 0 :: v_dual_lshrrev_b32 v1, 6, v0
	s_add_co_i32 s3, s3, s2
	s_cmp_eq_u32 s8, 0
	v_bfe_u32 v3, v0, 2, 4
	s_cselect_b32 s2, ttmp9, s3
	s_load_b64 s[8:9], s[0:1], 0x28
	v_lshl_or_b32 v4, s2, 2, v1
	v_mov_b32_e32 v38, 0
	s_wait_kmcnt 0x0
	s_delay_alu instid0(VALU_DEP_2) | instskip(SKIP_1) | instid1(VALU_DEP_2)
	v_mad_u32 v5, v4, s6, v3
	v_cmp_gt_i32_e32 vcc_lo, s6, v3
	v_cmp_gt_i32_e64 s2, s15, v5
	s_and_b32 s2, vcc_lo, s2
	s_delay_alu instid0(SALU_CYCLE_1)
	s_and_saveexec_b32 s3, s2
	s_cbranch_execz .LBB76_2
; %bb.1:
	global_load_b32 v6, v5, s[8:9] scale_offset
	s_wait_loadcnt 0x0
	v_subrev_nc_u32_e32 v38, s7, v6
.LBB76_2:
	s_or_b32 exec_lo, exec_lo, s3
	v_mov_b32_e32 v28, 0
	s_and_saveexec_b32 s3, s2
	s_cbranch_execz .LBB76_4
; %bb.3:
	global_load_b32 v5, v5, s[8:9] offset:4 scale_offset
	s_wait_loadcnt 0x0
	v_subrev_nc_u32_e32 v28, s7, v5
.LBB76_4:
	s_or_b32 exec_lo, exec_lo, s3
	s_load_b32 s18, s[0:1], 0x38
	s_mov_b32 s3, exec_lo
	v_cmpx_gt_i32_e64 s4, v4
	s_cbranch_execz .LBB76_6
; %bb.5:
	s_load_b64 s[8:9], s[0:1], 0x48
	s_wait_kmcnt 0x0
	global_load_b32 v2, v4, s[8:9] scale_offset
	s_wait_loadcnt 0x0
	v_subrev_nc_u32_e32 v2, s18, v2
.LBB76_6:
	s_or_b32 exec_lo, exec_lo, s3
	s_cmp_lt_i32 s5, 1
	s_cbranch_scc1 .LBB76_39
; %bb.7:
	s_clause 0x3
	s_load_b64 s[2:3], s[0:1], 0x40
	s_load_b64 s[8:9], s[0:1], 0x50
	;; [unrolled: 1-line block ×4, first 2 shown]
	v_mbcnt_lo_u32_b32 v10, -1, 0
	v_dual_lshlrev_b32 v6, 7, v3 :: v_dual_bitop2_b32 v0, 3, v0 bitop3:0x40
	v_dual_mov_b32 v5, 0 :: v_dual_lshlrev_b32 v4, 3, v3
	s_delay_alu instid0(VALU_DEP_3) | instskip(SKIP_1) | instid1(VALU_DEP_4)
	v_xor_b32_e32 v9, 1, v10
	v_xor_b32_e32 v8, 2, v10
	v_lshl_or_b32 v29, v1, 11, v6
	s_cmp_lg_u32 s14, 0
	v_lshl_or_b32 v30, v10, 2, 12
	s_cselect_b32 s4, -1, 0
	s_wait_xcnt 0x0
	v_cmp_gt_i32_e64 s0, 32, v8
	s_abs_i32 s19, s6
	s_mov_b32 s15, 0
	s_cvt_f32_u32 s1, s19
	s_mov_b32 s14, s6
	s_wait_kmcnt 0x0
	v_add_nc_u64_e32 v[6:7], s[2:3], v[4:5]
	v_mul_lo_u32 v4, s6, v3
	v_dual_cndmask_b32 v8, v10, v8, s0 :: v_dual_bitop2_b32 v3, 32, v10 bitop3:0x54
	v_cmp_gt_i32_e64 s0, 32, v9
	s_mul_u64 s[16:17], s[14:15], s[14:15]
	s_lshl_b32 s14, s6, 2
	v_lshlrev_b32_e32 v32, 2, v8
	v_dual_mov_b32 v17, v5 :: v_dual_bitop2_b32 v16, 12, v0 bitop3:0x54
	v_dual_cndmask_b32 v9, v10, v9, s0 :: v_dual_bitop2_b32 v11, 16, v10 bitop3:0x14
	v_cmp_gt_i32_e64 s0, 32, v3
	v_xor_b32_e32 v12, 8, v10
	v_mov_b64_e32 v[18:19], 0
	s_delay_alu instid0(VALU_DEP_4)
	v_lshlrev_b32_e32 v33, 2, v9
	v_lshl_add_u64 v[8:9], v[4:5], 3, s[2:3]
	v_cndmask_b32_e64 v3, v10, v3, s0
	v_cmp_gt_i32_e64 s0, 32, v11
	v_dual_mov_b32 v13, v5 :: v_dual_bitop2_b32 v4, 4, v10 bitop3:0x14
	v_cmp_gt_u32_e64 s3, s6, v16
	s_delay_alu instid0(VALU_DEP_4) | instskip(NEXT) | instid1(VALU_DEP_4)
	v_lshlrev_b32_e32 v34, 2, v3
	v_cndmask_b32_e64 v11, v10, v11, s0
	v_cmp_gt_i32_e64 s0, 32, v12
	v_or_b32_e32 v3, 4, v0
	v_lshl_or_b32 v31, v0, 3, v29
	v_bfrev_b32_e32 v39, 0.5
	s_delay_alu instid0(VALU_DEP_4) | instskip(SKIP_2) | instid1(VALU_DEP_3)
	v_dual_lshlrev_b32 v35, 2, v11 :: v_dual_cndmask_b32 v12, v10, v12, s0
	v_cmp_gt_i32_e64 s0, 32, v4
	v_dual_mov_b32 v15, v5 :: v_dual_mov_b32 v11, v5
	v_dual_mov_b32 v21, 0 :: v_dual_lshlrev_b32 v36, 2, v12
	s_delay_alu instid0(VALU_DEP_3)
	v_cndmask_b32_e64 v4, v10, v4, s0
	v_mul_lo_u32 v10, v0, s6
	v_cmp_gt_u32_e64 s0, s6, v0
	s_and_b32 s3, vcc_lo, s3
	s_mov_b32 s22, s15
	v_lshlrev_b32_e32 v37, 2, v4
	v_rcp_iflag_f32_e32 v4, s1
	v_cmp_gt_u32_e64 s1, s6, v3
	v_dual_mov_b32 v40, 1 :: v_dual_bitop2_b32 v3, 8, v0 bitop3:0x54
	v_dual_lshlrev_b32 v20, 3, v0 :: v_dual_add_nc_u32 v12, s14, v10
	s_delay_alu instid0(TRANS32_DEP_1) | instskip(NEXT) | instid1(VALU_DEP_3)
	v_readfirstlane_b32 s20, v4
	v_cmp_gt_u32_e64 s2, s6, v3
	s_and_b32 s1, vcc_lo, s1
	v_add_nc_u32_e32 v14, s14, v12
	s_mul_f32 s21, s20, 0x4f7ffffe
	s_and_b32 s20, s0, vcc_lo
	s_and_b32 s2, vcc_lo, s2
	s_delay_alu instid0(SALU_CYCLE_1) | instskip(SKIP_4) | instid1(SALU_CYCLE_1)
	s_cvt_u32_f32 s0, s21
	v_add_nc_u32_e32 v16, s14, v14
	s_sub_co_i32 s14, 0, s19
	s_ashr_i32 s21, s6, 31
	s_mul_i32 s14, s14, s0
	s_mul_hi_u32 s14, s0, s14
	s_delay_alu instid0(SALU_CYCLE_1)
	s_add_co_i32 s14, s0, s14
	s_branch .LBB76_10
.LBB76_8:                               ;   in Loop: Header=BB76_10 Depth=1
	s_wait_xcnt 0x0
	s_or_b32 exec_lo, exec_lo, s23
	v_mov_b32_e32 v3, 1
.LBB76_9:                               ;   in Loop: Header=BB76_10 Depth=1
	s_or_b32 exec_lo, exec_lo, s0
	ds_bpermute_b32 v4, v34, v41
	s_wait_storecnt_dscnt 0x0
	v_dual_add_nc_u32 v2, v3, v2 :: v_dual_min_i32 v4, v4, v41
	ds_bpermute_b32 v21, v35, v4
	s_wait_dscnt 0x0
	v_min_i32_e32 v4, v21, v4
	ds_bpermute_b32 v21, v36, v4
	s_wait_dscnt 0x0
	v_min_i32_e32 v4, v21, v4
	;; [unrolled: 3-line block ×5, first 2 shown]
	ds_bpermute_b32 v21, v39, v4
	s_wait_dscnt 0x0
	v_cmp_le_i32_e32 vcc_lo, s5, v21
	s_or_b32 s22, vcc_lo, s22
	s_delay_alu instid0(SALU_CYCLE_1)
	s_and_not1_b32 exec_lo, exec_lo, s22
	s_cbranch_execz .LBB76_39
.LBB76_10:                              ; =>This Loop Header: Depth=1
                                        ;     Child Loop BB76_13 Depth 2
	v_dual_mov_b32 v41, s5 :: v_dual_add_nc_u32 v22, v38, v0
	v_mov_b32_e32 v23, v28
	s_mov_b32 s23, exec_lo
	ds_store_b8 v1, v5 offset:8192
	ds_store_2addr_b64 v31, v[18:19], v[18:19] offset1:4
	ds_store_2addr_b64 v31, v[18:19], v[18:19] offset0:8 offset1:12
	s_wait_dscnt 0x0
	v_cmpx_lt_i32_e64 v22, v28
	s_cbranch_execz .LBB76_18
; %bb.11:                               ;   in Loop: Header=BB76_10 Depth=1
	v_mul_lo_u32 v3, v21, s6
	v_dual_mov_b32 v41, s5 :: v_dual_mov_b32 v23, v28
	s_mov_b32 s24, 0
	s_branch .LBB76_13
.LBB76_12:                              ;   in Loop: Header=BB76_13 Depth=2
	s_wait_xcnt 0x0
	s_or_b32 exec_lo, exec_lo, s0
	v_add_nc_u32_e32 v22, 4, v22
	s_xor_b32 s25, vcc_lo, -1
	s_delay_alu instid0(VALU_DEP_1) | instskip(SKIP_1) | instid1(SALU_CYCLE_1)
	v_cmp_ge_i32_e64 s0, v22, v28
	s_or_b32 s0, s25, s0
	s_and_b32 s0, exec_lo, s0
	s_delay_alu instid0(SALU_CYCLE_1) | instskip(NEXT) | instid1(SALU_CYCLE_1)
	s_or_b32 s24, s0, s24
	s_and_not1_b32 exec_lo, exec_lo, s24
	s_cbranch_execz .LBB76_17
.LBB76_13:                              ;   Parent Loop BB76_10 Depth=1
                                        ; =>  This Inner Loop Header: Depth=2
	global_load_b32 v4, v22, s[10:11] scale_offset
	s_wait_loadcnt 0x0
	v_subrev_nc_u32_e32 v24, s7, v4
	s_delay_alu instid0(VALU_DEP_1) | instskip(NEXT) | instid1(VALU_DEP_1)
	v_sub_nc_u32_e32 v4, 0, v24
	v_max_i32_e32 v4, v24, v4
	s_delay_alu instid0(VALU_DEP_1) | instskip(NEXT) | instid1(VALU_DEP_1)
	v_mul_u64_e32 v[26:27], s[14:15], v[4:5]
	v_mul_lo_u32 v25, v27, s19
	s_delay_alu instid0(VALU_DEP_1) | instskip(NEXT) | instid1(VALU_DEP_1)
	v_dual_sub_nc_u32 v4, v4, v25 :: v_dual_add_nc_u32 v25, 1, v27
	v_cmp_le_u32_e32 vcc_lo, s19, v4
	s_delay_alu instid0(VALU_DEP_2) | instskip(SKIP_1) | instid1(VALU_DEP_1)
	v_dual_cndmask_b32 v25, v27, v25, vcc_lo :: v_dual_ashrrev_i32 v27, 31, v24
	v_subrev_nc_u32_e32 v26, s19, v4
	v_dual_cndmask_b32 v4, v4, v26, vcc_lo :: v_dual_add_nc_u32 v26, 1, v25
	s_delay_alu instid0(VALU_DEP_1) | instskip(NEXT) | instid1(VALU_DEP_2)
	v_cmp_le_u32_e32 vcc_lo, s19, v4
	v_dual_cndmask_b32 v4, v25, v26, vcc_lo :: v_dual_bitop2_b32 v27, s21, v27 bitop3:0x14
	s_delay_alu instid0(VALU_DEP_1) | instskip(NEXT) | instid1(VALU_DEP_1)
	v_xor_b32_e32 v4, v4, v27
	v_dual_mov_b32 v4, v23 :: v_dual_sub_nc_u32 v25, v4, v27
	s_delay_alu instid0(VALU_DEP_1) | instskip(SKIP_3) | instid1(SALU_CYCLE_1)
	v_cmp_ne_u32_e64 s0, v25, v21
	v_cmp_eq_u32_e32 vcc_lo, v25, v21
	s_wait_xcnt 0x0
	s_and_saveexec_b32 s25, s0
	s_xor_b32 s0, exec_lo, s25
; %bb.14:                               ;   in Loop: Header=BB76_13 Depth=2
	v_min_i32_e32 v41, v25, v41
                                        ; implicit-def: $vgpr24
                                        ; implicit-def: $vgpr4
; %bb.15:                               ;   in Loop: Header=BB76_13 Depth=2
	s_or_saveexec_b32 s0, s0
	v_mov_b32_e32 v23, v22
	s_xor_b32 exec_lo, exec_lo, s0
	s_cbranch_execz .LBB76_12
; %bb.16:                               ;   in Loop: Header=BB76_13 Depth=2
	v_ashrrev_i32_e32 v23, 31, v22
	s_delay_alu instid0(VALU_DEP_1)
	v_lshl_add_u64 v[26:27], v[22:23], 3, s[12:13]
	v_sub_nc_u32_e32 v23, v24, v3
	global_load_b64 v[26:27], v[26:27], off
	v_lshl_add_u32 v24, v23, 3, v29
	v_mov_b32_e32 v23, v4
	ds_store_b8 v1, v40 offset:8192
	s_wait_loadcnt 0x0
	ds_store_b64 v24, v[26:27]
	s_branch .LBB76_12
.LBB76_17:                              ;   in Loop: Header=BB76_10 Depth=1
	s_or_b32 exec_lo, exec_lo, s24
.LBB76_18:                              ;   in Loop: Header=BB76_10 Depth=1
	s_delay_alu instid0(SALU_CYCLE_1)
	s_or_b32 exec_lo, exec_lo, s23
	ds_bpermute_b32 v3, v32, v23
	s_wait_dscnt 0x0
	ds_load_u8 v22, v1 offset:8192
	v_min_i32_e32 v3, v3, v23
	ds_bpermute_b32 v4, v33, v3
	s_wait_dscnt 0x0
	v_min_i32_e32 v3, v4, v3
	ds_bpermute_b32 v38, v30, v3
	v_and_b32_e32 v3, 1, v22
	s_delay_alu instid0(VALU_DEP_1)
	v_cmp_eq_u32_e32 vcc_lo, 1, v3
	v_mov_b32_e32 v3, 0
	s_and_saveexec_b32 s0, vcc_lo
	s_cbranch_execz .LBB76_9
; %bb.19:                               ;   in Loop: Header=BB76_10 Depth=1
	v_ashrrev_i32_e32 v3, 31, v2
	s_delay_alu instid0(VALU_DEP_1) | instskip(SKIP_3) | instid1(VALU_DEP_1)
	v_mul_u64_e32 v[22:23], s[16:17], v[2:3]
	v_add_nc_u32_e32 v3, s18, v21
	global_store_b32 v2, v3, s[8:9] scale_offset
	v_lshlrev_b64_e32 v[22:23], 3, v[22:23]
	v_add_nc_u64_e32 v[24:25], v[6:7], v[22:23]
	v_add_nc_u64_e32 v[22:23], v[8:9], v[22:23]
	s_wait_xcnt 0x0
	s_and_saveexec_b32 s23, s20
	s_cbranch_execz .LBB76_23
; %bb.20:                               ;   in Loop: Header=BB76_10 Depth=1
	ds_load_b64 v[26:27], v31
	s_and_b32 vcc_lo, exec_lo, s4
	s_cbranch_vccz .LBB76_34
; %bb.21:                               ;   in Loop: Header=BB76_10 Depth=1
	v_lshl_add_u64 v[42:43], v[10:11], 3, v[24:25]
	s_wait_dscnt 0x0
	global_store_b64 v[42:43], v[26:27], off
	s_cbranch_execnz .LBB76_23
.LBB76_22:                              ;   in Loop: Header=BB76_10 Depth=1
	v_mov_b32_e32 v21, v5
	s_wait_xcnt 0x0
	s_delay_alu instid0(VALU_DEP_1)
	v_add_nc_u64_e32 v[42:43], v[22:23], v[20:21]
	s_wait_dscnt 0x0
	global_store_b64 v[42:43], v[26:27], off
.LBB76_23:                              ;   in Loop: Header=BB76_10 Depth=1
	s_wait_xcnt 0x0
	s_or_b32 exec_lo, exec_lo, s23
	s_and_saveexec_b32 s23, s1
	s_cbranch_execz .LBB76_27
; %bb.24:                               ;   in Loop: Header=BB76_10 Depth=1
	s_and_not1_b32 vcc_lo, exec_lo, s4
	s_cbranch_vccnz .LBB76_35
; %bb.25:                               ;   in Loop: Header=BB76_10 Depth=1
	s_wait_dscnt 0x0
	ds_load_b64 v[26:27], v31 offset:32
	v_lshl_add_u64 v[42:43], v[12:13], 3, v[24:25]
	s_wait_dscnt 0x0
	global_store_b64 v[42:43], v[26:27], off
	s_cbranch_execnz .LBB76_27
.LBB76_26:                              ;   in Loop: Header=BB76_10 Depth=1
	s_wait_dscnt 0x0
	s_wait_xcnt 0x0
	ds_load_b64 v[26:27], v31 offset:32
	v_mov_b32_e32 v21, v5
	s_delay_alu instid0(VALU_DEP_1)
	v_add_nc_u64_e32 v[42:43], v[22:23], v[20:21]
	s_wait_dscnt 0x0
	global_store_b64 v[42:43], v[26:27], off offset:32
.LBB76_27:                              ;   in Loop: Header=BB76_10 Depth=1
	s_wait_xcnt 0x0
	s_or_b32 exec_lo, exec_lo, s23
	s_and_saveexec_b32 s23, s2
	s_cbranch_execz .LBB76_31
; %bb.28:                               ;   in Loop: Header=BB76_10 Depth=1
	s_and_not1_b32 vcc_lo, exec_lo, s4
	s_cbranch_vccnz .LBB76_36
; %bb.29:                               ;   in Loop: Header=BB76_10 Depth=1
	s_wait_dscnt 0x0
	ds_load_b64 v[26:27], v31 offset:64
	v_lshl_add_u64 v[42:43], v[14:15], 3, v[24:25]
	s_wait_dscnt 0x0
	global_store_b64 v[42:43], v[26:27], off
	s_cbranch_execnz .LBB76_31
.LBB76_30:                              ;   in Loop: Header=BB76_10 Depth=1
	s_wait_dscnt 0x0
	s_wait_xcnt 0x0
	ds_load_b64 v[26:27], v31 offset:64
	v_mov_b32_e32 v21, v5
	s_delay_alu instid0(VALU_DEP_1)
	v_add_nc_u64_e32 v[42:43], v[22:23], v[20:21]
	s_wait_dscnt 0x0
	global_store_b64 v[42:43], v[26:27], off offset:64
.LBB76_31:                              ;   in Loop: Header=BB76_10 Depth=1
	s_wait_xcnt 0x0
	s_or_b32 exec_lo, exec_lo, s23
	s_and_saveexec_b32 s23, s3
	s_cbranch_execz .LBB76_8
; %bb.32:                               ;   in Loop: Header=BB76_10 Depth=1
	s_and_not1_b32 vcc_lo, exec_lo, s4
	s_cbranch_vccnz .LBB76_37
; %bb.33:                               ;   in Loop: Header=BB76_10 Depth=1
	s_wait_dscnt 0x0
	ds_load_b64 v[26:27], v31 offset:96
	v_lshl_add_u64 v[24:25], v[16:17], 3, v[24:25]
	s_wait_dscnt 0x0
	global_store_b64 v[24:25], v[26:27], off
	s_cbranch_execnz .LBB76_8
	s_branch .LBB76_38
.LBB76_34:                              ;   in Loop: Header=BB76_10 Depth=1
	s_branch .LBB76_22
.LBB76_35:                              ;   in Loop: Header=BB76_10 Depth=1
	s_branch .LBB76_26
.LBB76_36:                              ;   in Loop: Header=BB76_10 Depth=1
	s_branch .LBB76_30
.LBB76_37:                              ;   in Loop: Header=BB76_10 Depth=1
.LBB76_38:                              ;   in Loop: Header=BB76_10 Depth=1
	s_wait_xcnt 0x0
	ds_load_b64 v[24:25], v31 offset:96
	v_mov_b32_e32 v21, v5
	s_delay_alu instid0(VALU_DEP_1)
	v_add_nc_u64_e32 v[22:23], v[22:23], v[20:21]
	s_wait_dscnt 0x0
	global_store_b64 v[22:23], v[24:25], off offset:96
	s_branch .LBB76_8
.LBB76_39:
	s_endpgm
	.section	.rodata,"a",@progbits
	.p2align	6, 0x0
	.amdhsa_kernel _ZN9rocsparseL42csr2bsr_wavefront_per_row_multipass_kernelILj256ELj64ELj16E21rocsparse_complex_numIfEiiEEv20rocsparse_direction_T4_S4_S4_S4_S4_21rocsparse_index_base_PKT2_PKT3_PKS4_S5_PS6_PS9_PS4_
		.amdhsa_group_segment_fixed_size 8196
		.amdhsa_private_segment_fixed_size 0
		.amdhsa_kernarg_size 88
		.amdhsa_user_sgpr_count 2
		.amdhsa_user_sgpr_dispatch_ptr 0
		.amdhsa_user_sgpr_queue_ptr 0
		.amdhsa_user_sgpr_kernarg_segment_ptr 1
		.amdhsa_user_sgpr_dispatch_id 0
		.amdhsa_user_sgpr_kernarg_preload_length 0
		.amdhsa_user_sgpr_kernarg_preload_offset 0
		.amdhsa_user_sgpr_private_segment_size 0
		.amdhsa_wavefront_size32 1
		.amdhsa_uses_dynamic_stack 0
		.amdhsa_enable_private_segment 0
		.amdhsa_system_sgpr_workgroup_id_x 1
		.amdhsa_system_sgpr_workgroup_id_y 0
		.amdhsa_system_sgpr_workgroup_id_z 0
		.amdhsa_system_sgpr_workgroup_info 0
		.amdhsa_system_vgpr_workitem_id 0
		.amdhsa_next_free_vgpr 44
		.amdhsa_next_free_sgpr 26
		.amdhsa_named_barrier_count 0
		.amdhsa_reserve_vcc 1
		.amdhsa_float_round_mode_32 0
		.amdhsa_float_round_mode_16_64 0
		.amdhsa_float_denorm_mode_32 3
		.amdhsa_float_denorm_mode_16_64 3
		.amdhsa_fp16_overflow 0
		.amdhsa_memory_ordered 1
		.amdhsa_forward_progress 1
		.amdhsa_inst_pref_size 15
		.amdhsa_round_robin_scheduling 0
		.amdhsa_exception_fp_ieee_invalid_op 0
		.amdhsa_exception_fp_denorm_src 0
		.amdhsa_exception_fp_ieee_div_zero 0
		.amdhsa_exception_fp_ieee_overflow 0
		.amdhsa_exception_fp_ieee_underflow 0
		.amdhsa_exception_fp_ieee_inexact 0
		.amdhsa_exception_int_div_zero 0
	.end_amdhsa_kernel
	.section	.text._ZN9rocsparseL42csr2bsr_wavefront_per_row_multipass_kernelILj256ELj64ELj16E21rocsparse_complex_numIfEiiEEv20rocsparse_direction_T4_S4_S4_S4_S4_21rocsparse_index_base_PKT2_PKT3_PKS4_S5_PS6_PS9_PS4_,"axG",@progbits,_ZN9rocsparseL42csr2bsr_wavefront_per_row_multipass_kernelILj256ELj64ELj16E21rocsparse_complex_numIfEiiEEv20rocsparse_direction_T4_S4_S4_S4_S4_21rocsparse_index_base_PKT2_PKT3_PKS4_S5_PS6_PS9_PS4_,comdat
.Lfunc_end76:
	.size	_ZN9rocsparseL42csr2bsr_wavefront_per_row_multipass_kernelILj256ELj64ELj16E21rocsparse_complex_numIfEiiEEv20rocsparse_direction_T4_S4_S4_S4_S4_21rocsparse_index_base_PKT2_PKT3_PKS4_S5_PS6_PS9_PS4_, .Lfunc_end76-_ZN9rocsparseL42csr2bsr_wavefront_per_row_multipass_kernelILj256ELj64ELj16E21rocsparse_complex_numIfEiiEEv20rocsparse_direction_T4_S4_S4_S4_S4_21rocsparse_index_base_PKT2_PKT3_PKS4_S5_PS6_PS9_PS4_
                                        ; -- End function
	.set _ZN9rocsparseL42csr2bsr_wavefront_per_row_multipass_kernelILj256ELj64ELj16E21rocsparse_complex_numIfEiiEEv20rocsparse_direction_T4_S4_S4_S4_S4_21rocsparse_index_base_PKT2_PKT3_PKS4_S5_PS6_PS9_PS4_.num_vgpr, 44
	.set _ZN9rocsparseL42csr2bsr_wavefront_per_row_multipass_kernelILj256ELj64ELj16E21rocsparse_complex_numIfEiiEEv20rocsparse_direction_T4_S4_S4_S4_S4_21rocsparse_index_base_PKT2_PKT3_PKS4_S5_PS6_PS9_PS4_.num_agpr, 0
	.set _ZN9rocsparseL42csr2bsr_wavefront_per_row_multipass_kernelILj256ELj64ELj16E21rocsparse_complex_numIfEiiEEv20rocsparse_direction_T4_S4_S4_S4_S4_21rocsparse_index_base_PKT2_PKT3_PKS4_S5_PS6_PS9_PS4_.numbered_sgpr, 26
	.set _ZN9rocsparseL42csr2bsr_wavefront_per_row_multipass_kernelILj256ELj64ELj16E21rocsparse_complex_numIfEiiEEv20rocsparse_direction_T4_S4_S4_S4_S4_21rocsparse_index_base_PKT2_PKT3_PKS4_S5_PS6_PS9_PS4_.num_named_barrier, 0
	.set _ZN9rocsparseL42csr2bsr_wavefront_per_row_multipass_kernelILj256ELj64ELj16E21rocsparse_complex_numIfEiiEEv20rocsparse_direction_T4_S4_S4_S4_S4_21rocsparse_index_base_PKT2_PKT3_PKS4_S5_PS6_PS9_PS4_.private_seg_size, 0
	.set _ZN9rocsparseL42csr2bsr_wavefront_per_row_multipass_kernelILj256ELj64ELj16E21rocsparse_complex_numIfEiiEEv20rocsparse_direction_T4_S4_S4_S4_S4_21rocsparse_index_base_PKT2_PKT3_PKS4_S5_PS6_PS9_PS4_.uses_vcc, 1
	.set _ZN9rocsparseL42csr2bsr_wavefront_per_row_multipass_kernelILj256ELj64ELj16E21rocsparse_complex_numIfEiiEEv20rocsparse_direction_T4_S4_S4_S4_S4_21rocsparse_index_base_PKT2_PKT3_PKS4_S5_PS6_PS9_PS4_.uses_flat_scratch, 0
	.set _ZN9rocsparseL42csr2bsr_wavefront_per_row_multipass_kernelILj256ELj64ELj16E21rocsparse_complex_numIfEiiEEv20rocsparse_direction_T4_S4_S4_S4_S4_21rocsparse_index_base_PKT2_PKT3_PKS4_S5_PS6_PS9_PS4_.has_dyn_sized_stack, 0
	.set _ZN9rocsparseL42csr2bsr_wavefront_per_row_multipass_kernelILj256ELj64ELj16E21rocsparse_complex_numIfEiiEEv20rocsparse_direction_T4_S4_S4_S4_S4_21rocsparse_index_base_PKT2_PKT3_PKS4_S5_PS6_PS9_PS4_.has_recursion, 0
	.set _ZN9rocsparseL42csr2bsr_wavefront_per_row_multipass_kernelILj256ELj64ELj16E21rocsparse_complex_numIfEiiEEv20rocsparse_direction_T4_S4_S4_S4_S4_21rocsparse_index_base_PKT2_PKT3_PKS4_S5_PS6_PS9_PS4_.has_indirect_call, 0
	.section	.AMDGPU.csdata,"",@progbits
; Kernel info:
; codeLenInByte = 1868
; TotalNumSgprs: 28
; NumVgprs: 44
; ScratchSize: 0
; MemoryBound: 0
; FloatMode: 240
; IeeeMode: 1
; LDSByteSize: 8196 bytes/workgroup (compile time only)
; SGPRBlocks: 0
; VGPRBlocks: 2
; NumSGPRsForWavesPerEU: 28
; NumVGPRsForWavesPerEU: 44
; NamedBarCnt: 0
; Occupancy: 16
; WaveLimiterHint : 0
; COMPUTE_PGM_RSRC2:SCRATCH_EN: 0
; COMPUTE_PGM_RSRC2:USER_SGPR: 2
; COMPUTE_PGM_RSRC2:TRAP_HANDLER: 0
; COMPUTE_PGM_RSRC2:TGID_X_EN: 1
; COMPUTE_PGM_RSRC2:TGID_Y_EN: 0
; COMPUTE_PGM_RSRC2:TGID_Z_EN: 0
; COMPUTE_PGM_RSRC2:TIDIG_COMP_CNT: 0
	.section	.text._ZN9rocsparseL42csr2bsr_wavefront_per_row_multipass_kernelILj256ELj32ELj16E21rocsparse_complex_numIfEiiEEv20rocsparse_direction_T4_S4_S4_S4_S4_21rocsparse_index_base_PKT2_PKT3_PKS4_S5_PS6_PS9_PS4_,"axG",@progbits,_ZN9rocsparseL42csr2bsr_wavefront_per_row_multipass_kernelILj256ELj32ELj16E21rocsparse_complex_numIfEiiEEv20rocsparse_direction_T4_S4_S4_S4_S4_21rocsparse_index_base_PKT2_PKT3_PKS4_S5_PS6_PS9_PS4_,comdat
	.globl	_ZN9rocsparseL42csr2bsr_wavefront_per_row_multipass_kernelILj256ELj32ELj16E21rocsparse_complex_numIfEiiEEv20rocsparse_direction_T4_S4_S4_S4_S4_21rocsparse_index_base_PKT2_PKT3_PKS4_S5_PS6_PS9_PS4_ ; -- Begin function _ZN9rocsparseL42csr2bsr_wavefront_per_row_multipass_kernelILj256ELj32ELj16E21rocsparse_complex_numIfEiiEEv20rocsparse_direction_T4_S4_S4_S4_S4_21rocsparse_index_base_PKT2_PKT3_PKS4_S5_PS6_PS9_PS4_
	.p2align	8
	.type	_ZN9rocsparseL42csr2bsr_wavefront_per_row_multipass_kernelILj256ELj32ELj16E21rocsparse_complex_numIfEiiEEv20rocsparse_direction_T4_S4_S4_S4_S4_21rocsparse_index_base_PKT2_PKT3_PKS4_S5_PS6_PS9_PS4_,@function
_ZN9rocsparseL42csr2bsr_wavefront_per_row_multipass_kernelILj256ELj32ELj16E21rocsparse_complex_numIfEiiEEv20rocsparse_direction_T4_S4_S4_S4_S4_21rocsparse_index_base_PKT2_PKT3_PKS4_S5_PS6_PS9_PS4_: ; @_ZN9rocsparseL42csr2bsr_wavefront_per_row_multipass_kernelILj256ELj32ELj16E21rocsparse_complex_numIfEiiEEv20rocsparse_direction_T4_S4_S4_S4_S4_21rocsparse_index_base_PKT2_PKT3_PKS4_S5_PS6_PS9_PS4_
; %bb.0:
	s_clause 0x1
	s_load_b128 s[8:11], s[0:1], 0xc
	s_load_b64 s[4:5], s[0:1], 0x0
	s_bfe_u32 s2, ttmp6, 0x4000c
	s_and_b32 s3, ttmp6, 15
	s_add_co_i32 s2, s2, 1
	s_getreg_b32 s6, hwreg(HW_REG_IB_STS2, 6, 4)
	s_mul_i32 s2, ttmp9, s2
	v_dual_mov_b32 v2, 0 :: v_dual_lshrrev_b32 v1, 5, v0
	s_add_co_i32 s3, s3, s2
	s_cmp_eq_u32 s6, 0
	v_bfe_u32 v3, v0, 1, 4
	s_cselect_b32 s2, ttmp9, s3
	s_load_b64 s[6:7], s[0:1], 0x28
	v_lshl_or_b32 v4, s2, 3, v1
	v_mov_b32_e32 v46, 0
	s_wait_kmcnt 0x0
	s_delay_alu instid0(VALU_DEP_2) | instskip(SKIP_1) | instid1(VALU_DEP_2)
	v_mad_u32 v5, v4, s10, v3
	v_cmp_gt_i32_e32 vcc_lo, s10, v3
	v_cmp_gt_i32_e64 s2, s5, v5
	s_and_b32 s2, vcc_lo, s2
	s_delay_alu instid0(SALU_CYCLE_1)
	s_and_saveexec_b32 s3, s2
	s_cbranch_execz .LBB77_2
; %bb.1:
	global_load_b32 v6, v5, s[6:7] scale_offset
	s_wait_loadcnt 0x0
	v_subrev_nc_u32_e32 v46, s11, v6
.LBB77_2:
	s_or_b32 exec_lo, exec_lo, s3
	v_mov_b32_e32 v36, 0
	s_and_saveexec_b32 s3, s2
	s_cbranch_execz .LBB77_4
; %bb.3:
	global_load_b32 v5, v5, s[6:7] offset:4 scale_offset
	s_wait_loadcnt 0x0
	v_subrev_nc_u32_e32 v36, s11, v5
.LBB77_4:
	s_or_b32 exec_lo, exec_lo, s3
	s_load_b32 s22, s[0:1], 0x38
	s_mov_b32 s3, exec_lo
	v_cmpx_gt_i32_e64 s8, v4
	s_cbranch_execz .LBB77_6
; %bb.5:
	s_load_b64 s[6:7], s[0:1], 0x48
	s_wait_kmcnt 0x0
	global_load_b32 v2, v4, s[6:7] scale_offset
	s_wait_loadcnt 0x0
	v_subrev_nc_u32_e32 v2, s22, v2
.LBB77_6:
	s_or_b32 exec_lo, exec_lo, s3
	s_cmp_lt_i32 s9, 1
	s_cbranch_scc1 .LBB77_59
; %bb.7:
	v_mbcnt_lo_u32_b32 v9, -1, 0
	s_load_b64 s[2:3], s[0:1], 0x40
	v_lshlrev_b32_e32 v4, 7, v3
	s_clause 0x2
	s_load_b64 s[12:13], s[0:1], 0x50
	s_load_b64 s[14:15], s[0:1], 0x30
	;; [unrolled: 1-line block ×3, first 2 shown]
	s_mov_b32 s19, 0
	v_xor_b32_e32 v5, 1, v9
	s_cmp_lg_u32 s4, 0
	v_lshl_or_b32 v37, v1, 11, v4
	s_mov_b32 s18, s10
	s_cselect_b32 s8, -1, 0
	s_wait_xcnt 0x0
	v_cmp_gt_i32_e64 s0, 32, v5
	v_and_b32_e32 v0, 1, v0
	s_mul_u64 s[20:21], s[18:19], s[18:19]
	s_lshl_b32 s18, s10, 1
	v_lshl_or_b32 v38, v9, 2, 4
	v_dual_cndmask_b32 v4, v9, v5, s0 :: v_dual_mov_b32 v5, 0
	v_xor_b32_e32 v8, 16, v9
	s_abs_i32 s23, s10
	v_or_b32_e32 v24, 14, v0
	s_delay_alu instid0(VALU_DEP_3) | instskip(NEXT) | instid1(VALU_DEP_3)
	v_dual_lshlrev_b32 v40, 2, v4 :: v_dual_lshlrev_b32 v4, 3, v3
	v_cmp_gt_i32_e64 s0, 32, v8
	s_cvt_f32_u32 s6, s23
	v_mov_b32_e32 v25, v5
	v_cmp_gt_u32_e64 s7, s10, v24
	s_wait_kmcnt 0x0
	v_add_nc_u64_e32 v[6:7], s[2:3], v[4:5]
	v_mul_lo_u32 v4, s10, v3
	v_dual_cndmask_b32 v12, v9, v8, s0 :: v_dual_bitop2_b32 v3, 8, v9 bitop3:0x14
	v_mul_lo_u32 v8, v0, s10
	v_mov_b64_e32 v[26:27], 0
	v_lshl_or_b32 v39, v0, 3, v37
	s_delay_alu instid0(VALU_DEP_4) | instskip(SKIP_4) | instid1(VALU_DEP_2)
	v_cmp_gt_i32_e64 s0, 32, v3
	v_dual_mov_b32 v29, 0 :: v_dual_bitop2_b32 v10, 4, v9 bitop3:0x14
	s_and_b32 s7, vcc_lo, s7
	s_mov_b32 s26, s19
	v_cndmask_b32_e64 v3, v9, v3, s0
	v_cmp_gt_i32_e64 s0, 32, v10
	v_dual_lshlrev_b32 v41, 2, v12 :: v_dual_bitop2_b32 v11, 2, v9 bitop3:0x14
	v_dual_mov_b32 v15, v5 :: v_dual_add_nc_u32 v12, s18, v8
	s_delay_alu instid0(VALU_DEP_3) | instskip(NEXT) | instid1(VALU_DEP_3)
	v_cndmask_b32_e64 v13, v9, v10, s0
	v_cmp_gt_i32_e64 s0, 32, v11
	v_dual_lshlrev_b32 v42, 2, v3 :: v_dual_bitop2_b32 v3, 2, v0 bitop3:0x54
	s_delay_alu instid0(VALU_DEP_3) | instskip(NEXT) | instid1(VALU_DEP_3)
	v_dual_mov_b32 v17, v5 :: v_dual_lshlrev_b32 v43, 2, v13
	v_cndmask_b32_e64 v9, v9, v11, s0
	v_lshl_add_u64 v[10:11], v[4:5], 3, s[2:3]
	v_dual_mov_b32 v13, v5 :: v_dual_bitop2_b32 v4, 4, v0 bitop3:0x54
	s_delay_alu instid0(VALU_DEP_3) | instskip(SKIP_1) | instid1(VALU_DEP_3)
	v_dual_add_nc_u32 v14, s18, v12 :: v_dual_lshlrev_b32 v44, 2, v9
	v_mov_b32_e32 v45, 0x7c
	v_cmp_gt_u32_e64 s2, s10, v4
	v_dual_mov_b32 v19, v5 :: v_dual_bitop2_b32 v4, 8, v0 bitop3:0x54
	v_mov_b32_e32 v9, v5
	v_cmp_gt_u32_e64 s1, s10, v3
	v_dual_add_nc_u32 v16, s18, v14 :: v_dual_bitop2_b32 v3, 6, v0 bitop3:0x54
	s_delay_alu instid0(VALU_DEP_4) | instskip(SKIP_2) | instid1(VALU_DEP_3)
	v_cmp_gt_u32_e64 s4, s10, v4
	v_rcp_iflag_f32_e32 v4, s6
	v_cmp_gt_u32_e64 s0, s10, v0
	v_cmp_gt_u32_e64 s3, s10, v3
	v_dual_mov_b32 v21, v5 :: v_dual_add_nc_u32 v18, s18, v16
	v_or_b32_e32 v3, 10, v0
	s_and_b32 s24, s0, vcc_lo
	s_delay_alu instid0(TRANS32_DEP_1) | instskip(NEXT) | instid1(VALU_DEP_3)
	v_readfirstlane_b32 s25, v4
	v_dual_mov_b32 v47, 1 :: v_dual_add_nc_u32 v20, s18, v18
	s_delay_alu instid0(VALU_DEP_3) | instskip(SKIP_4) | instid1(VALU_DEP_3)
	v_cmp_gt_u32_e64 s5, s10, v3
	v_dual_mov_b32 v23, v5 :: v_dual_bitop2_b32 v3, 12, v0 bitop3:0x54
	s_mul_f32 s0, s25, 0x4f7ffffe
	v_add_nc_u32_e32 v22, s18, v20
	v_lshlrev_b32_e32 v28, 3, v0
	v_cmp_gt_u32_e64 s6, s10, v3
	s_cvt_u32_f32 s0, s0
	s_and_b32 s1, vcc_lo, s1
	v_add_nc_u32_e32 v24, s18, v22
	s_sub_co_i32 s18, 0, s23
	s_and_b32 s2, vcc_lo, s2
	s_mul_i32 s18, s18, s0
	s_and_b32 s3, vcc_lo, s3
	s_mul_hi_u32 s18, s0, s18
	s_and_b32 s4, vcc_lo, s4
	s_and_b32 s5, vcc_lo, s5
	;; [unrolled: 1-line block ×3, first 2 shown]
	s_ashr_i32 s25, s10, 31
	s_add_co_i32 s18, s0, s18
	s_branch .LBB77_10
.LBB77_8:                               ;   in Loop: Header=BB77_10 Depth=1
	s_wait_xcnt 0x0
	s_or_b32 exec_lo, exec_lo, s27
	v_mov_b32_e32 v3, 1
.LBB77_9:                               ;   in Loop: Header=BB77_10 Depth=1
	s_or_b32 exec_lo, exec_lo, s0
	ds_bpermute_b32 v4, v41, v48
	s_wait_storecnt_dscnt 0x0
	v_dual_add_nc_u32 v2, v3, v2 :: v_dual_min_i32 v4, v4, v48
	ds_bpermute_b32 v29, v42, v4
	s_wait_dscnt 0x0
	v_min_i32_e32 v4, v29, v4
	ds_bpermute_b32 v29, v43, v4
	s_wait_dscnt 0x0
	v_min_i32_e32 v4, v29, v4
	;; [unrolled: 3-line block ×4, first 2 shown]
	ds_bpermute_b32 v29, v45, v4
	s_wait_dscnt 0x0
	v_cmp_le_i32_e32 vcc_lo, s9, v29
	s_or_b32 s26, vcc_lo, s26
	s_delay_alu instid0(SALU_CYCLE_1)
	s_and_not1_b32 exec_lo, exec_lo, s26
	s_cbranch_execz .LBB77_59
.LBB77_10:                              ; =>This Loop Header: Depth=1
                                        ;     Child Loop BB77_13 Depth 2
	v_dual_add_nc_u32 v30, v46, v0 :: v_dual_mov_b32 v48, s9
	v_mov_b32_e32 v31, v36
	s_mov_b32 s27, exec_lo
	ds_store_b8 v1, v5 offset:16384
	ds_store_2addr_b64 v39, v[26:27], v[26:27] offset1:2
	ds_store_2addr_b64 v39, v[26:27], v[26:27] offset0:4 offset1:6
	ds_store_2addr_b64 v39, v[26:27], v[26:27] offset0:8 offset1:10
	;; [unrolled: 1-line block ×3, first 2 shown]
	s_wait_dscnt 0x0
	v_cmpx_lt_i32_e64 v30, v36
	s_cbranch_execz .LBB77_18
; %bb.11:                               ;   in Loop: Header=BB77_10 Depth=1
	v_mul_lo_u32 v3, v29, s10
	v_dual_mov_b32 v48, s9 :: v_dual_mov_b32 v31, v36
	s_mov_b32 s28, 0
	s_branch .LBB77_13
.LBB77_12:                              ;   in Loop: Header=BB77_13 Depth=2
	s_wait_xcnt 0x0
	s_or_b32 exec_lo, exec_lo, s0
	v_add_nc_u32_e32 v30, 2, v30
	s_xor_b32 s29, vcc_lo, -1
	s_delay_alu instid0(VALU_DEP_1) | instskip(SKIP_1) | instid1(SALU_CYCLE_1)
	v_cmp_ge_i32_e64 s0, v30, v36
	s_or_b32 s0, s29, s0
	s_and_b32 s0, exec_lo, s0
	s_delay_alu instid0(SALU_CYCLE_1) | instskip(NEXT) | instid1(SALU_CYCLE_1)
	s_or_b32 s28, s0, s28
	s_and_not1_b32 exec_lo, exec_lo, s28
	s_cbranch_execz .LBB77_17
.LBB77_13:                              ;   Parent Loop BB77_10 Depth=1
                                        ; =>  This Inner Loop Header: Depth=2
	global_load_b32 v4, v30, s[14:15] scale_offset
	s_wait_loadcnt 0x0
	v_subrev_nc_u32_e32 v32, s11, v4
	s_delay_alu instid0(VALU_DEP_1) | instskip(NEXT) | instid1(VALU_DEP_1)
	v_sub_nc_u32_e32 v4, 0, v32
	v_max_i32_e32 v4, v32, v4
	s_delay_alu instid0(VALU_DEP_1) | instskip(NEXT) | instid1(VALU_DEP_1)
	v_mul_u64_e32 v[34:35], s[18:19], v[4:5]
	v_mul_lo_u32 v33, v35, s23
	s_delay_alu instid0(VALU_DEP_1) | instskip(NEXT) | instid1(VALU_DEP_1)
	v_dual_sub_nc_u32 v4, v4, v33 :: v_dual_add_nc_u32 v33, 1, v35
	v_cmp_le_u32_e32 vcc_lo, s23, v4
	s_delay_alu instid0(VALU_DEP_2) | instskip(SKIP_1) | instid1(VALU_DEP_1)
	v_dual_cndmask_b32 v33, v35, v33, vcc_lo :: v_dual_ashrrev_i32 v35, 31, v32
	v_subrev_nc_u32_e32 v34, s23, v4
	v_dual_cndmask_b32 v4, v4, v34, vcc_lo :: v_dual_add_nc_u32 v34, 1, v33
	s_delay_alu instid0(VALU_DEP_1) | instskip(NEXT) | instid1(VALU_DEP_2)
	v_cmp_le_u32_e32 vcc_lo, s23, v4
	v_dual_cndmask_b32 v4, v33, v34, vcc_lo :: v_dual_bitop2_b32 v35, s25, v35 bitop3:0x14
	s_delay_alu instid0(VALU_DEP_1) | instskip(NEXT) | instid1(VALU_DEP_1)
	v_xor_b32_e32 v4, v4, v35
	v_dual_mov_b32 v4, v31 :: v_dual_sub_nc_u32 v33, v4, v35
	s_delay_alu instid0(VALU_DEP_1) | instskip(SKIP_3) | instid1(SALU_CYCLE_1)
	v_cmp_ne_u32_e64 s0, v33, v29
	v_cmp_eq_u32_e32 vcc_lo, v33, v29
	s_wait_xcnt 0x0
	s_and_saveexec_b32 s29, s0
	s_xor_b32 s0, exec_lo, s29
; %bb.14:                               ;   in Loop: Header=BB77_13 Depth=2
	v_min_i32_e32 v48, v33, v48
                                        ; implicit-def: $vgpr32
                                        ; implicit-def: $vgpr4
; %bb.15:                               ;   in Loop: Header=BB77_13 Depth=2
	s_or_saveexec_b32 s0, s0
	v_mov_b32_e32 v31, v30
	s_xor_b32 exec_lo, exec_lo, s0
	s_cbranch_execz .LBB77_12
; %bb.16:                               ;   in Loop: Header=BB77_13 Depth=2
	v_ashrrev_i32_e32 v31, 31, v30
	s_delay_alu instid0(VALU_DEP_1)
	v_lshl_add_u64 v[34:35], v[30:31], 3, s[16:17]
	v_sub_nc_u32_e32 v31, v32, v3
	global_load_b64 v[34:35], v[34:35], off
	v_lshl_add_u32 v32, v31, 3, v37
	v_mov_b32_e32 v31, v4
	ds_store_b8 v1, v47 offset:16384
	s_wait_loadcnt 0x0
	ds_store_b64 v32, v[34:35]
	s_branch .LBB77_12
.LBB77_17:                              ;   in Loop: Header=BB77_10 Depth=1
	s_or_b32 exec_lo, exec_lo, s28
.LBB77_18:                              ;   in Loop: Header=BB77_10 Depth=1
	s_delay_alu instid0(SALU_CYCLE_1)
	s_or_b32 exec_lo, exec_lo, s27
	ds_bpermute_b32 v3, v40, v31
	s_wait_dscnt 0x0
	ds_load_u8 v4, v1 offset:16384
	v_min_i32_e32 v3, v3, v31
	ds_bpermute_b32 v46, v38, v3
	s_wait_dscnt 0x1
	v_and_b32_e32 v3, 1, v4
	s_delay_alu instid0(VALU_DEP_1)
	v_cmp_eq_u32_e32 vcc_lo, 1, v3
	v_mov_b32_e32 v3, 0
	s_and_saveexec_b32 s0, vcc_lo
	s_cbranch_execz .LBB77_9
; %bb.19:                               ;   in Loop: Header=BB77_10 Depth=1
	v_ashrrev_i32_e32 v3, 31, v2
	s_delay_alu instid0(VALU_DEP_1) | instskip(SKIP_3) | instid1(VALU_DEP_1)
	v_mul_u64_e32 v[30:31], s[20:21], v[2:3]
	v_add_nc_u32_e32 v3, s22, v29
	global_store_b32 v2, v3, s[12:13] scale_offset
	v_lshlrev_b64_e32 v[30:31], 3, v[30:31]
	v_add_nc_u64_e32 v[32:33], v[6:7], v[30:31]
	v_add_nc_u64_e32 v[30:31], v[10:11], v[30:31]
	s_wait_xcnt 0x0
	s_and_saveexec_b32 s27, s24
	s_cbranch_execz .LBB77_23
; %bb.20:                               ;   in Loop: Header=BB77_10 Depth=1
	ds_load_b64 v[34:35], v39
	s_and_b32 vcc_lo, exec_lo, s8
	s_cbranch_vccz .LBB77_50
; %bb.21:                               ;   in Loop: Header=BB77_10 Depth=1
	v_lshl_add_u64 v[50:51], v[8:9], 3, v[32:33]
	s_wait_dscnt 0x0
	global_store_b64 v[50:51], v[34:35], off
	s_cbranch_execnz .LBB77_23
.LBB77_22:                              ;   in Loop: Header=BB77_10 Depth=1
	v_mov_b32_e32 v29, v5
	s_wait_xcnt 0x0
	s_delay_alu instid0(VALU_DEP_1)
	v_add_nc_u64_e32 v[50:51], v[30:31], v[28:29]
	s_wait_dscnt 0x0
	global_store_b64 v[50:51], v[34:35], off
.LBB77_23:                              ;   in Loop: Header=BB77_10 Depth=1
	s_wait_xcnt 0x0
	s_or_b32 exec_lo, exec_lo, s27
	s_and_saveexec_b32 s27, s1
	s_cbranch_execz .LBB77_27
; %bb.24:                               ;   in Loop: Header=BB77_10 Depth=1
	s_and_not1_b32 vcc_lo, exec_lo, s8
	s_cbranch_vccnz .LBB77_51
; %bb.25:                               ;   in Loop: Header=BB77_10 Depth=1
	s_wait_dscnt 0x0
	ds_load_b64 v[34:35], v39 offset:16
	v_lshl_add_u64 v[50:51], v[12:13], 3, v[32:33]
	s_wait_dscnt 0x0
	global_store_b64 v[50:51], v[34:35], off
	s_cbranch_execnz .LBB77_27
.LBB77_26:                              ;   in Loop: Header=BB77_10 Depth=1
	s_wait_dscnt 0x0
	s_wait_xcnt 0x0
	ds_load_b64 v[34:35], v39 offset:16
	v_mov_b32_e32 v29, v5
	s_delay_alu instid0(VALU_DEP_1)
	v_add_nc_u64_e32 v[50:51], v[30:31], v[28:29]
	s_wait_dscnt 0x0
	global_store_b64 v[50:51], v[34:35], off offset:16
.LBB77_27:                              ;   in Loop: Header=BB77_10 Depth=1
	s_wait_xcnt 0x0
	s_or_b32 exec_lo, exec_lo, s27
	s_and_saveexec_b32 s27, s2
	s_cbranch_execz .LBB77_31
; %bb.28:                               ;   in Loop: Header=BB77_10 Depth=1
	s_and_not1_b32 vcc_lo, exec_lo, s8
	s_cbranch_vccnz .LBB77_52
; %bb.29:                               ;   in Loop: Header=BB77_10 Depth=1
	s_wait_dscnt 0x0
	ds_load_b64 v[34:35], v39 offset:32
	v_lshl_add_u64 v[50:51], v[14:15], 3, v[32:33]
	s_wait_dscnt 0x0
	global_store_b64 v[50:51], v[34:35], off
	s_cbranch_execnz .LBB77_31
.LBB77_30:                              ;   in Loop: Header=BB77_10 Depth=1
	s_wait_dscnt 0x0
	s_wait_xcnt 0x0
	ds_load_b64 v[34:35], v39 offset:32
	v_mov_b32_e32 v29, v5
	s_delay_alu instid0(VALU_DEP_1)
	v_add_nc_u64_e32 v[50:51], v[30:31], v[28:29]
	s_wait_dscnt 0x0
	global_store_b64 v[50:51], v[34:35], off offset:32
.LBB77_31:                              ;   in Loop: Header=BB77_10 Depth=1
	s_wait_xcnt 0x0
	s_or_b32 exec_lo, exec_lo, s27
	s_and_saveexec_b32 s27, s3
	s_cbranch_execz .LBB77_35
; %bb.32:                               ;   in Loop: Header=BB77_10 Depth=1
	s_and_not1_b32 vcc_lo, exec_lo, s8
	s_cbranch_vccnz .LBB77_53
; %bb.33:                               ;   in Loop: Header=BB77_10 Depth=1
	s_wait_dscnt 0x0
	ds_load_b64 v[34:35], v39 offset:48
	v_lshl_add_u64 v[50:51], v[16:17], 3, v[32:33]
	s_wait_dscnt 0x0
	global_store_b64 v[50:51], v[34:35], off
	s_cbranch_execnz .LBB77_35
.LBB77_34:                              ;   in Loop: Header=BB77_10 Depth=1
	s_wait_dscnt 0x0
	s_wait_xcnt 0x0
	ds_load_b64 v[34:35], v39 offset:48
	v_mov_b32_e32 v29, v5
	s_delay_alu instid0(VALU_DEP_1)
	v_add_nc_u64_e32 v[50:51], v[30:31], v[28:29]
	s_wait_dscnt 0x0
	global_store_b64 v[50:51], v[34:35], off offset:48
.LBB77_35:                              ;   in Loop: Header=BB77_10 Depth=1
	s_wait_xcnt 0x0
	s_or_b32 exec_lo, exec_lo, s27
	s_and_saveexec_b32 s27, s4
	s_cbranch_execz .LBB77_39
; %bb.36:                               ;   in Loop: Header=BB77_10 Depth=1
	s_and_not1_b32 vcc_lo, exec_lo, s8
	s_cbranch_vccnz .LBB77_54
; %bb.37:                               ;   in Loop: Header=BB77_10 Depth=1
	s_wait_dscnt 0x0
	ds_load_b64 v[34:35], v39 offset:64
	v_lshl_add_u64 v[50:51], v[18:19], 3, v[32:33]
	s_wait_dscnt 0x0
	global_store_b64 v[50:51], v[34:35], off
	s_cbranch_execnz .LBB77_39
.LBB77_38:                              ;   in Loop: Header=BB77_10 Depth=1
	s_wait_dscnt 0x0
	s_wait_xcnt 0x0
	ds_load_b64 v[34:35], v39 offset:64
	v_mov_b32_e32 v29, v5
	s_delay_alu instid0(VALU_DEP_1)
	v_add_nc_u64_e32 v[50:51], v[30:31], v[28:29]
	s_wait_dscnt 0x0
	global_store_b64 v[50:51], v[34:35], off offset:64
.LBB77_39:                              ;   in Loop: Header=BB77_10 Depth=1
	s_wait_xcnt 0x0
	s_or_b32 exec_lo, exec_lo, s27
	s_and_saveexec_b32 s27, s5
	s_cbranch_execz .LBB77_43
; %bb.40:                               ;   in Loop: Header=BB77_10 Depth=1
	s_and_not1_b32 vcc_lo, exec_lo, s8
	s_cbranch_vccnz .LBB77_55
; %bb.41:                               ;   in Loop: Header=BB77_10 Depth=1
	s_wait_dscnt 0x0
	ds_load_b64 v[34:35], v39 offset:80
	v_lshl_add_u64 v[50:51], v[20:21], 3, v[32:33]
	s_wait_dscnt 0x0
	global_store_b64 v[50:51], v[34:35], off
	s_cbranch_execnz .LBB77_43
.LBB77_42:                              ;   in Loop: Header=BB77_10 Depth=1
	s_wait_dscnt 0x0
	s_wait_xcnt 0x0
	ds_load_b64 v[34:35], v39 offset:80
	v_mov_b32_e32 v29, v5
	s_delay_alu instid0(VALU_DEP_1)
	v_add_nc_u64_e32 v[50:51], v[30:31], v[28:29]
	s_wait_dscnt 0x0
	global_store_b64 v[50:51], v[34:35], off offset:80
.LBB77_43:                              ;   in Loop: Header=BB77_10 Depth=1
	s_wait_xcnt 0x0
	s_or_b32 exec_lo, exec_lo, s27
	s_and_saveexec_b32 s27, s6
	s_cbranch_execz .LBB77_47
; %bb.44:                               ;   in Loop: Header=BB77_10 Depth=1
	s_and_not1_b32 vcc_lo, exec_lo, s8
	s_cbranch_vccnz .LBB77_56
; %bb.45:                               ;   in Loop: Header=BB77_10 Depth=1
	s_wait_dscnt 0x0
	ds_load_b64 v[34:35], v39 offset:96
	v_lshl_add_u64 v[50:51], v[22:23], 3, v[32:33]
	s_wait_dscnt 0x0
	global_store_b64 v[50:51], v[34:35], off
	s_cbranch_execnz .LBB77_47
.LBB77_46:                              ;   in Loop: Header=BB77_10 Depth=1
	s_wait_dscnt 0x0
	s_wait_xcnt 0x0
	ds_load_b64 v[34:35], v39 offset:96
	v_mov_b32_e32 v29, v5
	s_delay_alu instid0(VALU_DEP_1)
	v_add_nc_u64_e32 v[50:51], v[30:31], v[28:29]
	s_wait_dscnt 0x0
	global_store_b64 v[50:51], v[34:35], off offset:96
.LBB77_47:                              ;   in Loop: Header=BB77_10 Depth=1
	s_wait_xcnt 0x0
	s_or_b32 exec_lo, exec_lo, s27
	s_and_saveexec_b32 s27, s7
	s_cbranch_execz .LBB77_8
; %bb.48:                               ;   in Loop: Header=BB77_10 Depth=1
	s_and_not1_b32 vcc_lo, exec_lo, s8
	s_cbranch_vccnz .LBB77_57
; %bb.49:                               ;   in Loop: Header=BB77_10 Depth=1
	s_wait_dscnt 0x0
	ds_load_b64 v[34:35], v39 offset:112
	v_lshl_add_u64 v[32:33], v[24:25], 3, v[32:33]
	s_wait_dscnt 0x0
	global_store_b64 v[32:33], v[34:35], off
	s_cbranch_execnz .LBB77_8
	s_branch .LBB77_58
.LBB77_50:                              ;   in Loop: Header=BB77_10 Depth=1
	s_branch .LBB77_22
.LBB77_51:                              ;   in Loop: Header=BB77_10 Depth=1
	s_branch .LBB77_26
.LBB77_52:                              ;   in Loop: Header=BB77_10 Depth=1
	s_branch .LBB77_30
.LBB77_53:                              ;   in Loop: Header=BB77_10 Depth=1
	s_branch .LBB77_34
.LBB77_54:                              ;   in Loop: Header=BB77_10 Depth=1
	s_branch .LBB77_38
.LBB77_55:                              ;   in Loop: Header=BB77_10 Depth=1
	s_branch .LBB77_42
.LBB77_56:                              ;   in Loop: Header=BB77_10 Depth=1
	s_branch .LBB77_46
.LBB77_57:                              ;   in Loop: Header=BB77_10 Depth=1
.LBB77_58:                              ;   in Loop: Header=BB77_10 Depth=1
	s_wait_xcnt 0x0
	ds_load_b64 v[32:33], v39 offset:112
	v_mov_b32_e32 v29, v5
	s_delay_alu instid0(VALU_DEP_1)
	v_add_nc_u64_e32 v[30:31], v[30:31], v[28:29]
	s_wait_dscnt 0x0
	global_store_b64 v[30:31], v[32:33], off offset:112
	s_branch .LBB77_8
.LBB77_59:
	s_endpgm
	.section	.rodata,"a",@progbits
	.p2align	6, 0x0
	.amdhsa_kernel _ZN9rocsparseL42csr2bsr_wavefront_per_row_multipass_kernelILj256ELj32ELj16E21rocsparse_complex_numIfEiiEEv20rocsparse_direction_T4_S4_S4_S4_S4_21rocsparse_index_base_PKT2_PKT3_PKS4_S5_PS6_PS9_PS4_
		.amdhsa_group_segment_fixed_size 16392
		.amdhsa_private_segment_fixed_size 0
		.amdhsa_kernarg_size 88
		.amdhsa_user_sgpr_count 2
		.amdhsa_user_sgpr_dispatch_ptr 0
		.amdhsa_user_sgpr_queue_ptr 0
		.amdhsa_user_sgpr_kernarg_segment_ptr 1
		.amdhsa_user_sgpr_dispatch_id 0
		.amdhsa_user_sgpr_kernarg_preload_length 0
		.amdhsa_user_sgpr_kernarg_preload_offset 0
		.amdhsa_user_sgpr_private_segment_size 0
		.amdhsa_wavefront_size32 1
		.amdhsa_uses_dynamic_stack 0
		.amdhsa_enable_private_segment 0
		.amdhsa_system_sgpr_workgroup_id_x 1
		.amdhsa_system_sgpr_workgroup_id_y 0
		.amdhsa_system_sgpr_workgroup_id_z 0
		.amdhsa_system_sgpr_workgroup_info 0
		.amdhsa_system_vgpr_workitem_id 0
		.amdhsa_next_free_vgpr 52
		.amdhsa_next_free_sgpr 30
		.amdhsa_named_barrier_count 0
		.amdhsa_reserve_vcc 1
		.amdhsa_float_round_mode_32 0
		.amdhsa_float_round_mode_16_64 0
		.amdhsa_float_denorm_mode_32 3
		.amdhsa_float_denorm_mode_16_64 3
		.amdhsa_fp16_overflow 0
		.amdhsa_memory_ordered 1
		.amdhsa_forward_progress 1
		.amdhsa_inst_pref_size 19
		.amdhsa_round_robin_scheduling 0
		.amdhsa_exception_fp_ieee_invalid_op 0
		.amdhsa_exception_fp_denorm_src 0
		.amdhsa_exception_fp_ieee_div_zero 0
		.amdhsa_exception_fp_ieee_overflow 0
		.amdhsa_exception_fp_ieee_underflow 0
		.amdhsa_exception_fp_ieee_inexact 0
		.amdhsa_exception_int_div_zero 0
	.end_amdhsa_kernel
	.section	.text._ZN9rocsparseL42csr2bsr_wavefront_per_row_multipass_kernelILj256ELj32ELj16E21rocsparse_complex_numIfEiiEEv20rocsparse_direction_T4_S4_S4_S4_S4_21rocsparse_index_base_PKT2_PKT3_PKS4_S5_PS6_PS9_PS4_,"axG",@progbits,_ZN9rocsparseL42csr2bsr_wavefront_per_row_multipass_kernelILj256ELj32ELj16E21rocsparse_complex_numIfEiiEEv20rocsparse_direction_T4_S4_S4_S4_S4_21rocsparse_index_base_PKT2_PKT3_PKS4_S5_PS6_PS9_PS4_,comdat
.Lfunc_end77:
	.size	_ZN9rocsparseL42csr2bsr_wavefront_per_row_multipass_kernelILj256ELj32ELj16E21rocsparse_complex_numIfEiiEEv20rocsparse_direction_T4_S4_S4_S4_S4_21rocsparse_index_base_PKT2_PKT3_PKS4_S5_PS6_PS9_PS4_, .Lfunc_end77-_ZN9rocsparseL42csr2bsr_wavefront_per_row_multipass_kernelILj256ELj32ELj16E21rocsparse_complex_numIfEiiEEv20rocsparse_direction_T4_S4_S4_S4_S4_21rocsparse_index_base_PKT2_PKT3_PKS4_S5_PS6_PS9_PS4_
                                        ; -- End function
	.set _ZN9rocsparseL42csr2bsr_wavefront_per_row_multipass_kernelILj256ELj32ELj16E21rocsparse_complex_numIfEiiEEv20rocsparse_direction_T4_S4_S4_S4_S4_21rocsparse_index_base_PKT2_PKT3_PKS4_S5_PS6_PS9_PS4_.num_vgpr, 52
	.set _ZN9rocsparseL42csr2bsr_wavefront_per_row_multipass_kernelILj256ELj32ELj16E21rocsparse_complex_numIfEiiEEv20rocsparse_direction_T4_S4_S4_S4_S4_21rocsparse_index_base_PKT2_PKT3_PKS4_S5_PS6_PS9_PS4_.num_agpr, 0
	.set _ZN9rocsparseL42csr2bsr_wavefront_per_row_multipass_kernelILj256ELj32ELj16E21rocsparse_complex_numIfEiiEEv20rocsparse_direction_T4_S4_S4_S4_S4_21rocsparse_index_base_PKT2_PKT3_PKS4_S5_PS6_PS9_PS4_.numbered_sgpr, 30
	.set _ZN9rocsparseL42csr2bsr_wavefront_per_row_multipass_kernelILj256ELj32ELj16E21rocsparse_complex_numIfEiiEEv20rocsparse_direction_T4_S4_S4_S4_S4_21rocsparse_index_base_PKT2_PKT3_PKS4_S5_PS6_PS9_PS4_.num_named_barrier, 0
	.set _ZN9rocsparseL42csr2bsr_wavefront_per_row_multipass_kernelILj256ELj32ELj16E21rocsparse_complex_numIfEiiEEv20rocsparse_direction_T4_S4_S4_S4_S4_21rocsparse_index_base_PKT2_PKT3_PKS4_S5_PS6_PS9_PS4_.private_seg_size, 0
	.set _ZN9rocsparseL42csr2bsr_wavefront_per_row_multipass_kernelILj256ELj32ELj16E21rocsparse_complex_numIfEiiEEv20rocsparse_direction_T4_S4_S4_S4_S4_21rocsparse_index_base_PKT2_PKT3_PKS4_S5_PS6_PS9_PS4_.uses_vcc, 1
	.set _ZN9rocsparseL42csr2bsr_wavefront_per_row_multipass_kernelILj256ELj32ELj16E21rocsparse_complex_numIfEiiEEv20rocsparse_direction_T4_S4_S4_S4_S4_21rocsparse_index_base_PKT2_PKT3_PKS4_S5_PS6_PS9_PS4_.uses_flat_scratch, 0
	.set _ZN9rocsparseL42csr2bsr_wavefront_per_row_multipass_kernelILj256ELj32ELj16E21rocsparse_complex_numIfEiiEEv20rocsparse_direction_T4_S4_S4_S4_S4_21rocsparse_index_base_PKT2_PKT3_PKS4_S5_PS6_PS9_PS4_.has_dyn_sized_stack, 0
	.set _ZN9rocsparseL42csr2bsr_wavefront_per_row_multipass_kernelILj256ELj32ELj16E21rocsparse_complex_numIfEiiEEv20rocsparse_direction_T4_S4_S4_S4_S4_21rocsparse_index_base_PKT2_PKT3_PKS4_S5_PS6_PS9_PS4_.has_recursion, 0
	.set _ZN9rocsparseL42csr2bsr_wavefront_per_row_multipass_kernelILj256ELj32ELj16E21rocsparse_complex_numIfEiiEEv20rocsparse_direction_T4_S4_S4_S4_S4_21rocsparse_index_base_PKT2_PKT3_PKS4_S5_PS6_PS9_PS4_.has_indirect_call, 0
	.section	.AMDGPU.csdata,"",@progbits
; Kernel info:
; codeLenInByte = 2396
; TotalNumSgprs: 32
; NumVgprs: 52
; ScratchSize: 0
; MemoryBound: 0
; FloatMode: 240
; IeeeMode: 1
; LDSByteSize: 16392 bytes/workgroup (compile time only)
; SGPRBlocks: 0
; VGPRBlocks: 3
; NumSGPRsForWavesPerEU: 32
; NumVGPRsForWavesPerEU: 52
; NamedBarCnt: 0
; Occupancy: 16
; WaveLimiterHint : 0
; COMPUTE_PGM_RSRC2:SCRATCH_EN: 0
; COMPUTE_PGM_RSRC2:USER_SGPR: 2
; COMPUTE_PGM_RSRC2:TRAP_HANDLER: 0
; COMPUTE_PGM_RSRC2:TGID_X_EN: 1
; COMPUTE_PGM_RSRC2:TGID_Y_EN: 0
; COMPUTE_PGM_RSRC2:TGID_Z_EN: 0
; COMPUTE_PGM_RSRC2:TIDIG_COMP_CNT: 0
	.section	.text._ZN9rocsparseL38csr2bsr_block_per_row_multipass_kernelILj256ELj32E21rocsparse_complex_numIfEiiEEv20rocsparse_direction_T3_S4_S4_S4_S4_21rocsparse_index_base_PKT1_PKT2_PKS4_S5_PS6_PS9_PS4_,"axG",@progbits,_ZN9rocsparseL38csr2bsr_block_per_row_multipass_kernelILj256ELj32E21rocsparse_complex_numIfEiiEEv20rocsparse_direction_T3_S4_S4_S4_S4_21rocsparse_index_base_PKT1_PKT2_PKS4_S5_PS6_PS9_PS4_,comdat
	.globl	_ZN9rocsparseL38csr2bsr_block_per_row_multipass_kernelILj256ELj32E21rocsparse_complex_numIfEiiEEv20rocsparse_direction_T3_S4_S4_S4_S4_21rocsparse_index_base_PKT1_PKT2_PKS4_S5_PS6_PS9_PS4_ ; -- Begin function _ZN9rocsparseL38csr2bsr_block_per_row_multipass_kernelILj256ELj32E21rocsparse_complex_numIfEiiEEv20rocsparse_direction_T3_S4_S4_S4_S4_21rocsparse_index_base_PKT1_PKT2_PKS4_S5_PS6_PS9_PS4_
	.p2align	8
	.type	_ZN9rocsparseL38csr2bsr_block_per_row_multipass_kernelILj256ELj32E21rocsparse_complex_numIfEiiEEv20rocsparse_direction_T3_S4_S4_S4_S4_21rocsparse_index_base_PKT1_PKT2_PKS4_S5_PS6_PS9_PS4_,@function
_ZN9rocsparseL38csr2bsr_block_per_row_multipass_kernelILj256ELj32E21rocsparse_complex_numIfEiiEEv20rocsparse_direction_T3_S4_S4_S4_S4_21rocsparse_index_base_PKT1_PKT2_PKS4_S5_PS6_PS9_PS4_: ; @_ZN9rocsparseL38csr2bsr_block_per_row_multipass_kernelILj256ELj32E21rocsparse_complex_numIfEiiEEv20rocsparse_direction_T3_S4_S4_S4_S4_21rocsparse_index_base_PKT1_PKT2_PKS4_S5_PS6_PS9_PS4_
; %bb.0:
	s_clause 0x1
	s_load_b96 s[12:14], s[0:1], 0x10
	s_load_b64 s[28:29], s[0:1], 0x0
	s_bfe_u32 s2, ttmp6, 0x4000c
	s_and_b32 s3, ttmp6, 15
	s_add_co_i32 s2, s2, 1
	s_getreg_b32 s4, hwreg(HW_REG_IB_STS2, 6, 4)
	s_mul_i32 s2, ttmp9, s2
	v_dual_mov_b32 v22, 0 :: v_dual_lshrrev_b32 v1, 3, v0
	s_add_co_i32 s3, s3, s2
	s_cmp_eq_u32 s4, 0
	s_load_b64 s[4:5], s[0:1], 0x28
	s_cselect_b32 s6, ttmp9, s3
	v_mov_b32_e32 v30, 0
	s_wait_kmcnt 0x0
	v_mad_u32 v2, s13, s6, v1
	v_cmp_gt_i32_e32 vcc_lo, s13, v1
	s_delay_alu instid0(VALU_DEP_2) | instskip(SKIP_1) | instid1(SALU_CYCLE_1)
	v_cmp_gt_i32_e64 s2, s29, v2
	s_and_b32 s2, vcc_lo, s2
	s_and_saveexec_b32 s3, s2
	s_cbranch_execnz .LBB78_3
; %bb.1:
	s_or_b32 exec_lo, exec_lo, s3
	s_and_saveexec_b32 s3, s2
	s_cbranch_execnz .LBB78_4
.LBB78_2:
	s_or_b32 exec_lo, exec_lo, s3
	s_cmp_lt_i32 s12, 1
	s_cbranch_scc0 .LBB78_5
	s_branch .LBB78_53
.LBB78_3:
	global_load_b32 v3, v2, s[4:5] scale_offset
	s_wait_loadcnt 0x0
	v_subrev_nc_u32_e32 v30, s14, v3
	s_or_b32 exec_lo, exec_lo, s3
	s_and_saveexec_b32 s3, s2
	s_cbranch_execz .LBB78_2
.LBB78_4:
	global_load_b32 v2, v2, s[4:5] offset:4 scale_offset
	s_wait_loadcnt 0x0
	v_subrev_nc_u32_e32 v22, s14, v2
	s_or_b32 exec_lo, exec_lo, s3
	s_cmp_lt_i32 s12, 1
	s_cbranch_scc1 .LBB78_53
.LBB78_5:
	s_clause 0x3
	s_load_b128 s[8:11], s[0:1], 0x40
	s_load_b64 s[20:21], s[0:1], 0x50
	s_load_b96 s[16:18], s[0:1], 0x30
	s_load_b64 s[22:23], s[0:1], 0x20
	s_ashr_i32 s7, s6, 31
	v_mbcnt_lo_u32_b32 v6, -1, 0
	s_lshl_b64 s[6:7], s[6:7], 2
	v_dual_mov_b32 v3, 0 :: v_dual_lshlrev_b32 v2, 3, v1
	v_dual_lshlrev_b32 v24, 8, v1 :: v_dual_bitop2_b32 v23, 7, v0 bitop3:0x40
	s_delay_alu instid0(VALU_DEP_3)
	v_xor_b32_e32 v8, 2, v6
	v_xor_b32_e32 v7, 4, v6
	s_mov_b32 s25, 0
	s_mov_b32 s24, s13
	v_lshl_or_b32 v26, v6, 2, 28
	v_dual_lshlrev_b32 v25, 2, v0 :: v_dual_lshlrev_b32 v14, 3, v23
	s_wait_xcnt 0x0
	v_cmp_gt_u32_e64 s0, 0x80, v0
	v_cmp_gt_u32_e64 s1, 64, v0
	s_wait_kmcnt 0x0
	s_add_nc_u64 s[10:11], s[10:11], s[6:7]
	v_cmp_gt_i32_e64 s7, 32, v7
	s_load_b32 s15, s[10:11], 0x0
	v_add_nc_u64_e32 v[4:5], s[8:9], v[2:3]
	v_mul_lo_u32 v2, s13, v1
	v_dual_mov_b32 v15, v3 :: v_dual_bitop2_b32 v1, 1, v6 bitop3:0x14
	v_cndmask_b32_e64 v7, v6, v7, s7
	v_cmp_gt_i32_e64 s7, 32, v8
	s_wait_xcnt 0x0
	s_mul_u64 s[10:11], s[24:25], s[24:25]
	v_cmp_gt_u32_e64 s2, 32, v0
	v_cmp_gt_u32_e64 s3, 16, v0
	;; [unrolled: 1-line block ×3, first 2 shown]
	v_cndmask_b32_e64 v8, v6, v8, s7
	v_cmp_gt_i32_e64 s7, 32, v1
	v_lshlrev_b32_e32 v27, 2, v7
	v_cmp_gt_u32_e64 s5, 4, v0
	v_cmp_gt_u32_e64 s6, 2, v0
	s_delay_alu instid0(VALU_DEP_4)
	v_dual_cndmask_b32 v1, v6, v1, s7 :: v_dual_bitop2_b32 v10, 24, v23 bitop3:0x54
	v_lshlrev_b32_e32 v28, 2, v8
	v_mul_lo_u32 v8, v23, s13
	s_wait_kmcnt 0x0
	s_sub_co_i32 s26, s15, s18
	s_cmp_lg_u32 s28, 0
	v_lshlrev_b32_e32 v29, 2, v1
	s_cselect_b32 s15, -1, 0
	s_abs_i32 s19, s13
	v_dual_mov_b32 v9, v3 :: v_dual_bitop2_b32 v1, 8, v23 bitop3:0x54
	s_cvt_f32_u32 s24, s19
	v_lshl_add_u64 v[6:7], v[2:3], 3, s[8:9]
	v_cmp_gt_u32_e64 s8, s13, v23
	s_delay_alu instid0(VALU_DEP_3)
	v_cmp_gt_u32_e64 s9, s13, v1
	v_rcp_iflag_f32_e32 v1, s24
	s_lshl_b32 s24, s13, 3
	v_or_b32_e32 v2, 16, v23
	v_cmp_eq_u32_e64 s7, 0, v0
	v_add_nc_u32_e32 v0, s24, v8
	s_and_b32 s28, vcc_lo, s8
	s_and_b32 s29, vcc_lo, s9
	v_readfirstlane_b32 s27, v1
	v_cmp_gt_u32_e64 s8, s13, v2
	v_mov_b32_e32 v1, v3
	v_cmp_gt_u32_e64 s9, s13, v10
	v_dual_mov_b32 v11, v3 :: v_dual_add_nc_u32 v10, s24, v0
	s_mul_f32 s27, s27, 0x4f7ffffe
	s_and_b32 s30, vcc_lo, s8
	v_add_nc_u64_e32 v[6:7], v[6:7], v[14:15]
	s_delay_alu instid0(VALU_DEP_2)
	v_dual_mov_b32 v13, v3 :: v_dual_add_nc_u32 v12, s24, v10
	s_cvt_u32_f32 s8, s27
	s_sub_co_i32 s24, 0, s19
	v_dual_mov_b32 v32, 1 :: v_dual_add_nc_u32 v31, v14, v24
	v_mov_b64_e32 v[14:15], 0
	s_mul_i32 s24, s24, s8
	v_mov_b32_e32 v18, 0
	s_mul_hi_u32 s24, s8, s24
	s_and_b32 s9, vcc_lo, s9
	s_ashr_i32 s31, s13, 31
	s_add_co_i32 s24, s8, s24
	s_branch .LBB78_7
.LBB78_6:                               ;   in Loop: Header=BB78_7 Depth=1
	s_or_b32 exec_lo, exec_lo, s27
	s_wait_dscnt 0x0
	s_barrier_signal -1
	s_barrier_wait -1
	ds_load_b32 v18, v3
	s_add_co_i32 s26, s8, s26
	s_wait_dscnt 0x0
	s_barrier_signal -1
	s_barrier_wait -1
	v_cmp_gt_i32_e32 vcc_lo, s12, v18
	s_cbranch_vccz .LBB78_53
.LBB78_7:                               ; =>This Loop Header: Depth=1
                                        ;     Child Loop BB78_10 Depth 2
	v_dual_mov_b32 v33, s12 :: v_dual_add_nc_u32 v16, v30, v23
	v_mov_b32_e32 v17, v22
	s_mov_b32 s27, exec_lo
	ds_store_b8 v3, v3 offset:8192
	ds_store_2addr_b64 v31, v[14:15], v[14:15] offset1:8
	ds_store_2addr_b64 v31, v[14:15], v[14:15] offset0:16 offset1:24
	s_wait_dscnt 0x0
	s_barrier_signal -1
	s_barrier_wait -1
	v_cmpx_lt_i32_e64 v16, v22
	s_cbranch_execz .LBB78_15
; %bb.8:                                ;   in Loop: Header=BB78_7 Depth=1
	v_mul_lo_u32 v19, v18, s13
	v_dual_mov_b32 v33, s12 :: v_dual_mov_b32 v17, v22
	s_mov_b32 s33, 0
	s_branch .LBB78_10
.LBB78_9:                               ;   in Loop: Header=BB78_10 Depth=2
	s_wait_xcnt 0x0
	s_or_b32 exec_lo, exec_lo, s8
	v_add_nc_u32_e32 v16, 8, v16
	s_xor_b32 s34, vcc_lo, -1
	s_delay_alu instid0(VALU_DEP_1) | instskip(SKIP_1) | instid1(SALU_CYCLE_1)
	v_cmp_ge_i32_e64 s8, v16, v22
	s_or_b32 s8, s34, s8
	s_and_b32 s8, exec_lo, s8
	s_delay_alu instid0(SALU_CYCLE_1) | instskip(NEXT) | instid1(SALU_CYCLE_1)
	s_or_b32 s33, s8, s33
	s_and_not1_b32 exec_lo, exec_lo, s33
	s_cbranch_execz .LBB78_14
.LBB78_10:                              ;   Parent Loop BB78_7 Depth=1
                                        ; =>  This Inner Loop Header: Depth=2
	global_load_b32 v2, v16, s[16:17] scale_offset
	s_wait_loadcnt 0x0
	v_subrev_nc_u32_e32 v20, s14, v2
	s_delay_alu instid0(VALU_DEP_1) | instskip(NEXT) | instid1(VALU_DEP_1)
	v_sub_nc_u32_e32 v2, 0, v20
	v_max_i32_e32 v2, v20, v2
	s_delay_alu instid0(VALU_DEP_1) | instskip(SKIP_1) | instid1(VALU_DEP_1)
	v_mul_u64_e32 v[34:35], s[24:25], v[2:3]
	v_ashrrev_i32_e32 v34, 31, v20
	v_xor_b32_e32 v34, s31, v34
	s_delay_alu instid0(VALU_DEP_3) | instskip(NEXT) | instid1(VALU_DEP_1)
	v_mul_lo_u32 v21, v35, s19
	v_dual_sub_nc_u32 v2, v2, v21 :: v_dual_add_nc_u32 v21, 1, v35
	s_delay_alu instid0(VALU_DEP_1) | instskip(SKIP_1) | instid1(VALU_DEP_2)
	v_subrev_nc_u32_e32 v30, s19, v2
	v_cmp_le_u32_e32 vcc_lo, s19, v2
	v_dual_cndmask_b32 v21, v35, v21 :: v_dual_cndmask_b32 v2, v2, v30
	s_delay_alu instid0(VALU_DEP_1) | instskip(NEXT) | instid1(VALU_DEP_2)
	v_add_nc_u32_e32 v30, 1, v21
	v_cmp_le_u32_e32 vcc_lo, s19, v2
	s_delay_alu instid0(VALU_DEP_2) | instskip(NEXT) | instid1(VALU_DEP_1)
	v_cndmask_b32_e32 v2, v21, v30, vcc_lo
	v_xor_b32_e32 v2, v2, v34
	s_delay_alu instid0(VALU_DEP_1) | instskip(NEXT) | instid1(VALU_DEP_1)
	v_dual_mov_b32 v2, v17 :: v_dual_sub_nc_u32 v21, v2, v34
	v_cmp_ne_u32_e64 s8, v21, v18
	v_cmp_eq_u32_e32 vcc_lo, v21, v18
	s_wait_xcnt 0x0
	s_and_saveexec_b32 s34, s8
	s_delay_alu instid0(SALU_CYCLE_1)
	s_xor_b32 s8, exec_lo, s34
; %bb.11:                               ;   in Loop: Header=BB78_10 Depth=2
	v_min_i32_e32 v33, v21, v33
                                        ; implicit-def: $vgpr20
                                        ; implicit-def: $vgpr2
; %bb.12:                               ;   in Loop: Header=BB78_10 Depth=2
	s_or_saveexec_b32 s8, s8
	v_mov_b32_e32 v17, v16
	s_xor_b32 exec_lo, exec_lo, s8
	s_cbranch_execz .LBB78_9
; %bb.13:                               ;   in Loop: Header=BB78_10 Depth=2
	v_ashrrev_i32_e32 v17, 31, v16
	s_delay_alu instid0(VALU_DEP_1)
	v_lshl_add_u64 v[34:35], v[16:17], 3, s[22:23]
	v_sub_nc_u32_e32 v17, v20, v19
	global_load_b64 v[34:35], v[34:35], off
	v_lshl_add_u32 v20, v17, 3, v24
	v_mov_b32_e32 v17, v2
	ds_store_b8 v3, v32 offset:8192
	s_wait_loadcnt 0x0
	ds_store_b64 v20, v[34:35]
	s_branch .LBB78_9
.LBB78_14:                              ;   in Loop: Header=BB78_7 Depth=1
	s_or_b32 exec_lo, exec_lo, s33
.LBB78_15:                              ;   in Loop: Header=BB78_7 Depth=1
	s_delay_alu instid0(SALU_CYCLE_1)
	s_or_b32 exec_lo, exec_lo, s27
	ds_bpermute_b32 v2, v27, v17
	s_wait_dscnt 0x0
	s_barrier_signal -1
	s_barrier_wait -1
	s_mov_b32 s8, 0
	v_min_i32_e32 v2, v2, v17
	ds_load_u8 v17, v3 offset:8192
	ds_bpermute_b32 v16, v28, v2
	s_wait_dscnt 0x0
	v_min_i32_e32 v2, v16, v2
	ds_bpermute_b32 v16, v29, v2
	s_wait_dscnt 0x0
	v_min_i32_e32 v2, v16, v2
	ds_bpermute_b32 v30, v26, v2
	v_and_b32_e32 v2, 1, v17
	s_delay_alu instid0(VALU_DEP_1)
	v_cmp_eq_u32_e32 vcc_lo, 0, v2
	s_cbranch_vccnz .LBB78_33
; %bb.16:                               ;   in Loop: Header=BB78_7 Depth=1
	s_ashr_i32 s27, s26, 31
	v_dual_add_nc_u32 v2, s18, v18 :: v_dual_mov_b32 v20, s26
	s_mul_u64 s[34:35], s[10:11], s[26:27]
	s_delay_alu instid0(SALU_CYCLE_1) | instskip(NEXT) | instid1(SALU_CYCLE_1)
	s_lshl_b64 s[34:35], s[34:35], 3
	v_add_nc_u64_e32 v[18:19], s[34:35], v[4:5]
	v_add_nc_u64_e32 v[16:17], s[34:35], v[6:7]
	global_store_b32 v20, v2, s[20:21] scale_offset
	s_wait_xcnt 0x0
	s_and_saveexec_b32 s8, s28
	s_cbranch_execz .LBB78_20
; %bb.17:                               ;   in Loop: Header=BB78_7 Depth=1
	s_and_b32 vcc_lo, exec_lo, s15
	s_cbranch_vccz .LBB78_49
; %bb.18:                               ;   in Loop: Header=BB78_7 Depth=1
	ds_load_b64 v[20:21], v31
	v_lshl_add_u64 v[34:35], v[8:9], 3, v[18:19]
	s_wait_dscnt 0x0
	global_store_b64 v[34:35], v[20:21], off
	s_cbranch_execnz .LBB78_20
.LBB78_19:                              ;   in Loop: Header=BB78_7 Depth=1
	s_wait_xcnt 0x0
	ds_load_b64 v[20:21], v31
	s_wait_dscnt 0x0
	global_store_b64 v[16:17], v[20:21], off
.LBB78_20:                              ;   in Loop: Header=BB78_7 Depth=1
	s_wait_xcnt 0x0
	s_or_b32 exec_lo, exec_lo, s8
	s_and_saveexec_b32 s8, s29
	s_cbranch_execz .LBB78_24
; %bb.21:                               ;   in Loop: Header=BB78_7 Depth=1
	ds_load_b64 v[20:21], v31 offset:64
	s_and_not1_b32 vcc_lo, exec_lo, s15
	s_cbranch_vccnz .LBB78_50
; %bb.22:                               ;   in Loop: Header=BB78_7 Depth=1
	v_lshl_add_u64 v[34:35], v[0:1], 3, v[18:19]
	s_wait_dscnt 0x0
	global_store_b64 v[34:35], v[20:21], off
	s_cbranch_execnz .LBB78_24
.LBB78_23:                              ;   in Loop: Header=BB78_7 Depth=1
	s_wait_dscnt 0x0
	global_store_b64 v[16:17], v[20:21], off offset:64
.LBB78_24:                              ;   in Loop: Header=BB78_7 Depth=1
	s_wait_xcnt 0x0
	s_or_b32 exec_lo, exec_lo, s8
	s_and_saveexec_b32 s8, s30
	s_cbranch_execz .LBB78_28
; %bb.25:                               ;   in Loop: Header=BB78_7 Depth=1
	s_wait_dscnt 0x0
	ds_load_b64 v[20:21], v31 offset:128
	s_and_not1_b32 vcc_lo, exec_lo, s15
	s_cbranch_vccnz .LBB78_51
; %bb.26:                               ;   in Loop: Header=BB78_7 Depth=1
	v_lshl_add_u64 v[34:35], v[10:11], 3, v[18:19]
	s_wait_dscnt 0x0
	global_store_b64 v[34:35], v[20:21], off
	s_cbranch_execnz .LBB78_28
.LBB78_27:                              ;   in Loop: Header=BB78_7 Depth=1
	s_wait_dscnt 0x0
	global_store_b64 v[16:17], v[20:21], off offset:128
.LBB78_28:                              ;   in Loop: Header=BB78_7 Depth=1
	s_wait_xcnt 0x0
	s_or_b32 exec_lo, exec_lo, s8
	s_and_saveexec_b32 s8, s9
	s_cbranch_execz .LBB78_32
; %bb.29:                               ;   in Loop: Header=BB78_7 Depth=1
	s_wait_dscnt 0x0
	ds_load_b64 v[20:21], v31 offset:192
	s_and_not1_b32 vcc_lo, exec_lo, s15
	s_cbranch_vccnz .LBB78_52
; %bb.30:                               ;   in Loop: Header=BB78_7 Depth=1
	v_lshl_add_u64 v[18:19], v[12:13], 3, v[18:19]
	s_wait_dscnt 0x0
	global_store_b64 v[18:19], v[20:21], off
	s_cbranch_execnz .LBB78_32
.LBB78_31:                              ;   in Loop: Header=BB78_7 Depth=1
	s_wait_dscnt 0x0
	global_store_b64 v[16:17], v[20:21], off offset:192
.LBB78_32:                              ;   in Loop: Header=BB78_7 Depth=1
	s_wait_xcnt 0x0
	s_or_b32 exec_lo, exec_lo, s8
	s_mov_b32 s8, 1
.LBB78_33:                              ;   in Loop: Header=BB78_7 Depth=1
	s_wait_storecnt_dscnt 0x0
	s_barrier_signal -1
	s_barrier_wait -1
	ds_store_b32 v25, v33
	s_wait_dscnt 0x0
	s_barrier_signal -1
	s_barrier_wait -1
	s_and_saveexec_b32 s27, s0
	s_cbranch_execz .LBB78_35
; %bb.34:                               ;   in Loop: Header=BB78_7 Depth=1
	ds_load_2addr_stride64_b32 v[16:17], v25 offset1:2
	s_wait_dscnt 0x0
	v_min_i32_e32 v2, v17, v16
	ds_store_b32 v25, v2
.LBB78_35:                              ;   in Loop: Header=BB78_7 Depth=1
	s_or_b32 exec_lo, exec_lo, s27
	s_wait_dscnt 0x0
	s_barrier_signal -1
	s_barrier_wait -1
	s_and_saveexec_b32 s27, s1
	s_cbranch_execz .LBB78_37
; %bb.36:                               ;   in Loop: Header=BB78_7 Depth=1
	ds_load_2addr_stride64_b32 v[16:17], v25 offset1:1
	s_wait_dscnt 0x0
	v_min_i32_e32 v2, v17, v16
	ds_store_b32 v25, v2
.LBB78_37:                              ;   in Loop: Header=BB78_7 Depth=1
	s_or_b32 exec_lo, exec_lo, s27
	s_wait_dscnt 0x0
	s_barrier_signal -1
	s_barrier_wait -1
	s_and_saveexec_b32 s27, s2
	s_cbranch_execz .LBB78_39
; %bb.38:                               ;   in Loop: Header=BB78_7 Depth=1
	ds_load_2addr_b32 v[16:17], v25 offset1:32
	s_wait_dscnt 0x0
	v_min_i32_e32 v2, v17, v16
	ds_store_b32 v25, v2
.LBB78_39:                              ;   in Loop: Header=BB78_7 Depth=1
	s_or_b32 exec_lo, exec_lo, s27
	s_wait_dscnt 0x0
	s_barrier_signal -1
	s_barrier_wait -1
	s_and_saveexec_b32 s27, s3
	s_cbranch_execz .LBB78_41
; %bb.40:                               ;   in Loop: Header=BB78_7 Depth=1
	ds_load_2addr_b32 v[16:17], v25 offset1:16
	s_wait_dscnt 0x0
	v_min_i32_e32 v2, v17, v16
	ds_store_b32 v25, v2
.LBB78_41:                              ;   in Loop: Header=BB78_7 Depth=1
	;; [unrolled: 12-line block ×5, first 2 shown]
	s_or_b32 exec_lo, exec_lo, s27
	s_wait_dscnt 0x0
	s_barrier_signal -1
	s_barrier_wait -1
	s_and_saveexec_b32 s27, s7
	s_cbranch_execz .LBB78_6
; %bb.48:                               ;   in Loop: Header=BB78_7 Depth=1
	ds_load_b64 v[16:17], v3
	s_wait_dscnt 0x0
	v_min_i32_e32 v2, v17, v16
	ds_store_b32 v3, v2
	s_branch .LBB78_6
.LBB78_49:                              ;   in Loop: Header=BB78_7 Depth=1
	s_branch .LBB78_19
.LBB78_50:                              ;   in Loop: Header=BB78_7 Depth=1
	s_branch .LBB78_23
.LBB78_51:                              ;   in Loop: Header=BB78_7 Depth=1
	s_branch .LBB78_27
.LBB78_52:                              ;   in Loop: Header=BB78_7 Depth=1
	s_branch .LBB78_31
.LBB78_53:
	s_endpgm
	.section	.rodata,"a",@progbits
	.p2align	6, 0x0
	.amdhsa_kernel _ZN9rocsparseL38csr2bsr_block_per_row_multipass_kernelILj256ELj32E21rocsparse_complex_numIfEiiEEv20rocsparse_direction_T3_S4_S4_S4_S4_21rocsparse_index_base_PKT1_PKT2_PKS4_S5_PS6_PS9_PS4_
		.amdhsa_group_segment_fixed_size 8196
		.amdhsa_private_segment_fixed_size 0
		.amdhsa_kernarg_size 88
		.amdhsa_user_sgpr_count 2
		.amdhsa_user_sgpr_dispatch_ptr 0
		.amdhsa_user_sgpr_queue_ptr 0
		.amdhsa_user_sgpr_kernarg_segment_ptr 1
		.amdhsa_user_sgpr_dispatch_id 0
		.amdhsa_user_sgpr_kernarg_preload_length 0
		.amdhsa_user_sgpr_kernarg_preload_offset 0
		.amdhsa_user_sgpr_private_segment_size 0
		.amdhsa_wavefront_size32 1
		.amdhsa_uses_dynamic_stack 0
		.amdhsa_enable_private_segment 0
		.amdhsa_system_sgpr_workgroup_id_x 1
		.amdhsa_system_sgpr_workgroup_id_y 0
		.amdhsa_system_sgpr_workgroup_id_z 0
		.amdhsa_system_sgpr_workgroup_info 0
		.amdhsa_system_vgpr_workitem_id 0
		.amdhsa_next_free_vgpr 36
		.amdhsa_next_free_sgpr 36
		.amdhsa_named_barrier_count 0
		.amdhsa_reserve_vcc 1
		.amdhsa_float_round_mode_32 0
		.amdhsa_float_round_mode_16_64 0
		.amdhsa_float_denorm_mode_32 3
		.amdhsa_float_denorm_mode_16_64 3
		.amdhsa_fp16_overflow 0
		.amdhsa_memory_ordered 1
		.amdhsa_forward_progress 1
		.amdhsa_inst_pref_size 17
		.amdhsa_round_robin_scheduling 0
		.amdhsa_exception_fp_ieee_invalid_op 0
		.amdhsa_exception_fp_denorm_src 0
		.amdhsa_exception_fp_ieee_div_zero 0
		.amdhsa_exception_fp_ieee_overflow 0
		.amdhsa_exception_fp_ieee_underflow 0
		.amdhsa_exception_fp_ieee_inexact 0
		.amdhsa_exception_int_div_zero 0
	.end_amdhsa_kernel
	.section	.text._ZN9rocsparseL38csr2bsr_block_per_row_multipass_kernelILj256ELj32E21rocsparse_complex_numIfEiiEEv20rocsparse_direction_T3_S4_S4_S4_S4_21rocsparse_index_base_PKT1_PKT2_PKS4_S5_PS6_PS9_PS4_,"axG",@progbits,_ZN9rocsparseL38csr2bsr_block_per_row_multipass_kernelILj256ELj32E21rocsparse_complex_numIfEiiEEv20rocsparse_direction_T3_S4_S4_S4_S4_21rocsparse_index_base_PKT1_PKT2_PKS4_S5_PS6_PS9_PS4_,comdat
.Lfunc_end78:
	.size	_ZN9rocsparseL38csr2bsr_block_per_row_multipass_kernelILj256ELj32E21rocsparse_complex_numIfEiiEEv20rocsparse_direction_T3_S4_S4_S4_S4_21rocsparse_index_base_PKT1_PKT2_PKS4_S5_PS6_PS9_PS4_, .Lfunc_end78-_ZN9rocsparseL38csr2bsr_block_per_row_multipass_kernelILj256ELj32E21rocsparse_complex_numIfEiiEEv20rocsparse_direction_T3_S4_S4_S4_S4_21rocsparse_index_base_PKT1_PKT2_PKS4_S5_PS6_PS9_PS4_
                                        ; -- End function
	.set _ZN9rocsparseL38csr2bsr_block_per_row_multipass_kernelILj256ELj32E21rocsparse_complex_numIfEiiEEv20rocsparse_direction_T3_S4_S4_S4_S4_21rocsparse_index_base_PKT1_PKT2_PKS4_S5_PS6_PS9_PS4_.num_vgpr, 36
	.set _ZN9rocsparseL38csr2bsr_block_per_row_multipass_kernelILj256ELj32E21rocsparse_complex_numIfEiiEEv20rocsparse_direction_T3_S4_S4_S4_S4_21rocsparse_index_base_PKT1_PKT2_PKS4_S5_PS6_PS9_PS4_.num_agpr, 0
	.set _ZN9rocsparseL38csr2bsr_block_per_row_multipass_kernelILj256ELj32E21rocsparse_complex_numIfEiiEEv20rocsparse_direction_T3_S4_S4_S4_S4_21rocsparse_index_base_PKT1_PKT2_PKS4_S5_PS6_PS9_PS4_.numbered_sgpr, 36
	.set _ZN9rocsparseL38csr2bsr_block_per_row_multipass_kernelILj256ELj32E21rocsparse_complex_numIfEiiEEv20rocsparse_direction_T3_S4_S4_S4_S4_21rocsparse_index_base_PKT1_PKT2_PKS4_S5_PS6_PS9_PS4_.num_named_barrier, 0
	.set _ZN9rocsparseL38csr2bsr_block_per_row_multipass_kernelILj256ELj32E21rocsparse_complex_numIfEiiEEv20rocsparse_direction_T3_S4_S4_S4_S4_21rocsparse_index_base_PKT1_PKT2_PKS4_S5_PS6_PS9_PS4_.private_seg_size, 0
	.set _ZN9rocsparseL38csr2bsr_block_per_row_multipass_kernelILj256ELj32E21rocsparse_complex_numIfEiiEEv20rocsparse_direction_T3_S4_S4_S4_S4_21rocsparse_index_base_PKT1_PKT2_PKS4_S5_PS6_PS9_PS4_.uses_vcc, 1
	.set _ZN9rocsparseL38csr2bsr_block_per_row_multipass_kernelILj256ELj32E21rocsparse_complex_numIfEiiEEv20rocsparse_direction_T3_S4_S4_S4_S4_21rocsparse_index_base_PKT1_PKT2_PKS4_S5_PS6_PS9_PS4_.uses_flat_scratch, 0
	.set _ZN9rocsparseL38csr2bsr_block_per_row_multipass_kernelILj256ELj32E21rocsparse_complex_numIfEiiEEv20rocsparse_direction_T3_S4_S4_S4_S4_21rocsparse_index_base_PKT1_PKT2_PKS4_S5_PS6_PS9_PS4_.has_dyn_sized_stack, 0
	.set _ZN9rocsparseL38csr2bsr_block_per_row_multipass_kernelILj256ELj32E21rocsparse_complex_numIfEiiEEv20rocsparse_direction_T3_S4_S4_S4_S4_21rocsparse_index_base_PKT1_PKT2_PKS4_S5_PS6_PS9_PS4_.has_recursion, 0
	.set _ZN9rocsparseL38csr2bsr_block_per_row_multipass_kernelILj256ELj32E21rocsparse_complex_numIfEiiEEv20rocsparse_direction_T3_S4_S4_S4_S4_21rocsparse_index_base_PKT1_PKT2_PKS4_S5_PS6_PS9_PS4_.has_indirect_call, 0
	.section	.AMDGPU.csdata,"",@progbits
; Kernel info:
; codeLenInByte = 2056
; TotalNumSgprs: 38
; NumVgprs: 36
; ScratchSize: 0
; MemoryBound: 0
; FloatMode: 240
; IeeeMode: 1
; LDSByteSize: 8196 bytes/workgroup (compile time only)
; SGPRBlocks: 0
; VGPRBlocks: 2
; NumSGPRsForWavesPerEU: 38
; NumVGPRsForWavesPerEU: 36
; NamedBarCnt: 0
; Occupancy: 16
; WaveLimiterHint : 0
; COMPUTE_PGM_RSRC2:SCRATCH_EN: 0
; COMPUTE_PGM_RSRC2:USER_SGPR: 2
; COMPUTE_PGM_RSRC2:TRAP_HANDLER: 0
; COMPUTE_PGM_RSRC2:TGID_X_EN: 1
; COMPUTE_PGM_RSRC2:TGID_Y_EN: 0
; COMPUTE_PGM_RSRC2:TGID_Z_EN: 0
; COMPUTE_PGM_RSRC2:TIDIG_COMP_CNT: 0
	.section	.text._ZN9rocsparseL38csr2bsr_block_per_row_multipass_kernelILj256ELj64E21rocsparse_complex_numIfEiiEEv20rocsparse_direction_T3_S4_S4_S4_S4_21rocsparse_index_base_PKT1_PKT2_PKS4_S5_PS6_PS9_PS4_,"axG",@progbits,_ZN9rocsparseL38csr2bsr_block_per_row_multipass_kernelILj256ELj64E21rocsparse_complex_numIfEiiEEv20rocsparse_direction_T3_S4_S4_S4_S4_21rocsparse_index_base_PKT1_PKT2_PKS4_S5_PS6_PS9_PS4_,comdat
	.globl	_ZN9rocsparseL38csr2bsr_block_per_row_multipass_kernelILj256ELj64E21rocsparse_complex_numIfEiiEEv20rocsparse_direction_T3_S4_S4_S4_S4_21rocsparse_index_base_PKT1_PKT2_PKS4_S5_PS6_PS9_PS4_ ; -- Begin function _ZN9rocsparseL38csr2bsr_block_per_row_multipass_kernelILj256ELj64E21rocsparse_complex_numIfEiiEEv20rocsparse_direction_T3_S4_S4_S4_S4_21rocsparse_index_base_PKT1_PKT2_PKS4_S5_PS6_PS9_PS4_
	.p2align	8
	.type	_ZN9rocsparseL38csr2bsr_block_per_row_multipass_kernelILj256ELj64E21rocsparse_complex_numIfEiiEEv20rocsparse_direction_T3_S4_S4_S4_S4_21rocsparse_index_base_PKT1_PKT2_PKS4_S5_PS6_PS9_PS4_,@function
_ZN9rocsparseL38csr2bsr_block_per_row_multipass_kernelILj256ELj64E21rocsparse_complex_numIfEiiEEv20rocsparse_direction_T3_S4_S4_S4_S4_21rocsparse_index_base_PKT1_PKT2_PKS4_S5_PS6_PS9_PS4_: ; @_ZN9rocsparseL38csr2bsr_block_per_row_multipass_kernelILj256ELj64E21rocsparse_complex_numIfEiiEEv20rocsparse_direction_T3_S4_S4_S4_S4_21rocsparse_index_base_PKT1_PKT2_PKS4_S5_PS6_PS9_PS4_
; %bb.0:
	s_clause 0x1
	s_load_b96 s[16:18], s[0:1], 0x10
	s_load_b64 s[28:29], s[0:1], 0x0
	s_bfe_u32 s2, ttmp6, 0x4000c
	s_and_b32 s3, ttmp6, 15
	s_add_co_i32 s2, s2, 1
	s_getreg_b32 s4, hwreg(HW_REG_IB_STS2, 6, 4)
	s_mul_i32 s2, ttmp9, s2
	v_dual_lshrrev_b32 v4, 2, v0 :: v_dual_mov_b32 v46, 0
	s_add_co_i32 s3, s3, s2
	s_cmp_eq_u32 s4, 0
	s_load_b64 s[4:5], s[0:1], 0x28
	s_cselect_b32 s6, ttmp9, s3
	v_mov_b32_e32 v53, 0
	s_wait_kmcnt 0x0
	v_mad_u32 v1, s17, s6, v4
	v_cmp_gt_i32_e32 vcc_lo, s17, v4
	s_delay_alu instid0(VALU_DEP_2) | instskip(SKIP_1) | instid1(SALU_CYCLE_1)
	v_cmp_gt_i32_e64 s2, s29, v1
	s_and_b32 s2, vcc_lo, s2
	s_and_saveexec_b32 s3, s2
	s_cbranch_execnz .LBB79_3
; %bb.1:
	s_or_b32 exec_lo, exec_lo, s3
	s_and_saveexec_b32 s3, s2
	s_cbranch_execnz .LBB79_4
.LBB79_2:
	s_or_b32 exec_lo, exec_lo, s3
	s_cmp_lt_i32 s16, 1
	s_cbranch_scc0 .LBB79_5
	s_branch .LBB79_113
.LBB79_3:
	global_load_b32 v2, v1, s[4:5] scale_offset
	s_wait_loadcnt 0x0
	v_subrev_nc_u32_e32 v53, s18, v2
	s_or_b32 exec_lo, exec_lo, s3
	s_and_saveexec_b32 s3, s2
	s_cbranch_execz .LBB79_2
.LBB79_4:
	global_load_b32 v1, v1, s[4:5] offset:4 scale_offset
	s_wait_loadcnt 0x0
	v_subrev_nc_u32_e32 v46, s18, v1
	s_or_b32 exec_lo, exec_lo, s3
	s_cmp_lt_i32 s16, 1
	s_cbranch_scc1 .LBB79_113
.LBB79_5:
	s_clause 0x3
	s_load_b128 s[12:15], s[0:1], 0x40
	s_load_b64 s[10:11], s[0:1], 0x50
	s_load_b96 s[20:22], s[0:1], 0x30
	s_load_b64 s[24:25], s[0:1], 0x20
	s_ashr_i32 s7, s6, 31
	v_mbcnt_lo_u32_b32 v5, -1, 0
	s_lshl_b64 s[6:7], s[6:7], 2
	v_dual_mov_b32 v3, 0 :: v_dual_bitop2_b32 v47, 3, v0 bitop3:0x40
	v_dual_lshlrev_b32 v48, 9, v4 :: v_dual_lshlrev_b32 v2, 3, v4
	s_delay_alu instid0(VALU_DEP_3) | instskip(NEXT) | instid1(VALU_DEP_3)
	v_dual_lshlrev_b32 v49, 2, v0 :: v_dual_bitop2_b32 v6, 2, v5 bitop3:0x14
	v_lshlrev_b32_e32 v38, 3, v47
	s_wait_xcnt 0x0
	v_cmp_gt_u32_e64 s0, 0x80, v0
	v_cmp_gt_u32_e64 s1, 64, v0
	v_cmp_gt_u32_e64 s2, 32, v0
	v_cmp_gt_u32_e64 s3, 16, v0
	v_cmp_gt_u32_e64 s4, 8, v0
	v_cmp_gt_u32_e64 s5, 4, v0
	s_wait_kmcnt 0x0
	s_add_nc_u64 s[8:9], s[14:15], s[6:7]
	v_cmp_gt_u32_e64 s6, 2, v0
	s_load_b32 s19, s[8:9], 0x0
	v_cmp_eq_u32_e64 s7, 0, v0
	v_add_nc_u64_e32 v[0:1], s[12:13], v[2:3]
	v_mul_lo_u32 v2, s17, v4
	v_mov_b32_e32 v39, v3
	s_wait_xcnt 0x0
	v_cmp_gt_i32_e64 s9, 32, v6
	v_xor_b32_e32 v4, 1, v5
	v_lshl_or_b32 v50, v5, 2, 12
	v_cmp_gt_u32_e64 s8, s17, v47
	s_delay_alu instid0(VALU_DEP_4) | instskip(NEXT) | instid1(VALU_DEP_4)
	v_dual_mov_b32 v13, v3 :: v_dual_cndmask_b32 v8, v5, v6, s9
	v_cmp_gt_i32_e64 s9, 32, v4
	v_dual_mov_b32 v17, v3 :: v_dual_bitop2_b32 v9, 4, v47 bitop3:0x54
	v_or_b32_e32 v20, 32, v47
	v_lshl_add_u64 v[6:7], v[2:3], 3, s[12:13]
	s_delay_alu instid0(VALU_DEP_4)
	v_cndmask_b32_e64 v5, v5, v4, s9
	v_mul_lo_u32 v4, v47, s17
	v_dual_lshlrev_b32 v51, 2, v8 :: v_dual_bitop2_b32 v2, 8, v47 bitop3:0x54
	s_wait_kmcnt 0x0
	s_sub_co_i32 s12, s19, s22
	s_cmp_lg_u32 s28, 0
	v_lshlrev_b32_e32 v52, 2, v5
	s_cselect_b32 s19, -1, 0
	s_lshl_b32 s13, s17, 2
	v_mov_b32_e32 v5, v3
	v_cmp_gt_u32_e64 s9, s17, v2
	v_dual_add_nc_u32 v8, s13, v4 :: v_dual_bitop2_b32 v2, 12, v47 bitop3:0x54
	s_and_b32 s23, vcc_lo, s8
	v_cmp_gt_u32_e64 s8, s17, v9
	v_dual_mov_b32 v9, v3 :: v_dual_mov_b32 v11, v3
	s_delay_alu instid0(VALU_DEP_3) | instskip(SKIP_2) | instid1(VALU_DEP_2)
	v_dual_add_nc_u32 v10, s13, v8 :: v_dual_bitop2_b32 v14, 20, v47 bitop3:0x54
	s_and_b32 s28, vcc_lo, s8
	v_cmp_gt_u32_e64 s8, s17, v2
	v_dual_add_nc_u32 v12, s13, v10 :: v_dual_bitop2_b32 v2, 16, v47 bitop3:0x54
	s_and_b32 s29, vcc_lo, s9
	v_cmp_gt_u32_e64 s9, s17, v14
	s_and_b32 s30, vcc_lo, s8
	v_cmp_gt_u32_e64 s8, s17, v2
	v_dual_add_nc_u32 v14, s13, v12 :: v_dual_bitop2_b32 v2, 24, v47 bitop3:0x54
	v_mov_b32_e32 v15, v3
	s_and_b32 s33, vcc_lo, s9
	s_and_b32 s31, vcc_lo, s8
	s_delay_alu instid0(VALU_DEP_2)
	v_cmp_gt_u32_e64 s8, s17, v2
	v_dual_add_nc_u32 v16, s13, v14 :: v_dual_bitop2_b32 v2, 28, v47 bitop3:0x54
	v_mov_b32_e32 v19, v3
	v_cmp_gt_u32_e64 s9, s17, v20
	s_and_b32 s34, vcc_lo, s8
	v_cmp_gt_u32_e64 s8, s17, v2
	v_dual_add_nc_u32 v18, s13, v16 :: v_dual_bitop2_b32 v2, 36, v47 bitop3:0x54
	v_dual_mov_b32 v21, v3 :: v_dual_mov_b32 v25, v3
	s_and_b32 s35, vcc_lo, s8
	s_delay_alu instid0(VALU_DEP_2) | instskip(NEXT) | instid1(VALU_DEP_3)
	v_add_nc_u32_e32 v20, s13, v18
	v_cmp_gt_u32_e64 s8, s17, v2
	v_dual_mov_b32 v23, v3 :: v_dual_bitop2_b32 v2, 40, v47 bitop3:0x54
	s_and_b32 s36, vcc_lo, s9
	v_dual_add_nc_u32 v22, s13, v20 :: v_dual_bitop2_b32 v26, 44, v47 bitop3:0x54
	s_and_b32 s37, vcc_lo, s8
	s_delay_alu instid0(VALU_DEP_2) | instskip(NEXT) | instid1(VALU_DEP_2)
	v_cmp_gt_u32_e64 s8, s17, v2
	v_dual_add_nc_u32 v24, s13, v22 :: v_dual_bitop2_b32 v2, 48, v47 bitop3:0x54
	s_delay_alu instid0(VALU_DEP_3)
	v_cmp_gt_u32_e64 s9, s17, v26
	s_abs_i32 s40, s17
	s_and_b32 s38, vcc_lo, s8
	v_dual_mov_b32 v27, v3 :: v_dual_add_nc_u32 v26, s13, v24
	v_cmp_gt_u32_e64 s8, s17, v2
	v_or_b32_e32 v2, 52, v47
	s_and_b32 s39, vcc_lo, s9
	s_cvt_f32_u32 s9, s40
	v_add_nc_u32_e32 v28, s13, v26
	s_and_b32 s41, vcc_lo, s8
	v_cmp_gt_u32_e64 s8, s17, v2
	v_rcp_iflag_f32_e32 v2, s9
	s_delay_alu instid0(VALU_DEP_2) | instskip(SKIP_4) | instid1(TRANS32_DEP_1)
	v_dual_mov_b32 v29, v3 :: v_dual_add_nc_u32 v30, s13, v28
	s_mov_b32 s27, 0
	s_mov_b32 s26, s17
	v_dual_mov_b32 v31, v3 :: v_dual_bitop2_b32 v33, 56, v47 bitop3:0x54
	s_mul_u64 s[14:15], s[26:27], s[26:27]
	v_readfirstlane_b32 s26, v2
	v_dual_add_nc_u32 v32, s13, v30 :: v_dual_bitop2_b32 v34, 60, v47 bitop3:0x54
	s_and_b32 s42, vcc_lo, s8
	v_cmp_gt_u32_e64 s8, s17, v33
	s_mul_f32 s26, s26, 0x4f7ffffe
	v_mov_b32_e32 v33, v3
	v_cmp_gt_u32_e64 s9, s17, v34
	v_add_nc_u32_e32 v34, s13, v32
	s_and_b32 s43, vcc_lo, s8
	s_cvt_u32_f32 s8, s26
	v_mov_b32_e32 v35, v3
	v_add_nc_u64_e32 v[6:7], v[6:7], v[38:39]
	v_add_nc_u32_e32 v36, s13, v34
	s_sub_co_i32 s13, 0, s40
	v_dual_mov_b32 v37, v3 :: v_dual_add_nc_u32 v54, v38, v48
	v_mov_b64_e32 v[38:39], 0
	s_mul_i32 s13, s13, s8
	v_dual_mov_b32 v55, 1 :: v_dual_mov_b32 v42, 0
	s_mul_hi_u32 s13, s8, s13
	s_and_b32 s9, vcc_lo, s9
	s_ashr_i32 s44, s17, 31
	s_add_co_i32 s26, s8, s13
	s_branch .LBB79_7
.LBB79_6:                               ;   in Loop: Header=BB79_7 Depth=1
	s_or_b32 exec_lo, exec_lo, s13
	s_wait_dscnt 0x0
	s_barrier_signal -1
	s_barrier_wait -1
	ds_load_b32 v42, v3
	s_add_co_i32 s12, s8, s12
	s_wait_dscnt 0x0
	s_barrier_signal -1
	s_barrier_wait -1
	v_cmp_gt_i32_e32 vcc_lo, s16, v42
	s_cbranch_vccz .LBB79_113
.LBB79_7:                               ; =>This Loop Header: Depth=1
                                        ;     Child Loop BB79_10 Depth 2
	v_dual_add_nc_u32 v40, v53, v47 :: v_dual_mov_b32 v56, s16
	v_mov_b32_e32 v41, v46
	s_mov_b32 s13, exec_lo
	ds_store_b8 v3, v3 offset:32768
	ds_store_2addr_b64 v54, v[38:39], v[38:39] offset1:4
	ds_store_2addr_b64 v54, v[38:39], v[38:39] offset0:8 offset1:12
	ds_store_2addr_b64 v54, v[38:39], v[38:39] offset0:16 offset1:20
	;; [unrolled: 1-line block ×7, first 2 shown]
	s_wait_dscnt 0x0
	s_barrier_signal -1
	s_barrier_wait -1
	v_cmpx_lt_i32_e64 v40, v46
	s_cbranch_execz .LBB79_15
; %bb.8:                                ;   in Loop: Header=BB79_7 Depth=1
	v_mul_lo_u32 v43, v42, s17
	v_dual_mov_b32 v56, s16 :: v_dual_mov_b32 v41, v46
	s_mov_b32 s45, 0
	s_branch .LBB79_10
.LBB79_9:                               ;   in Loop: Header=BB79_10 Depth=2
	s_wait_xcnt 0x0
	s_or_b32 exec_lo, exec_lo, s8
	v_add_nc_u32_e32 v40, 4, v40
	s_xor_b32 s46, vcc_lo, -1
	s_delay_alu instid0(VALU_DEP_1) | instskip(SKIP_1) | instid1(SALU_CYCLE_1)
	v_cmp_ge_i32_e64 s8, v40, v46
	s_or_b32 s8, s46, s8
	s_and_b32 s8, exec_lo, s8
	s_delay_alu instid0(SALU_CYCLE_1) | instskip(NEXT) | instid1(SALU_CYCLE_1)
	s_or_b32 s45, s8, s45
	s_and_not1_b32 exec_lo, exec_lo, s45
	s_cbranch_execz .LBB79_14
.LBB79_10:                              ;   Parent Loop BB79_7 Depth=1
                                        ; =>  This Inner Loop Header: Depth=2
	global_load_b32 v2, v40, s[20:21] scale_offset
	s_wait_loadcnt 0x0
	v_subrev_nc_u32_e32 v44, s18, v2
	s_delay_alu instid0(VALU_DEP_1) | instskip(NEXT) | instid1(VALU_DEP_1)
	v_dual_sub_nc_u32 v2, 0, v44 :: v_dual_ashrrev_i32 v57, 31, v44
	v_max_i32_e32 v2, v44, v2
	s_delay_alu instid0(VALU_DEP_2) | instskip(NEXT) | instid1(VALU_DEP_2)
	v_xor_b32_e32 v57, s44, v57
	v_mul_u64_e32 v[58:59], s[26:27], v[2:3]
	s_delay_alu instid0(VALU_DEP_1) | instskip(NEXT) | instid1(VALU_DEP_1)
	v_mul_lo_u32 v45, v59, s40
	v_dual_sub_nc_u32 v2, v2, v45 :: v_dual_add_nc_u32 v45, 1, v59
	s_delay_alu instid0(VALU_DEP_1) | instskip(SKIP_1) | instid1(VALU_DEP_3)
	v_subrev_nc_u32_e32 v53, s40, v2
	v_cmp_le_u32_e32 vcc_lo, s40, v2
	v_cndmask_b32_e32 v45, v59, v45, vcc_lo
	s_delay_alu instid0(VALU_DEP_3) | instskip(NEXT) | instid1(VALU_DEP_2)
	v_cndmask_b32_e32 v2, v2, v53, vcc_lo
	v_add_nc_u32_e32 v53, 1, v45
	s_delay_alu instid0(VALU_DEP_2) | instskip(NEXT) | instid1(VALU_DEP_2)
	v_cmp_le_u32_e32 vcc_lo, s40, v2
	v_cndmask_b32_e32 v2, v45, v53, vcc_lo
	s_delay_alu instid0(VALU_DEP_1) | instskip(NEXT) | instid1(VALU_DEP_1)
	v_xor_b32_e32 v2, v2, v57
	v_dual_mov_b32 v2, v41 :: v_dual_sub_nc_u32 v45, v2, v57
	s_delay_alu instid0(VALU_DEP_1) | instskip(SKIP_3) | instid1(SALU_CYCLE_1)
	v_cmp_ne_u32_e64 s8, v45, v42
	v_cmp_eq_u32_e32 vcc_lo, v45, v42
	s_wait_xcnt 0x0
	s_and_saveexec_b32 s46, s8
	s_xor_b32 s8, exec_lo, s46
; %bb.11:                               ;   in Loop: Header=BB79_10 Depth=2
	v_min_i32_e32 v56, v45, v56
                                        ; implicit-def: $vgpr44
                                        ; implicit-def: $vgpr2
; %bb.12:                               ;   in Loop: Header=BB79_10 Depth=2
	s_or_saveexec_b32 s8, s8
	v_mov_b32_e32 v41, v40
	s_xor_b32 exec_lo, exec_lo, s8
	s_cbranch_execz .LBB79_9
; %bb.13:                               ;   in Loop: Header=BB79_10 Depth=2
	v_ashrrev_i32_e32 v41, 31, v40
	s_delay_alu instid0(VALU_DEP_1)
	v_lshl_add_u64 v[58:59], v[40:41], 3, s[24:25]
	v_sub_nc_u32_e32 v41, v44, v43
	global_load_b64 v[58:59], v[58:59], off
	v_lshl_add_u32 v44, v41, 3, v48
	v_mov_b32_e32 v41, v2
	ds_store_b8 v3, v55 offset:32768
	s_wait_loadcnt 0x0
	ds_store_b64 v44, v[58:59]
	s_branch .LBB79_9
.LBB79_14:                              ;   in Loop: Header=BB79_7 Depth=1
	s_or_b32 exec_lo, exec_lo, s45
.LBB79_15:                              ;   in Loop: Header=BB79_7 Depth=1
	s_delay_alu instid0(SALU_CYCLE_1)
	s_or_b32 exec_lo, exec_lo, s13
	ds_bpermute_b32 v2, v51, v41
	s_wait_dscnt 0x0
	s_barrier_signal -1
	s_barrier_wait -1
	s_mov_b32 s8, 0
	v_min_i32_e32 v2, v2, v41
	ds_load_u8 v41, v3 offset:32768
	ds_bpermute_b32 v40, v52, v2
	s_wait_dscnt 0x0
	v_min_i32_e32 v2, v40, v2
	ds_bpermute_b32 v53, v50, v2
	v_and_b32_e32 v2, 1, v41
	s_delay_alu instid0(VALU_DEP_1)
	v_cmp_eq_u32_e32 vcc_lo, 0, v2
	s_cbranch_vccnz .LBB79_81
; %bb.16:                               ;   in Loop: Header=BB79_7 Depth=1
	s_ashr_i32 s13, s12, 31
	v_dual_add_nc_u32 v2, s22, v42 :: v_dual_mov_b32 v44, s12
	s_mul_u64 s[46:47], s[14:15], s[12:13]
	s_delay_alu instid0(SALU_CYCLE_1) | instskip(NEXT) | instid1(SALU_CYCLE_1)
	s_lshl_b64 s[46:47], s[46:47], 3
	v_add_nc_u64_e32 v[42:43], s[46:47], v[0:1]
	v_add_nc_u64_e32 v[40:41], s[46:47], v[6:7]
	global_store_b32 v44, v2, s[10:11] scale_offset
	s_wait_xcnt 0x0
	s_and_saveexec_b32 s8, s23
	s_cbranch_execz .LBB79_20
; %bb.17:                               ;   in Loop: Header=BB79_7 Depth=1
	s_and_b32 vcc_lo, exec_lo, s19
	s_cbranch_vccz .LBB79_97
; %bb.18:                               ;   in Loop: Header=BB79_7 Depth=1
	ds_load_b64 v[44:45], v54
	v_lshl_add_u64 v[58:59], v[4:5], 3, v[42:43]
	s_wait_dscnt 0x0
	global_store_b64 v[58:59], v[44:45], off
	s_cbranch_execnz .LBB79_20
.LBB79_19:                              ;   in Loop: Header=BB79_7 Depth=1
	s_wait_xcnt 0x0
	ds_load_b64 v[44:45], v54
	s_wait_dscnt 0x0
	global_store_b64 v[40:41], v[44:45], off
.LBB79_20:                              ;   in Loop: Header=BB79_7 Depth=1
	s_wait_xcnt 0x0
	s_or_b32 exec_lo, exec_lo, s8
	s_and_saveexec_b32 s8, s28
	s_cbranch_execz .LBB79_24
; %bb.21:                               ;   in Loop: Header=BB79_7 Depth=1
	ds_load_b64 v[44:45], v54 offset:32
	s_and_not1_b32 vcc_lo, exec_lo, s19
	s_cbranch_vccnz .LBB79_98
; %bb.22:                               ;   in Loop: Header=BB79_7 Depth=1
	v_lshl_add_u64 v[58:59], v[8:9], 3, v[42:43]
	s_wait_dscnt 0x0
	global_store_b64 v[58:59], v[44:45], off
	s_cbranch_execnz .LBB79_24
.LBB79_23:                              ;   in Loop: Header=BB79_7 Depth=1
	s_wait_dscnt 0x0
	global_store_b64 v[40:41], v[44:45], off offset:32
.LBB79_24:                              ;   in Loop: Header=BB79_7 Depth=1
	s_wait_xcnt 0x0
	s_or_b32 exec_lo, exec_lo, s8
	s_and_saveexec_b32 s8, s29
	s_cbranch_execz .LBB79_28
; %bb.25:                               ;   in Loop: Header=BB79_7 Depth=1
	s_wait_dscnt 0x0
	ds_load_b64 v[44:45], v54 offset:64
	s_and_not1_b32 vcc_lo, exec_lo, s19
	s_cbranch_vccnz .LBB79_99
; %bb.26:                               ;   in Loop: Header=BB79_7 Depth=1
	v_lshl_add_u64 v[58:59], v[10:11], 3, v[42:43]
	s_wait_dscnt 0x0
	global_store_b64 v[58:59], v[44:45], off
	s_cbranch_execnz .LBB79_28
.LBB79_27:                              ;   in Loop: Header=BB79_7 Depth=1
	s_wait_dscnt 0x0
	global_store_b64 v[40:41], v[44:45], off offset:64
.LBB79_28:                              ;   in Loop: Header=BB79_7 Depth=1
	s_wait_xcnt 0x0
	s_or_b32 exec_lo, exec_lo, s8
	s_and_saveexec_b32 s8, s30
	s_cbranch_execz .LBB79_32
; %bb.29:                               ;   in Loop: Header=BB79_7 Depth=1
	s_wait_dscnt 0x0
	ds_load_b64 v[44:45], v54 offset:96
	s_and_not1_b32 vcc_lo, exec_lo, s19
	s_cbranch_vccnz .LBB79_100
; %bb.30:                               ;   in Loop: Header=BB79_7 Depth=1
	v_lshl_add_u64 v[58:59], v[12:13], 3, v[42:43]
	s_wait_dscnt 0x0
	global_store_b64 v[58:59], v[44:45], off
	s_cbranch_execnz .LBB79_32
.LBB79_31:                              ;   in Loop: Header=BB79_7 Depth=1
	s_wait_dscnt 0x0
	global_store_b64 v[40:41], v[44:45], off offset:96
.LBB79_32:                              ;   in Loop: Header=BB79_7 Depth=1
	s_wait_xcnt 0x0
	s_or_b32 exec_lo, exec_lo, s8
	s_and_saveexec_b32 s8, s31
	s_cbranch_execz .LBB79_36
; %bb.33:                               ;   in Loop: Header=BB79_7 Depth=1
	s_wait_dscnt 0x0
	ds_load_b64 v[44:45], v54 offset:128
	s_and_not1_b32 vcc_lo, exec_lo, s19
	s_cbranch_vccnz .LBB79_101
; %bb.34:                               ;   in Loop: Header=BB79_7 Depth=1
	v_lshl_add_u64 v[58:59], v[14:15], 3, v[42:43]
	s_wait_dscnt 0x0
	global_store_b64 v[58:59], v[44:45], off
	s_cbranch_execnz .LBB79_36
.LBB79_35:                              ;   in Loop: Header=BB79_7 Depth=1
	s_wait_dscnt 0x0
	global_store_b64 v[40:41], v[44:45], off offset:128
.LBB79_36:                              ;   in Loop: Header=BB79_7 Depth=1
	s_wait_xcnt 0x0
	s_or_b32 exec_lo, exec_lo, s8
	s_and_saveexec_b32 s8, s33
	s_cbranch_execz .LBB79_40
; %bb.37:                               ;   in Loop: Header=BB79_7 Depth=1
	s_wait_dscnt 0x0
	ds_load_b64 v[44:45], v54 offset:160
	s_and_not1_b32 vcc_lo, exec_lo, s19
	s_cbranch_vccnz .LBB79_102
; %bb.38:                               ;   in Loop: Header=BB79_7 Depth=1
	v_lshl_add_u64 v[58:59], v[16:17], 3, v[42:43]
	s_wait_dscnt 0x0
	global_store_b64 v[58:59], v[44:45], off
	s_cbranch_execnz .LBB79_40
.LBB79_39:                              ;   in Loop: Header=BB79_7 Depth=1
	s_wait_dscnt 0x0
	global_store_b64 v[40:41], v[44:45], off offset:160
.LBB79_40:                              ;   in Loop: Header=BB79_7 Depth=1
	s_wait_xcnt 0x0
	s_or_b32 exec_lo, exec_lo, s8
	s_and_saveexec_b32 s8, s34
	s_cbranch_execz .LBB79_44
; %bb.41:                               ;   in Loop: Header=BB79_7 Depth=1
	s_wait_dscnt 0x0
	ds_load_b64 v[44:45], v54 offset:192
	s_and_not1_b32 vcc_lo, exec_lo, s19
	s_cbranch_vccnz .LBB79_103
; %bb.42:                               ;   in Loop: Header=BB79_7 Depth=1
	v_lshl_add_u64 v[58:59], v[18:19], 3, v[42:43]
	s_wait_dscnt 0x0
	global_store_b64 v[58:59], v[44:45], off
	s_cbranch_execnz .LBB79_44
.LBB79_43:                              ;   in Loop: Header=BB79_7 Depth=1
	s_wait_dscnt 0x0
	global_store_b64 v[40:41], v[44:45], off offset:192
.LBB79_44:                              ;   in Loop: Header=BB79_7 Depth=1
	s_wait_xcnt 0x0
	s_or_b32 exec_lo, exec_lo, s8
	s_and_saveexec_b32 s8, s35
	s_cbranch_execz .LBB79_48
; %bb.45:                               ;   in Loop: Header=BB79_7 Depth=1
	s_wait_dscnt 0x0
	ds_load_b64 v[44:45], v54 offset:224
	s_and_not1_b32 vcc_lo, exec_lo, s19
	s_cbranch_vccnz .LBB79_104
; %bb.46:                               ;   in Loop: Header=BB79_7 Depth=1
	v_lshl_add_u64 v[58:59], v[20:21], 3, v[42:43]
	s_wait_dscnt 0x0
	global_store_b64 v[58:59], v[44:45], off
	s_cbranch_execnz .LBB79_48
.LBB79_47:                              ;   in Loop: Header=BB79_7 Depth=1
	s_wait_dscnt 0x0
	global_store_b64 v[40:41], v[44:45], off offset:224
.LBB79_48:                              ;   in Loop: Header=BB79_7 Depth=1
	s_wait_xcnt 0x0
	s_or_b32 exec_lo, exec_lo, s8
	s_and_saveexec_b32 s8, s36
	s_cbranch_execz .LBB79_52
; %bb.49:                               ;   in Loop: Header=BB79_7 Depth=1
	s_wait_dscnt 0x0
	ds_load_b64 v[44:45], v54 offset:256
	s_and_not1_b32 vcc_lo, exec_lo, s19
	s_cbranch_vccnz .LBB79_105
; %bb.50:                               ;   in Loop: Header=BB79_7 Depth=1
	v_lshl_add_u64 v[58:59], v[22:23], 3, v[42:43]
	s_wait_dscnt 0x0
	global_store_b64 v[58:59], v[44:45], off
	s_cbranch_execnz .LBB79_52
.LBB79_51:                              ;   in Loop: Header=BB79_7 Depth=1
	s_wait_dscnt 0x0
	global_store_b64 v[40:41], v[44:45], off offset:256
.LBB79_52:                              ;   in Loop: Header=BB79_7 Depth=1
	s_wait_xcnt 0x0
	s_or_b32 exec_lo, exec_lo, s8
	s_and_saveexec_b32 s8, s37
	s_cbranch_execz .LBB79_56
; %bb.53:                               ;   in Loop: Header=BB79_7 Depth=1
	s_wait_dscnt 0x0
	ds_load_b64 v[44:45], v54 offset:288
	s_and_not1_b32 vcc_lo, exec_lo, s19
	s_cbranch_vccnz .LBB79_106
; %bb.54:                               ;   in Loop: Header=BB79_7 Depth=1
	v_lshl_add_u64 v[58:59], v[24:25], 3, v[42:43]
	s_wait_dscnt 0x0
	global_store_b64 v[58:59], v[44:45], off
	s_cbranch_execnz .LBB79_56
.LBB79_55:                              ;   in Loop: Header=BB79_7 Depth=1
	s_wait_dscnt 0x0
	global_store_b64 v[40:41], v[44:45], off offset:288
.LBB79_56:                              ;   in Loop: Header=BB79_7 Depth=1
	s_wait_xcnt 0x0
	s_or_b32 exec_lo, exec_lo, s8
	s_and_saveexec_b32 s8, s38
	s_cbranch_execz .LBB79_60
; %bb.57:                               ;   in Loop: Header=BB79_7 Depth=1
	s_wait_dscnt 0x0
	ds_load_b64 v[44:45], v54 offset:320
	s_and_not1_b32 vcc_lo, exec_lo, s19
	s_cbranch_vccnz .LBB79_107
; %bb.58:                               ;   in Loop: Header=BB79_7 Depth=1
	v_lshl_add_u64 v[58:59], v[26:27], 3, v[42:43]
	s_wait_dscnt 0x0
	global_store_b64 v[58:59], v[44:45], off
	s_cbranch_execnz .LBB79_60
.LBB79_59:                              ;   in Loop: Header=BB79_7 Depth=1
	s_wait_dscnt 0x0
	global_store_b64 v[40:41], v[44:45], off offset:320
.LBB79_60:                              ;   in Loop: Header=BB79_7 Depth=1
	s_wait_xcnt 0x0
	s_or_b32 exec_lo, exec_lo, s8
	s_and_saveexec_b32 s8, s39
	s_cbranch_execz .LBB79_64
; %bb.61:                               ;   in Loop: Header=BB79_7 Depth=1
	s_wait_dscnt 0x0
	ds_load_b64 v[44:45], v54 offset:352
	s_and_not1_b32 vcc_lo, exec_lo, s19
	s_cbranch_vccnz .LBB79_108
; %bb.62:                               ;   in Loop: Header=BB79_7 Depth=1
	v_lshl_add_u64 v[58:59], v[28:29], 3, v[42:43]
	s_wait_dscnt 0x0
	global_store_b64 v[58:59], v[44:45], off
	s_cbranch_execnz .LBB79_64
.LBB79_63:                              ;   in Loop: Header=BB79_7 Depth=1
	s_wait_dscnt 0x0
	global_store_b64 v[40:41], v[44:45], off offset:352
.LBB79_64:                              ;   in Loop: Header=BB79_7 Depth=1
	s_wait_xcnt 0x0
	s_or_b32 exec_lo, exec_lo, s8
	s_and_saveexec_b32 s8, s41
	s_cbranch_execz .LBB79_68
; %bb.65:                               ;   in Loop: Header=BB79_7 Depth=1
	s_wait_dscnt 0x0
	ds_load_b64 v[44:45], v54 offset:384
	s_and_not1_b32 vcc_lo, exec_lo, s19
	s_cbranch_vccnz .LBB79_109
; %bb.66:                               ;   in Loop: Header=BB79_7 Depth=1
	v_lshl_add_u64 v[58:59], v[30:31], 3, v[42:43]
	s_wait_dscnt 0x0
	global_store_b64 v[58:59], v[44:45], off
	s_cbranch_execnz .LBB79_68
.LBB79_67:                              ;   in Loop: Header=BB79_7 Depth=1
	s_wait_dscnt 0x0
	global_store_b64 v[40:41], v[44:45], off offset:384
.LBB79_68:                              ;   in Loop: Header=BB79_7 Depth=1
	s_wait_xcnt 0x0
	s_or_b32 exec_lo, exec_lo, s8
	s_and_saveexec_b32 s8, s42
	s_cbranch_execz .LBB79_72
; %bb.69:                               ;   in Loop: Header=BB79_7 Depth=1
	s_wait_dscnt 0x0
	ds_load_b64 v[44:45], v54 offset:416
	s_and_not1_b32 vcc_lo, exec_lo, s19
	s_cbranch_vccnz .LBB79_110
; %bb.70:                               ;   in Loop: Header=BB79_7 Depth=1
	v_lshl_add_u64 v[58:59], v[32:33], 3, v[42:43]
	s_wait_dscnt 0x0
	global_store_b64 v[58:59], v[44:45], off
	s_cbranch_execnz .LBB79_72
.LBB79_71:                              ;   in Loop: Header=BB79_7 Depth=1
	s_wait_dscnt 0x0
	global_store_b64 v[40:41], v[44:45], off offset:416
.LBB79_72:                              ;   in Loop: Header=BB79_7 Depth=1
	s_wait_xcnt 0x0
	s_or_b32 exec_lo, exec_lo, s8
	s_and_saveexec_b32 s8, s43
	s_cbranch_execz .LBB79_76
; %bb.73:                               ;   in Loop: Header=BB79_7 Depth=1
	s_wait_dscnt 0x0
	ds_load_b64 v[44:45], v54 offset:448
	s_and_not1_b32 vcc_lo, exec_lo, s19
	s_cbranch_vccnz .LBB79_111
; %bb.74:                               ;   in Loop: Header=BB79_7 Depth=1
	v_lshl_add_u64 v[58:59], v[34:35], 3, v[42:43]
	s_wait_dscnt 0x0
	global_store_b64 v[58:59], v[44:45], off
	s_cbranch_execnz .LBB79_76
.LBB79_75:                              ;   in Loop: Header=BB79_7 Depth=1
	s_wait_dscnt 0x0
	global_store_b64 v[40:41], v[44:45], off offset:448
.LBB79_76:                              ;   in Loop: Header=BB79_7 Depth=1
	s_wait_xcnt 0x0
	s_or_b32 exec_lo, exec_lo, s8
	s_and_saveexec_b32 s8, s9
	s_cbranch_execz .LBB79_80
; %bb.77:                               ;   in Loop: Header=BB79_7 Depth=1
	s_wait_dscnt 0x0
	ds_load_b64 v[44:45], v54 offset:480
	s_and_not1_b32 vcc_lo, exec_lo, s19
	s_cbranch_vccnz .LBB79_112
; %bb.78:                               ;   in Loop: Header=BB79_7 Depth=1
	v_lshl_add_u64 v[42:43], v[36:37], 3, v[42:43]
	s_wait_dscnt 0x0
	global_store_b64 v[42:43], v[44:45], off
	s_cbranch_execnz .LBB79_80
.LBB79_79:                              ;   in Loop: Header=BB79_7 Depth=1
	s_wait_dscnt 0x0
	global_store_b64 v[40:41], v[44:45], off offset:480
.LBB79_80:                              ;   in Loop: Header=BB79_7 Depth=1
	s_wait_xcnt 0x0
	s_or_b32 exec_lo, exec_lo, s8
	s_mov_b32 s8, 1
.LBB79_81:                              ;   in Loop: Header=BB79_7 Depth=1
	s_wait_storecnt_dscnt 0x0
	s_barrier_signal -1
	s_barrier_wait -1
	ds_store_b32 v49, v56
	s_wait_dscnt 0x0
	s_barrier_signal -1
	s_barrier_wait -1
	s_and_saveexec_b32 s13, s0
	s_cbranch_execz .LBB79_83
; %bb.82:                               ;   in Loop: Header=BB79_7 Depth=1
	ds_load_2addr_stride64_b32 v[40:41], v49 offset1:2
	s_wait_dscnt 0x0
	v_min_i32_e32 v2, v41, v40
	ds_store_b32 v49, v2
.LBB79_83:                              ;   in Loop: Header=BB79_7 Depth=1
	s_or_b32 exec_lo, exec_lo, s13
	s_wait_dscnt 0x0
	s_barrier_signal -1
	s_barrier_wait -1
	s_and_saveexec_b32 s13, s1
	s_cbranch_execz .LBB79_85
; %bb.84:                               ;   in Loop: Header=BB79_7 Depth=1
	ds_load_2addr_stride64_b32 v[40:41], v49 offset1:1
	s_wait_dscnt 0x0
	v_min_i32_e32 v2, v41, v40
	ds_store_b32 v49, v2
.LBB79_85:                              ;   in Loop: Header=BB79_7 Depth=1
	s_or_b32 exec_lo, exec_lo, s13
	s_wait_dscnt 0x0
	s_barrier_signal -1
	s_barrier_wait -1
	s_and_saveexec_b32 s13, s2
	s_cbranch_execz .LBB79_87
; %bb.86:                               ;   in Loop: Header=BB79_7 Depth=1
	ds_load_2addr_b32 v[40:41], v49 offset1:32
	s_wait_dscnt 0x0
	v_min_i32_e32 v2, v41, v40
	ds_store_b32 v49, v2
.LBB79_87:                              ;   in Loop: Header=BB79_7 Depth=1
	s_or_b32 exec_lo, exec_lo, s13
	s_wait_dscnt 0x0
	s_barrier_signal -1
	s_barrier_wait -1
	s_and_saveexec_b32 s13, s3
	s_cbranch_execz .LBB79_89
; %bb.88:                               ;   in Loop: Header=BB79_7 Depth=1
	ds_load_2addr_b32 v[40:41], v49 offset1:16
	s_wait_dscnt 0x0
	v_min_i32_e32 v2, v41, v40
	ds_store_b32 v49, v2
.LBB79_89:                              ;   in Loop: Header=BB79_7 Depth=1
	;; [unrolled: 12-line block ×5, first 2 shown]
	s_or_b32 exec_lo, exec_lo, s13
	s_wait_dscnt 0x0
	s_barrier_signal -1
	s_barrier_wait -1
	s_and_saveexec_b32 s13, s7
	s_cbranch_execz .LBB79_6
; %bb.96:                               ;   in Loop: Header=BB79_7 Depth=1
	ds_load_b64 v[40:41], v3
	s_wait_dscnt 0x0
	v_min_i32_e32 v2, v41, v40
	ds_store_b32 v3, v2
	s_branch .LBB79_6
.LBB79_97:                              ;   in Loop: Header=BB79_7 Depth=1
	s_branch .LBB79_19
.LBB79_98:                              ;   in Loop: Header=BB79_7 Depth=1
	s_branch .LBB79_23
.LBB79_99:                              ;   in Loop: Header=BB79_7 Depth=1
	s_branch .LBB79_27
.LBB79_100:                             ;   in Loop: Header=BB79_7 Depth=1
	s_branch .LBB79_31
.LBB79_101:                             ;   in Loop: Header=BB79_7 Depth=1
	s_branch .LBB79_35
.LBB79_102:                             ;   in Loop: Header=BB79_7 Depth=1
	s_branch .LBB79_39
.LBB79_103:                             ;   in Loop: Header=BB79_7 Depth=1
	s_branch .LBB79_43
.LBB79_104:                             ;   in Loop: Header=BB79_7 Depth=1
	s_branch .LBB79_47
.LBB79_105:                             ;   in Loop: Header=BB79_7 Depth=1
	s_branch .LBB79_51
.LBB79_106:                             ;   in Loop: Header=BB79_7 Depth=1
	s_branch .LBB79_55
.LBB79_107:                             ;   in Loop: Header=BB79_7 Depth=1
	s_branch .LBB79_59
.LBB79_108:                             ;   in Loop: Header=BB79_7 Depth=1
	s_branch .LBB79_63
.LBB79_109:                             ;   in Loop: Header=BB79_7 Depth=1
	s_branch .LBB79_67
.LBB79_110:                             ;   in Loop: Header=BB79_7 Depth=1
	s_branch .LBB79_71
.LBB79_111:                             ;   in Loop: Header=BB79_7 Depth=1
	s_branch .LBB79_75
.LBB79_112:                             ;   in Loop: Header=BB79_7 Depth=1
	s_branch .LBB79_79
.LBB79_113:
	s_endpgm
	.section	.rodata,"a",@progbits
	.p2align	6, 0x0
	.amdhsa_kernel _ZN9rocsparseL38csr2bsr_block_per_row_multipass_kernelILj256ELj64E21rocsparse_complex_numIfEiiEEv20rocsparse_direction_T3_S4_S4_S4_S4_21rocsparse_index_base_PKT1_PKT2_PKS4_S5_PS6_PS9_PS4_
		.amdhsa_group_segment_fixed_size 32772
		.amdhsa_private_segment_fixed_size 0
		.amdhsa_kernarg_size 88
		.amdhsa_user_sgpr_count 2
		.amdhsa_user_sgpr_dispatch_ptr 0
		.amdhsa_user_sgpr_queue_ptr 0
		.amdhsa_user_sgpr_kernarg_segment_ptr 1
		.amdhsa_user_sgpr_dispatch_id 0
		.amdhsa_user_sgpr_kernarg_preload_length 0
		.amdhsa_user_sgpr_kernarg_preload_offset 0
		.amdhsa_user_sgpr_private_segment_size 0
		.amdhsa_wavefront_size32 1
		.amdhsa_uses_dynamic_stack 0
		.amdhsa_enable_private_segment 0
		.amdhsa_system_sgpr_workgroup_id_x 1
		.amdhsa_system_sgpr_workgroup_id_y 0
		.amdhsa_system_sgpr_workgroup_id_z 0
		.amdhsa_system_sgpr_workgroup_info 0
		.amdhsa_system_vgpr_workitem_id 0
		.amdhsa_next_free_vgpr 60
		.amdhsa_next_free_sgpr 48
		.amdhsa_named_barrier_count 0
		.amdhsa_reserve_vcc 1
		.amdhsa_float_round_mode_32 0
		.amdhsa_float_round_mode_16_64 0
		.amdhsa_float_denorm_mode_32 3
		.amdhsa_float_denorm_mode_16_64 3
		.amdhsa_fp16_overflow 0
		.amdhsa_memory_ordered 1
		.amdhsa_forward_progress 1
		.amdhsa_inst_pref_size 27
		.amdhsa_round_robin_scheduling 0
		.amdhsa_exception_fp_ieee_invalid_op 0
		.amdhsa_exception_fp_denorm_src 0
		.amdhsa_exception_fp_ieee_div_zero 0
		.amdhsa_exception_fp_ieee_overflow 0
		.amdhsa_exception_fp_ieee_underflow 0
		.amdhsa_exception_fp_ieee_inexact 0
		.amdhsa_exception_int_div_zero 0
	.end_amdhsa_kernel
	.section	.text._ZN9rocsparseL38csr2bsr_block_per_row_multipass_kernelILj256ELj64E21rocsparse_complex_numIfEiiEEv20rocsparse_direction_T3_S4_S4_S4_S4_21rocsparse_index_base_PKT1_PKT2_PKS4_S5_PS6_PS9_PS4_,"axG",@progbits,_ZN9rocsparseL38csr2bsr_block_per_row_multipass_kernelILj256ELj64E21rocsparse_complex_numIfEiiEEv20rocsparse_direction_T3_S4_S4_S4_S4_21rocsparse_index_base_PKT1_PKT2_PKS4_S5_PS6_PS9_PS4_,comdat
.Lfunc_end79:
	.size	_ZN9rocsparseL38csr2bsr_block_per_row_multipass_kernelILj256ELj64E21rocsparse_complex_numIfEiiEEv20rocsparse_direction_T3_S4_S4_S4_S4_21rocsparse_index_base_PKT1_PKT2_PKS4_S5_PS6_PS9_PS4_, .Lfunc_end79-_ZN9rocsparseL38csr2bsr_block_per_row_multipass_kernelILj256ELj64E21rocsparse_complex_numIfEiiEEv20rocsparse_direction_T3_S4_S4_S4_S4_21rocsparse_index_base_PKT1_PKT2_PKS4_S5_PS6_PS9_PS4_
                                        ; -- End function
	.set _ZN9rocsparseL38csr2bsr_block_per_row_multipass_kernelILj256ELj64E21rocsparse_complex_numIfEiiEEv20rocsparse_direction_T3_S4_S4_S4_S4_21rocsparse_index_base_PKT1_PKT2_PKS4_S5_PS6_PS9_PS4_.num_vgpr, 60
	.set _ZN9rocsparseL38csr2bsr_block_per_row_multipass_kernelILj256ELj64E21rocsparse_complex_numIfEiiEEv20rocsparse_direction_T3_S4_S4_S4_S4_21rocsparse_index_base_PKT1_PKT2_PKS4_S5_PS6_PS9_PS4_.num_agpr, 0
	.set _ZN9rocsparseL38csr2bsr_block_per_row_multipass_kernelILj256ELj64E21rocsparse_complex_numIfEiiEEv20rocsparse_direction_T3_S4_S4_S4_S4_21rocsparse_index_base_PKT1_PKT2_PKS4_S5_PS6_PS9_PS4_.numbered_sgpr, 48
	.set _ZN9rocsparseL38csr2bsr_block_per_row_multipass_kernelILj256ELj64E21rocsparse_complex_numIfEiiEEv20rocsparse_direction_T3_S4_S4_S4_S4_21rocsparse_index_base_PKT1_PKT2_PKS4_S5_PS6_PS9_PS4_.num_named_barrier, 0
	.set _ZN9rocsparseL38csr2bsr_block_per_row_multipass_kernelILj256ELj64E21rocsparse_complex_numIfEiiEEv20rocsparse_direction_T3_S4_S4_S4_S4_21rocsparse_index_base_PKT1_PKT2_PKS4_S5_PS6_PS9_PS4_.private_seg_size, 0
	.set _ZN9rocsparseL38csr2bsr_block_per_row_multipass_kernelILj256ELj64E21rocsparse_complex_numIfEiiEEv20rocsparse_direction_T3_S4_S4_S4_S4_21rocsparse_index_base_PKT1_PKT2_PKS4_S5_PS6_PS9_PS4_.uses_vcc, 1
	.set _ZN9rocsparseL38csr2bsr_block_per_row_multipass_kernelILj256ELj64E21rocsparse_complex_numIfEiiEEv20rocsparse_direction_T3_S4_S4_S4_S4_21rocsparse_index_base_PKT1_PKT2_PKS4_S5_PS6_PS9_PS4_.uses_flat_scratch, 0
	.set _ZN9rocsparseL38csr2bsr_block_per_row_multipass_kernelILj256ELj64E21rocsparse_complex_numIfEiiEEv20rocsparse_direction_T3_S4_S4_S4_S4_21rocsparse_index_base_PKT1_PKT2_PKS4_S5_PS6_PS9_PS4_.has_dyn_sized_stack, 0
	.set _ZN9rocsparseL38csr2bsr_block_per_row_multipass_kernelILj256ELj64E21rocsparse_complex_numIfEiiEEv20rocsparse_direction_T3_S4_S4_S4_S4_21rocsparse_index_base_PKT1_PKT2_PKS4_S5_PS6_PS9_PS4_.has_recursion, 0
	.set _ZN9rocsparseL38csr2bsr_block_per_row_multipass_kernelILj256ELj64E21rocsparse_complex_numIfEiiEEv20rocsparse_direction_T3_S4_S4_S4_S4_21rocsparse_index_base_PKT1_PKT2_PKS4_S5_PS6_PS9_PS4_.has_indirect_call, 0
	.section	.AMDGPU.csdata,"",@progbits
; Kernel info:
; codeLenInByte = 3444
; TotalNumSgprs: 50
; NumVgprs: 60
; ScratchSize: 0
; MemoryBound: 0
; FloatMode: 240
; IeeeMode: 1
; LDSByteSize: 32772 bytes/workgroup (compile time only)
; SGPRBlocks: 0
; VGPRBlocks: 3
; NumSGPRsForWavesPerEU: 50
; NumVGPRsForWavesPerEU: 60
; NamedBarCnt: 0
; Occupancy: 16
; WaveLimiterHint : 0
; COMPUTE_PGM_RSRC2:SCRATCH_EN: 0
; COMPUTE_PGM_RSRC2:USER_SGPR: 2
; COMPUTE_PGM_RSRC2:TRAP_HANDLER: 0
; COMPUTE_PGM_RSRC2:TGID_X_EN: 1
; COMPUTE_PGM_RSRC2:TGID_Y_EN: 0
; COMPUTE_PGM_RSRC2:TGID_Z_EN: 0
; COMPUTE_PGM_RSRC2:TIDIG_COMP_CNT: 0
	.section	.text._ZN9rocsparseL21csr2bsr_65_inf_kernelILj32E21rocsparse_complex_numIfEiiEEv20rocsparse_direction_T2_S4_S4_S4_S4_S4_21rocsparse_index_base_PKT0_PKT1_PKS4_S5_PS6_PS9_PS4_SF_SG_SE_,"axG",@progbits,_ZN9rocsparseL21csr2bsr_65_inf_kernelILj32E21rocsparse_complex_numIfEiiEEv20rocsparse_direction_T2_S4_S4_S4_S4_S4_21rocsparse_index_base_PKT0_PKT1_PKS4_S5_PS6_PS9_PS4_SF_SG_SE_,comdat
	.globl	_ZN9rocsparseL21csr2bsr_65_inf_kernelILj32E21rocsparse_complex_numIfEiiEEv20rocsparse_direction_T2_S4_S4_S4_S4_S4_21rocsparse_index_base_PKT0_PKT1_PKS4_S5_PS6_PS9_PS4_SF_SG_SE_ ; -- Begin function _ZN9rocsparseL21csr2bsr_65_inf_kernelILj32E21rocsparse_complex_numIfEiiEEv20rocsparse_direction_T2_S4_S4_S4_S4_S4_21rocsparse_index_base_PKT0_PKT1_PKS4_S5_PS6_PS9_PS4_SF_SG_SE_
	.p2align	8
	.type	_ZN9rocsparseL21csr2bsr_65_inf_kernelILj32E21rocsparse_complex_numIfEiiEEv20rocsparse_direction_T2_S4_S4_S4_S4_S4_21rocsparse_index_base_PKT0_PKT1_PKS4_S5_PS6_PS9_PS4_SF_SG_SE_,@function
_ZN9rocsparseL21csr2bsr_65_inf_kernelILj32E21rocsparse_complex_numIfEiiEEv20rocsparse_direction_T2_S4_S4_S4_S4_S4_21rocsparse_index_base_PKT0_PKT1_PKS4_S5_PS6_PS9_PS4_SF_SG_SE_: ; @_ZN9rocsparseL21csr2bsr_65_inf_kernelILj32E21rocsparse_complex_numIfEiiEEv20rocsparse_direction_T2_S4_S4_S4_S4_S4_21rocsparse_index_base_PKT0_PKT1_PKS4_S5_PS6_PS9_PS4_SF_SG_SE_
; %bb.0:
	s_clause 0x2
	s_load_b128 s[4:7], s[0:1], 0x0
	s_load_b64 s[2:3], s[0:1], 0x58
	s_load_b32 s15, s[0:1], 0x38
	s_bfe_u32 s8, ttmp6, 0x4000c
	s_and_b32 s9, ttmp6, 15
	s_add_co_i32 s8, s8, 1
	s_getreg_b32 s10, hwreg(HW_REG_IB_STS2, 6, 4)
	s_mul_i32 s8, ttmp9, s8
	s_mov_b32 s27, 0
	s_add_co_i32 s9, s9, s8
	s_cmp_eq_u32 s10, 0
	s_cselect_b32 s22, ttmp9, s9
	s_wait_kmcnt 0x0
	s_cmp_ge_i32 s22, s7
	s_mov_b32 s7, 0
	s_cbranch_scc1 .LBB80_2
; %bb.1:
	s_load_b64 s[8:9], s[0:1], 0x48
	s_ashr_i32 s23, s22, 31
	s_delay_alu instid0(SALU_CYCLE_1)
	s_lshl_b64 s[10:11], s[22:23], 2
	s_wait_kmcnt 0x0
	s_add_nc_u64 s[8:9], s[8:9], s[10:11]
	s_load_b32 s7, s[8:9], 0x0
	s_wait_kmcnt 0x0
	s_sub_co_i32 s7, s7, s15
.LBB80_2:
	s_load_b96 s[12:14], s[0:1], 0x14
	s_wait_kmcnt 0x0
	v_mul_lo_u32 v8, s13, v0
	s_mul_i32 s8, s22, s13
	s_delay_alu instid0(SALU_CYCLE_1) | instskip(NEXT) | instid1(SALU_CYCLE_1)
	s_lshl_b32 s26, s8, 6
	s_lshl_b64 s[8:9], s[26:27], 2
	s_lshl_b32 s26, s13, 5
	s_add_nc_u64 s[24:25], s[2:3], s[8:9]
	s_cmp_gt_i32 s13, 0
	s_cselect_b32 s28, -1, 0
	s_delay_alu instid0(VALU_DEP_1) | instskip(SKIP_1) | instid1(VALU_DEP_1)
	v_ashrrev_i32_e32 v9, 31, v8
	s_cmp_lt_i32 s13, 1
	v_lshl_add_u64 v[2:3], v[8:9], 2, s[24:25]
	s_cbranch_scc1 .LBB80_7
; %bb.3:
	s_load_b64 s[8:9], s[0:1], 0x28
	s_delay_alu instid0(VALU_DEP_1)
	v_mov_b64_e32 v[4:5], v[2:3]
	v_dual_mov_b32 v1, 0 :: v_dual_mov_b32 v12, v0
	s_mul_i32 s3, s12, s22
	s_lshl_b64 s[10:11], s[26:27], 2
	s_mov_b32 s16, s13
	s_branch .LBB80_5
.LBB80_4:                               ;   in Loop: Header=BB80_5 Depth=1
	s_wait_xcnt 0x0
	s_or_b32 exec_lo, exec_lo, s2
	v_add_nc_u64_e32 v[4:5], 4, v[4:5]
	v_add_nc_u32_e32 v12, 32, v12
	s_add_co_i32 s16, s16, -1
	s_delay_alu instid0(SALU_CYCLE_1)
	s_cmp_eq_u32 s16, 0
	s_cbranch_scc1 .LBB80_7
.LBB80_5:                               ; =>This Inner Loop Header: Depth=1
	s_delay_alu instid0(VALU_DEP_1) | instskip(NEXT) | instid1(VALU_DEP_3)
	v_add_nc_u32_e32 v10, s3, v12
	v_add_nc_u64_e32 v[6:7], s[10:11], v[4:5]
	v_cmp_gt_u32_e64 s2, s12, v12
	global_store_b32 v[4:5], v1, off
	v_cmp_gt_i32_e32 vcc_lo, s5, v10
	global_store_b32 v[6:7], v1, off
	s_and_b32 s17, s2, vcc_lo
	s_wait_xcnt 0x0
	s_and_saveexec_b32 s2, s17
	s_cbranch_execz .LBB80_4
; %bb.6:                                ;   in Loop: Header=BB80_5 Depth=1
	v_ashrrev_i32_e32 v11, 31, v10
	s_wait_kmcnt 0x0
	s_delay_alu instid0(VALU_DEP_1)
	v_lshl_add_u64 v[10:11], v[10:11], 2, s[8:9]
	global_load_b64 v[10:11], v[10:11], off
	s_wait_loadcnt 0x0
	v_subrev_nc_u32_e32 v10, s14, v10
	v_subrev_nc_u32_e32 v11, s14, v11
	s_clause 0x1
	global_store_b32 v[4:5], v10, off
	global_store_b32 v[6:7], v11, off
	s_branch .LBB80_4
.LBB80_7:
	s_cmp_lt_i32 s6, 1
	s_cbranch_scc1 .LBB80_37
; %bb.8:
	v_mbcnt_lo_u32_b32 v10, -1, 0
	s_mul_i32 s22, s26, s22
	s_mov_b32 s23, 0
	s_wait_kmcnt 0x0
	s_clause 0x4
	s_load_b128 s[8:11], s[0:1], 0x60
	s_load_b64 s[2:3], s[0:1], 0x50
	s_load_b64 s[16:17], s[0:1], 0x40
	;; [unrolled: 1-line block ×4, first 2 shown]
	s_wait_xcnt 0x0
	s_lshl_b64 s[0:1], s[26:27], 2
	v_xor_b32_e32 v11, 8, v10
	v_xor_b32_e32 v1, 16, v10
	s_lshl_b64 s[26:27], s[22:23], 2
	s_lshl_b64 s[30:31], s[22:23], 3
	s_cmp_lg_u32 s4, 0
	s_add_nc_u64 s[4:5], s[24:25], s[0:1]
	v_cmp_gt_i32_e32 vcc_lo, 32, v1
	s_cselect_b32 s1, -1, 0
	s_abs_i32 s24, s12
	v_lshlrev_b64_e32 v[6:7], 2, v[8:9]
	s_cvt_f32_u32 s0, s24
	v_dual_cndmask_b32 v1, v10, v1, vcc_lo :: v_dual_bitop2_b32 v12, 4, v10 bitop3:0x14
	v_mul_lo_u32 v35, v0, s12
	s_delay_alu instid0(SALU_CYCLE_1) | instskip(NEXT) | instid1(VALU_DEP_2)
	v_rcp_iflag_f32_e32 v14, s0
	v_dual_mov_b32 v37, 0 :: v_dual_lshlrev_b32 v1, 2, v1
	v_cmp_gt_i32_e32 vcc_lo, 32, v11
	v_add_nc_u64_e32 v[4:5], s[4:5], v[6:7]
	s_wait_kmcnt 0x0
	s_add_nc_u64 s[4:5], s[8:9], s[26:27]
	s_add_nc_u64 s[8:9], s[10:11], s[30:31]
	v_readfirstlane_b32 s0, v14
	v_cndmask_b32_e32 v11, v10, v11, vcc_lo
	v_cmp_gt_i32_e32 vcc_lo, 32, v12
	v_xor_b32_e32 v13, 2, v10
	v_add_nc_u64_e32 v[6:7], s[4:5], v[6:7]
	s_mul_f32 s4, s0, 0x4f7ffffe
	v_lshl_add_u64 v[8:9], v[8:9], 3, s[8:9]
	v_cndmask_b32_e32 v12, v10, v12, vcc_lo
	v_cmp_gt_i32_e32 vcc_lo, 32, v13
	v_xor_b32_e32 v15, 1, v10
	s_cvt_u32_f32 s10, s4
	s_sub_co_i32 s4, 0, s24
	v_cmp_eq_u32_e64 s0, 31, v0
	v_cndmask_b32_e32 v13, v10, v13, vcc_lo
	v_cmp_gt_i32_e32 vcc_lo, 32, v15
	v_dual_lshlrev_b32 v30, 2, v11 :: v_dual_lshlrev_b32 v31, 2, v12
	s_mul_i32 s8, s4, s10
	s_delay_alu instid0(VALU_DEP_3) | instskip(SKIP_2) | instid1(VALU_DEP_3)
	v_dual_lshlrev_b32 v32, 2, v13 :: v_dual_cndmask_b32 v10, v10, v15, vcc_lo
	v_mov_b64_e32 v[12:13], 0
	v_dual_mov_b32 v34, 0x7c :: v_dual_mov_b32 v11, 0
	v_dual_mov_b32 v36, 0 :: v_dual_lshlrev_b32 v33, 2, v10
	v_mov_b32_e32 v10, 0
	s_ashr_i32 s5, s12, 31
	s_mov_b32 s4, s12
	s_mul_hi_u32 s11, s10, s8
	s_add_co_i32 s25, s7, -1
	s_mul_u64 s[8:9], s[4:5], s[4:5]
	s_add_co_i32 s10, s10, s11
	s_mov_b32 s11, s23
	s_lshl_b32 s4, s12, 5
	s_mov_b32 s26, 0
	s_branch .LBB80_10
.LBB80_9:                               ;   in Loop: Header=BB80_10 Depth=1
	s_wait_dscnt 0x1
	v_add_nc_u32_e32 v10, 1, v38
	s_delay_alu instid0(VALU_DEP_1) | instskip(SKIP_1) | instid1(SALU_CYCLE_1)
	v_cmp_le_i32_e32 vcc_lo, s6, v10
	s_or_b32 s26, vcc_lo, s26
	s_and_not1_b32 exec_lo, exec_lo, s26
	s_cbranch_execz .LBB80_37
.LBB80_10:                              ; =>This Loop Header: Depth=1
                                        ;     Child Loop BB80_14 Depth 2
                                        ;       Child Loop BB80_17 Depth 3
                                        ;     Child Loop BB80_31 Depth 2
	v_mov_b32_e32 v26, s6
	s_and_not1_b32 vcc_lo, exec_lo, s28
	s_cbranch_vccnz .LBB80_23
; %bb.11:                               ;   in Loop: Header=BB80_10 Depth=1
	v_mov_b32_e32 v26, s6
	s_mov_b32 s22, 0
	s_branch .LBB80_14
.LBB80_12:                              ;   in Loop: Header=BB80_14 Depth=2
	s_wait_xcnt 0x0
	s_or_b32 exec_lo, exec_lo, s29
.LBB80_13:                              ;   in Loop: Header=BB80_14 Depth=2
	s_delay_alu instid0(SALU_CYCLE_1) | instskip(SKIP_1) | instid1(SALU_CYCLE_1)
	s_or_b32 exec_lo, exec_lo, s27
	s_add_co_i32 s22, s22, 1
	s_cmp_eq_u32 s22, s13
	s_cbranch_scc1 .LBB80_23
.LBB80_14:                              ;   Parent Loop BB80_10 Depth=1
                                        ; =>  This Loop Header: Depth=2
                                        ;       Child Loop BB80_17 Depth 3
	s_lshl_b64 s[30:31], s[22:23], 2
	v_mov_b32_e32 v20, s6
	v_add_nc_u64_e32 v[14:15], s[30:31], v[2:3]
	v_add_nc_u64_e32 v[16:17], s[30:31], v[4:5]
	;; [unrolled: 1-line block ×3, first 2 shown]
	s_mov_b32 s27, exec_lo
	s_clause 0x1
	global_load_b32 v22, v[14:15], off
	global_load_b32 v28, v[16:17], off
	s_wait_xcnt 0x0
	v_lshl_add_u64 v[16:17], s[22:23], 3, v[8:9]
	global_store_b64 v[16:17], v[12:13], off
	global_store_b32 v[18:19], v20, off
	s_wait_loadcnt 0x0
	s_wait_xcnt 0x0
	v_cmpx_lt_i32_e64 v22, v28
	s_cbranch_execz .LBB80_13
; %bb.15:                               ;   in Loop: Header=BB80_14 Depth=2
	v_ashrrev_i32_e32 v23, 31, v22
	s_mov_b32 s29, 0
                                        ; implicit-def: $sgpr30
                                        ; implicit-def: $sgpr33
                                        ; implicit-def: $sgpr31
	s_delay_alu instid0(VALU_DEP_1)
	v_lshl_add_u64 v[24:25], v[22:23], 2, s[20:21]
	s_branch .LBB80_17
.LBB80_16:                              ;   in Loop: Header=BB80_17 Depth=3
	s_or_b32 exec_lo, exec_lo, s34
	s_delay_alu instid0(SALU_CYCLE_1) | instskip(NEXT) | instid1(SALU_CYCLE_1)
	s_and_b32 s34, exec_lo, s33
	s_or_b32 s29, s34, s29
	s_and_not1_b32 s30, s30, exec_lo
	s_and_b32 s34, s31, exec_lo
	s_delay_alu instid0(SALU_CYCLE_1)
	s_or_b32 s30, s30, s34
	s_and_not1_b32 exec_lo, exec_lo, s29
	s_cbranch_execz .LBB80_19
.LBB80_17:                              ;   Parent Loop BB80_10 Depth=1
                                        ;     Parent Loop BB80_14 Depth=2
                                        ; =>    This Inner Loop Header: Depth=3
	global_load_b32 v20, v[24:25], off
	s_or_b32 s31, s31, exec_lo
	s_or_b32 s33, s33, exec_lo
	s_mov_b32 s34, exec_lo
	s_wait_loadcnt 0x0
	v_subrev_nc_u32_e32 v27, s14, v20
	v_mov_b64_e32 v[20:21], v[22:23]
                                        ; implicit-def: $vgpr22_vgpr23
	s_wait_xcnt 0x0
	s_delay_alu instid0(VALU_DEP_2)
	v_cmpx_lt_i32_e64 v27, v10
	s_cbranch_execz .LBB80_16
; %bb.18:                               ;   in Loop: Header=BB80_17 Depth=3
	s_delay_alu instid0(VALU_DEP_2) | instskip(SKIP_3) | instid1(VALU_DEP_2)
	v_add_nc_u64_e32 v[22:23], 1, v[20:21]
	v_add_nc_u64_e32 v[24:25], 4, v[24:25]
	s_and_not1_b32 s33, s33, exec_lo
	s_and_not1_b32 s31, s31, exec_lo
	v_cmp_ge_i32_e32 vcc_lo, v22, v28
	s_and_b32 s35, vcc_lo, exec_lo
	s_delay_alu instid0(SALU_CYCLE_1)
	s_or_b32 s33, s33, s35
	s_branch .LBB80_16
.LBB80_19:                              ;   in Loop: Header=BB80_14 Depth=2
	s_or_b32 exec_lo, exec_lo, s29
	v_lshl_add_u64 v[22:23], v[20:21], 3, s[18:19]
	s_xor_b32 s29, s30, -1
	s_delay_alu instid0(SALU_CYCLE_1) | instskip(NEXT) | instid1(SALU_CYCLE_1)
	s_and_saveexec_b32 s30, s29
	s_xor_b32 s29, exec_lo, s30
	s_cbranch_execz .LBB80_21
; %bb.20:                               ;   in Loop: Header=BB80_14 Depth=2
	global_load_b64 v[14:15], v[22:23], off
                                        ; implicit-def: $vgpr22_vgpr23
	s_wait_loadcnt 0x0
	global_store_b64 v[16:17], v[14:15], off
	global_store_b32 v[18:19], v27, off
                                        ; implicit-def: $vgpr16_vgpr17
                                        ; implicit-def: $vgpr18_vgpr19
                                        ; implicit-def: $vgpr14_vgpr15
.LBB80_21:                              ;   in Loop: Header=BB80_14 Depth=2
	s_wait_xcnt 0x0
	s_and_not1_saveexec_b32 s29, s29
	s_cbranch_execz .LBB80_12
; %bb.22:                               ;   in Loop: Header=BB80_14 Depth=2
	global_load_b64 v[22:23], v[22:23], off
	v_min_i32_e32 v26, v27, v26
	global_store_b32 v[18:19], v27, off
	s_wait_loadcnt 0x0
	global_store_b64 v[16:17], v[22:23], off
	global_store_b32 v[14:15], v20, off
	s_branch .LBB80_12
.LBB80_23:                              ;   in Loop: Header=BB80_10 Depth=1
	ds_bpermute_b32 v10, v1, v26
	s_wait_dscnt 0x0
	v_min_i32_e32 v10, v10, v26
	ds_bpermute_b32 v14, v30, v10
	s_wait_dscnt 0x0
	v_min_i32_e32 v10, v14, v10
	;; [unrolled: 3-line block ×5, first 2 shown]
	s_delay_alu instid0(VALU_DEP_1) | instskip(SKIP_1) | instid1(SALU_CYCLE_1)
	v_cmp_gt_i32_e32 vcc_lo, s6, v14
	s_and_b32 s27, s0, vcc_lo
	s_and_saveexec_b32 s22, s27
	s_cbranch_execz .LBB80_27
; %bb.24:                               ;   in Loop: Header=BB80_10 Depth=1
	v_sub_nc_u32_e32 v10, 0, v14
	s_mov_b32 s27, exec_lo
	s_delay_alu instid0(VALU_DEP_1) | instskip(NEXT) | instid1(VALU_DEP_1)
	v_max_i32_e32 v10, v14, v10
	v_mul_u64_e32 v[16:17], s[10:11], v[10:11]
	s_delay_alu instid0(VALU_DEP_1) | instskip(NEXT) | instid1(VALU_DEP_1)
	v_mul_lo_u32 v15, v17, s24
	v_dual_sub_nc_u32 v10, v10, v15 :: v_dual_add_nc_u32 v15, 1, v17
	s_delay_alu instid0(VALU_DEP_1) | instskip(NEXT) | instid1(VALU_DEP_2)
	v_cmp_le_u32_e32 vcc_lo, s24, v10
	v_dual_cndmask_b32 v15, v17, v15, vcc_lo :: v_dual_ashrrev_i32 v17, 31, v14
	v_subrev_nc_u32_e32 v16, s24, v10
	s_delay_alu instid0(VALU_DEP_1) | instskip(NEXT) | instid1(VALU_DEP_1)
	v_dual_cndmask_b32 v10, v10, v16, vcc_lo :: v_dual_add_nc_u32 v16, 1, v15
	v_cmp_le_u32_e32 vcc_lo, s24, v10
	s_delay_alu instid0(VALU_DEP_2) | instskip(NEXT) | instid1(VALU_DEP_1)
	v_dual_cndmask_b32 v10, v15, v16, vcc_lo :: v_dual_bitop2_b32 v17, s5, v17 bitop3:0x14
	v_xor_b32_e32 v10, v10, v17
	s_delay_alu instid0(VALU_DEP_1) | instskip(NEXT) | instid1(VALU_DEP_1)
	v_sub_nc_u32_e32 v10, v10, v17
	v_cmpx_ge_i32_e64 v10, v36
	s_cbranch_execz .LBB80_26
; %bb.25:                               ;   in Loop: Header=BB80_10 Depth=1
	v_dual_add_nc_u32 v15, 1, v37 :: v_dual_add_nc_u32 v36, 1, v10
	v_dual_add_nc_u32 v16, s7, v37 :: v_dual_add_nc_u32 v10, s15, v10
	s_delay_alu instid0(VALU_DEP_2)
	v_mov_b32_e32 v37, v15
	global_store_b32 v16, v10, s[2:3] scale_offset
.LBB80_26:                              ;   in Loop: Header=BB80_10 Depth=1
	s_wait_xcnt 0x0
	s_or_b32 exec_lo, exec_lo, s27
.LBB80_27:                              ;   in Loop: Header=BB80_10 Depth=1
	s_delay_alu instid0(SALU_CYCLE_1)
	s_or_b32 exec_lo, exec_lo, s22
	ds_bpermute_b32 v38, v34, v14
	ds_bpermute_b32 v37, v34, v37
	s_and_not1_b32 vcc_lo, exec_lo, s28
	s_cbranch_vccnz .LBB80_9
; %bb.28:                               ;   in Loop: Header=BB80_10 Depth=1
	s_wait_dscnt 0x0
	v_dual_sub_nc_u32 v10, 0, v38 :: v_dual_add_nc_u32 v16, s25, v37
	s_mov_b32 s22, s13
	v_dual_mov_b32 v18, v0 :: v_dual_mov_b32 v22, v35
	s_delay_alu instid0(VALU_DEP_2) | instskip(NEXT) | instid1(VALU_DEP_1)
	v_dual_ashrrev_i32 v17, 31, v16 :: v_dual_max_i32 v10, v38, v10
	v_mul_u64_e32 v[14:15], s[10:11], v[10:11]
	s_delay_alu instid0(VALU_DEP_2) | instskip(NEXT) | instid1(VALU_DEP_2)
	v_mul_u64_e32 v[20:21], s[8:9], v[16:17]
	v_mul_lo_u32 v14, v15, s24
	s_delay_alu instid0(VALU_DEP_2) | instskip(NEXT) | instid1(VALU_DEP_2)
	v_lshl_add_u64 v[20:21], v[20:21], 3, s[16:17]
	v_dual_sub_nc_u32 v10, v10, v14 :: v_dual_add_nc_u32 v14, 1, v15
	s_delay_alu instid0(VALU_DEP_1) | instskip(SKIP_1) | instid1(VALU_DEP_2)
	v_subrev_nc_u32_e32 v16, s24, v10
	v_cmp_le_u32_e32 vcc_lo, s24, v10
	v_dual_cndmask_b32 v14, v15, v14, vcc_lo :: v_dual_cndmask_b32 v10, v10, v16, vcc_lo
	s_delay_alu instid0(VALU_DEP_1) | instskip(NEXT) | instid1(VALU_DEP_2)
	v_add_nc_u32_e32 v16, 1, v14
	v_cmp_le_u32_e32 vcc_lo, s24, v10
	s_delay_alu instid0(VALU_DEP_2) | instskip(NEXT) | instid1(VALU_DEP_1)
	v_dual_cndmask_b32 v10, v14, v16 :: v_dual_ashrrev_i32 v15, 31, v38
	v_xor_b32_e32 v19, s5, v15
	v_mov_b64_e32 v[14:15], v[8:9]
	v_mov_b64_e32 v[16:17], v[6:7]
	s_delay_alu instid0(VALU_DEP_3) | instskip(NEXT) | instid1(VALU_DEP_1)
	v_xor_b32_e32 v10, v10, v19
	v_sub_nc_u32_e32 v39, v10, v19
	s_branch .LBB80_31
.LBB80_29:                              ;   in Loop: Header=BB80_31 Depth=2
	s_delay_alu instid0(VALU_DEP_1) | instskip(NEXT) | instid1(VALU_DEP_1)
	v_lshl_add_u64 v[26:27], v[26:27], 3, v[20:21]
	v_lshl_add_u64 v[26:27], v[28:29], 3, v[26:27]
	s_wait_loadcnt 0x0
	global_store_b64 v[26:27], v[24:25], off
.LBB80_30:                              ;   in Loop: Header=BB80_31 Depth=2
	s_wait_xcnt 0x0
	s_or_b32 exec_lo, exec_lo, s27
	v_add_nc_u64_e32 v[16:17], 4, v[16:17]
	v_add_nc_u64_e32 v[14:15], 8, v[14:15]
	v_add_nc_u32_e32 v22, s4, v22
	v_add_nc_u32_e32 v18, 32, v18
	s_add_co_i32 s22, s22, -1
	s_delay_alu instid0(SALU_CYCLE_1)
	s_cmp_eq_u32 s22, 0
	s_cbranch_scc1 .LBB80_9
.LBB80_31:                              ;   Parent Loop BB80_10 Depth=1
                                        ; =>  This Inner Loop Header: Depth=2
	global_load_b32 v19, v[16:17], off
	s_mov_b32 s27, exec_lo
	s_wait_loadcnt 0x0
	v_cmpx_gt_i32_e64 s6, v19
	s_cbranch_execz .LBB80_30
; %bb.32:                               ;   in Loop: Header=BB80_31 Depth=2
	v_sub_nc_u32_e32 v10, 0, v19
	s_delay_alu instid0(VALU_DEP_1) | instskip(NEXT) | instid1(VALU_DEP_1)
	v_max_i32_e32 v10, v19, v10
	v_mul_u64_e32 v[24:25], s[10:11], v[10:11]
	s_delay_alu instid0(VALU_DEP_1) | instskip(NEXT) | instid1(VALU_DEP_1)
	v_mul_lo_u32 v23, v25, s24
	v_dual_add_nc_u32 v24, 1, v25 :: v_dual_sub_nc_u32 v23, v10, v23
	s_delay_alu instid0(VALU_DEP_1) | instskip(NEXT) | instid1(VALU_DEP_2)
	v_cmp_le_u32_e32 vcc_lo, s24, v23
	v_cndmask_b32_e32 v24, v25, v24, vcc_lo
	s_delay_alu instid0(VALU_DEP_1) | instskip(SKIP_1) | instid1(VALU_DEP_1)
	v_add_nc_u32_e32 v25, 1, v24
	v_subrev_nc_u32_e32 v26, s24, v23
	v_dual_cndmask_b32 v23, v23, v26 :: v_dual_ashrrev_i32 v40, 31, v19
	s_delay_alu instid0(VALU_DEP_1) | instskip(NEXT) | instid1(VALU_DEP_2)
	v_cmp_le_u32_e32 vcc_lo, s24, v23
	v_dual_cndmask_b32 v23, v24, v25, vcc_lo :: v_dual_bitop2_b32 v26, s5, v40 bitop3:0x14
	s_delay_alu instid0(VALU_DEP_1) | instskip(NEXT) | instid1(VALU_DEP_1)
	v_xor_b32_e32 v23, v23, v26
	v_sub_nc_u32_e32 v23, v23, v26
	s_delay_alu instid0(VALU_DEP_1)
	v_cmp_eq_u32_e32 vcc_lo, v23, v39
	s_and_b32 exec_lo, exec_lo, vcc_lo
	s_cbranch_execz .LBB80_30
; %bb.33:                               ;   in Loop: Header=BB80_31 Depth=2
	global_load_b64 v[24:25], v[14:15], off
	s_and_b32 vcc_lo, exec_lo, s1
	s_cbranch_vccz .LBB80_35
; %bb.34:                               ;   in Loop: Header=BB80_31 Depth=2
	v_mul_lo_u32 v23, v39, s12
	s_delay_alu instid0(VALU_DEP_1) | instskip(NEXT) | instid1(VALU_DEP_1)
	v_sub_nc_u32_e32 v19, v19, v23
	v_mul_lo_u32 v26, v19, s12
	v_mov_b32_e32 v19, v11
	s_delay_alu instid0(VALU_DEP_1) | instskip(NEXT) | instid1(VALU_DEP_3)
	v_mov_b64_e32 v[28:29], v[18:19]
	v_ashrrev_i32_e32 v27, 31, v26
	s_cbranch_execnz .LBB80_29
	s_branch .LBB80_36
.LBB80_35:                              ;   in Loop: Header=BB80_31 Depth=2
	v_mov_b32_e32 v23, v11
                                        ; implicit-def: $vgpr28_vgpr29
	s_delay_alu instid0(VALU_DEP_1)
	v_mov_b64_e32 v[26:27], v[22:23]
.LBB80_36:                              ;   in Loop: Header=BB80_31 Depth=2
	v_mul_u64_e32 v[28:29], s[10:11], v[10:11]
	s_delay_alu instid0(VALU_DEP_1) | instskip(NEXT) | instid1(VALU_DEP_1)
	v_mul_lo_u32 v19, v29, s24
	v_sub_nc_u32_e32 v10, v10, v19
	s_delay_alu instid0(VALU_DEP_1) | instskip(SKIP_1) | instid1(VALU_DEP_2)
	v_subrev_nc_u32_e32 v19, s24, v10
	v_cmp_le_u32_e32 vcc_lo, s24, v10
	v_cndmask_b32_e32 v10, v10, v19, vcc_lo
	s_delay_alu instid0(VALU_DEP_1) | instskip(SKIP_1) | instid1(VALU_DEP_2)
	v_subrev_nc_u32_e32 v19, s24, v10
	v_cmp_le_u32_e32 vcc_lo, s24, v10
	v_cndmask_b32_e32 v10, v10, v19, vcc_lo
	s_delay_alu instid0(VALU_DEP_1) | instskip(NEXT) | instid1(VALU_DEP_1)
	v_xor_b32_e32 v10, v10, v40
	v_sub_nc_u32_e32 v28, v10, v40
	s_delay_alu instid0(VALU_DEP_1)
	v_ashrrev_i32_e32 v29, 31, v28
	s_branch .LBB80_29
.LBB80_37:
	s_endpgm
	.section	.rodata,"a",@progbits
	.p2align	6, 0x0
	.amdhsa_kernel _ZN9rocsparseL21csr2bsr_65_inf_kernelILj32E21rocsparse_complex_numIfEiiEEv20rocsparse_direction_T2_S4_S4_S4_S4_S4_21rocsparse_index_base_PKT0_PKT1_PKS4_S5_PS6_PS9_PS4_SF_SG_SE_
		.amdhsa_group_segment_fixed_size 0
		.amdhsa_private_segment_fixed_size 0
		.amdhsa_kernarg_size 112
		.amdhsa_user_sgpr_count 2
		.amdhsa_user_sgpr_dispatch_ptr 0
		.amdhsa_user_sgpr_queue_ptr 0
		.amdhsa_user_sgpr_kernarg_segment_ptr 1
		.amdhsa_user_sgpr_dispatch_id 0
		.amdhsa_user_sgpr_kernarg_preload_length 0
		.amdhsa_user_sgpr_kernarg_preload_offset 0
		.amdhsa_user_sgpr_private_segment_size 0
		.amdhsa_wavefront_size32 1
		.amdhsa_uses_dynamic_stack 0
		.amdhsa_enable_private_segment 0
		.amdhsa_system_sgpr_workgroup_id_x 1
		.amdhsa_system_sgpr_workgroup_id_y 0
		.amdhsa_system_sgpr_workgroup_id_z 0
		.amdhsa_system_sgpr_workgroup_info 0
		.amdhsa_system_vgpr_workitem_id 0
		.amdhsa_next_free_vgpr 41
		.amdhsa_next_free_sgpr 36
		.amdhsa_named_barrier_count 0
		.amdhsa_reserve_vcc 1
		.amdhsa_float_round_mode_32 0
		.amdhsa_float_round_mode_16_64 0
		.amdhsa_float_denorm_mode_32 3
		.amdhsa_float_denorm_mode_16_64 3
		.amdhsa_fp16_overflow 0
		.amdhsa_memory_ordered 1
		.amdhsa_forward_progress 1
		.amdhsa_inst_pref_size 17
		.amdhsa_round_robin_scheduling 0
		.amdhsa_exception_fp_ieee_invalid_op 0
		.amdhsa_exception_fp_denorm_src 0
		.amdhsa_exception_fp_ieee_div_zero 0
		.amdhsa_exception_fp_ieee_overflow 0
		.amdhsa_exception_fp_ieee_underflow 0
		.amdhsa_exception_fp_ieee_inexact 0
		.amdhsa_exception_int_div_zero 0
	.end_amdhsa_kernel
	.section	.text._ZN9rocsparseL21csr2bsr_65_inf_kernelILj32E21rocsparse_complex_numIfEiiEEv20rocsparse_direction_T2_S4_S4_S4_S4_S4_21rocsparse_index_base_PKT0_PKT1_PKS4_S5_PS6_PS9_PS4_SF_SG_SE_,"axG",@progbits,_ZN9rocsparseL21csr2bsr_65_inf_kernelILj32E21rocsparse_complex_numIfEiiEEv20rocsparse_direction_T2_S4_S4_S4_S4_S4_21rocsparse_index_base_PKT0_PKT1_PKS4_S5_PS6_PS9_PS4_SF_SG_SE_,comdat
.Lfunc_end80:
	.size	_ZN9rocsparseL21csr2bsr_65_inf_kernelILj32E21rocsparse_complex_numIfEiiEEv20rocsparse_direction_T2_S4_S4_S4_S4_S4_21rocsparse_index_base_PKT0_PKT1_PKS4_S5_PS6_PS9_PS4_SF_SG_SE_, .Lfunc_end80-_ZN9rocsparseL21csr2bsr_65_inf_kernelILj32E21rocsparse_complex_numIfEiiEEv20rocsparse_direction_T2_S4_S4_S4_S4_S4_21rocsparse_index_base_PKT0_PKT1_PKS4_S5_PS6_PS9_PS4_SF_SG_SE_
                                        ; -- End function
	.set _ZN9rocsparseL21csr2bsr_65_inf_kernelILj32E21rocsparse_complex_numIfEiiEEv20rocsparse_direction_T2_S4_S4_S4_S4_S4_21rocsparse_index_base_PKT0_PKT1_PKS4_S5_PS6_PS9_PS4_SF_SG_SE_.num_vgpr, 41
	.set _ZN9rocsparseL21csr2bsr_65_inf_kernelILj32E21rocsparse_complex_numIfEiiEEv20rocsparse_direction_T2_S4_S4_S4_S4_S4_21rocsparse_index_base_PKT0_PKT1_PKS4_S5_PS6_PS9_PS4_SF_SG_SE_.num_agpr, 0
	.set _ZN9rocsparseL21csr2bsr_65_inf_kernelILj32E21rocsparse_complex_numIfEiiEEv20rocsparse_direction_T2_S4_S4_S4_S4_S4_21rocsparse_index_base_PKT0_PKT1_PKS4_S5_PS6_PS9_PS4_SF_SG_SE_.numbered_sgpr, 36
	.set _ZN9rocsparseL21csr2bsr_65_inf_kernelILj32E21rocsparse_complex_numIfEiiEEv20rocsparse_direction_T2_S4_S4_S4_S4_S4_21rocsparse_index_base_PKT0_PKT1_PKS4_S5_PS6_PS9_PS4_SF_SG_SE_.num_named_barrier, 0
	.set _ZN9rocsparseL21csr2bsr_65_inf_kernelILj32E21rocsparse_complex_numIfEiiEEv20rocsparse_direction_T2_S4_S4_S4_S4_S4_21rocsparse_index_base_PKT0_PKT1_PKS4_S5_PS6_PS9_PS4_SF_SG_SE_.private_seg_size, 0
	.set _ZN9rocsparseL21csr2bsr_65_inf_kernelILj32E21rocsparse_complex_numIfEiiEEv20rocsparse_direction_T2_S4_S4_S4_S4_S4_21rocsparse_index_base_PKT0_PKT1_PKS4_S5_PS6_PS9_PS4_SF_SG_SE_.uses_vcc, 1
	.set _ZN9rocsparseL21csr2bsr_65_inf_kernelILj32E21rocsparse_complex_numIfEiiEEv20rocsparse_direction_T2_S4_S4_S4_S4_S4_21rocsparse_index_base_PKT0_PKT1_PKS4_S5_PS6_PS9_PS4_SF_SG_SE_.uses_flat_scratch, 0
	.set _ZN9rocsparseL21csr2bsr_65_inf_kernelILj32E21rocsparse_complex_numIfEiiEEv20rocsparse_direction_T2_S4_S4_S4_S4_S4_21rocsparse_index_base_PKT0_PKT1_PKS4_S5_PS6_PS9_PS4_SF_SG_SE_.has_dyn_sized_stack, 0
	.set _ZN9rocsparseL21csr2bsr_65_inf_kernelILj32E21rocsparse_complex_numIfEiiEEv20rocsparse_direction_T2_S4_S4_S4_S4_S4_21rocsparse_index_base_PKT0_PKT1_PKS4_S5_PS6_PS9_PS4_SF_SG_SE_.has_recursion, 0
	.set _ZN9rocsparseL21csr2bsr_65_inf_kernelILj32E21rocsparse_complex_numIfEiiEEv20rocsparse_direction_T2_S4_S4_S4_S4_S4_21rocsparse_index_base_PKT0_PKT1_PKS4_S5_PS6_PS9_PS4_SF_SG_SE_.has_indirect_call, 0
	.section	.AMDGPU.csdata,"",@progbits
; Kernel info:
; codeLenInByte = 2132
; TotalNumSgprs: 38
; NumVgprs: 41
; ScratchSize: 0
; MemoryBound: 0
; FloatMode: 240
; IeeeMode: 1
; LDSByteSize: 0 bytes/workgroup (compile time only)
; SGPRBlocks: 0
; VGPRBlocks: 2
; NumSGPRsForWavesPerEU: 38
; NumVGPRsForWavesPerEU: 41
; NamedBarCnt: 0
; Occupancy: 16
; WaveLimiterHint : 0
; COMPUTE_PGM_RSRC2:SCRATCH_EN: 0
; COMPUTE_PGM_RSRC2:USER_SGPR: 2
; COMPUTE_PGM_RSRC2:TRAP_HANDLER: 0
; COMPUTE_PGM_RSRC2:TGID_X_EN: 1
; COMPUTE_PGM_RSRC2:TGID_Y_EN: 0
; COMPUTE_PGM_RSRC2:TGID_Z_EN: 0
; COMPUTE_PGM_RSRC2:TIDIG_COMP_CNT: 0
	.section	.text._ZN9rocsparseL35csr2bsr_block_dim_equals_one_kernelILj256E21rocsparse_complex_numIfEliEEvT2_S3_S3_S3_21rocsparse_index_base_PKT0_PKT1_PKS3_S4_PS5_PS8_PS3_,"axG",@progbits,_ZN9rocsparseL35csr2bsr_block_dim_equals_one_kernelILj256E21rocsparse_complex_numIfEliEEvT2_S3_S3_S3_21rocsparse_index_base_PKT0_PKT1_PKS3_S4_PS5_PS8_PS3_,comdat
	.globl	_ZN9rocsparseL35csr2bsr_block_dim_equals_one_kernelILj256E21rocsparse_complex_numIfEliEEvT2_S3_S3_S3_21rocsparse_index_base_PKT0_PKT1_PKS3_S4_PS5_PS8_PS3_ ; -- Begin function _ZN9rocsparseL35csr2bsr_block_dim_equals_one_kernelILj256E21rocsparse_complex_numIfEliEEvT2_S3_S3_S3_21rocsparse_index_base_PKT0_PKT1_PKS3_S4_PS5_PS8_PS3_
	.p2align	8
	.type	_ZN9rocsparseL35csr2bsr_block_dim_equals_one_kernelILj256E21rocsparse_complex_numIfEliEEvT2_S3_S3_S3_21rocsparse_index_base_PKT0_PKT1_PKS3_S4_PS5_PS8_PS3_,@function
_ZN9rocsparseL35csr2bsr_block_dim_equals_one_kernelILj256E21rocsparse_complex_numIfEliEEvT2_S3_S3_S3_21rocsparse_index_base_PKT0_PKT1_PKS3_S4_PS5_PS8_PS3_: ; @_ZN9rocsparseL35csr2bsr_block_dim_equals_one_kernelILj256E21rocsparse_complex_numIfEliEEvT2_S3_S3_S3_21rocsparse_index_base_PKT0_PKT1_PKS3_S4_PS5_PS8_PS3_
; %bb.0:
	s_clause 0x1
	s_load_b32 s2, s[0:1], 0x0
	s_load_b128 s[4:7], s[0:1], 0x18
	s_bfe_u32 s3, ttmp6, 0x4000c
	s_and_b32 s8, ttmp6, 15
	s_add_co_i32 s3, s3, 1
	s_getreg_b32 s9, hwreg(HW_REG_IB_STS2, 6, 4)
	s_mul_i32 s3, ttmp9, s3
	s_delay_alu instid0(SALU_CYCLE_1)
	s_add_co_i32 s8, s8, s3
	s_wait_kmcnt 0x0
	s_ashr_i32 s3, s2, 31
	s_cmp_eq_u32 s9, 0
	s_cselect_b32 s12, ttmp9, s8
	s_lshl_b64 s[2:3], s[2:3], 3
	v_lshl_or_b32 v0, s12, 8, v0
	s_add_nc_u64 s[2:3], s[6:7], s[2:3]
	s_clause 0x1
	s_load_b64 s[8:9], s[2:3], 0x0
	s_load_b64 s[10:11], s[6:7], 0x0
	s_wait_xcnt 0x0
	s_mov_b32 s7, 0
	v_ashrrev_i32_e32 v1, 31, v0
	s_mov_b32 s6, exec_lo
	s_wait_kmcnt 0x0
	s_sub_nc_u64 s[2:3], s[8:9], s[10:11]
	s_delay_alu instid0(VALU_DEP_1) | instid1(SALU_CYCLE_1)
	v_cmpx_gt_i64_e64 s[2:3], v[0:1]
	s_cbranch_execz .LBB81_3
; %bb.1:
	s_clause 0x3
	s_load_b96 s[8:10], s[0:1], 0x48
	s_load_b96 s[12:14], s[0:1], 0x28
	s_load_b64 s[16:17], s[0:1], 0x38
	s_load_b32 s11, s[0:1], 0x10
	v_lshlrev_b64_e32 v[2:3], 3, v[0:1]
	v_lshlrev_b64_e32 v[4:5], 2, v[0:1]
	s_mov_b32 s15, s7
	s_wait_kmcnt 0x0
	s_lshl_b32 s6, s10, 8
	s_delay_alu instid0(SALU_CYCLE_1)
	s_lshl_b64 s[0:1], s[6:7], 3
	s_sub_co_i32 s14, s14, s11
	s_lshl_b64 s[10:11], s[6:7], 2
.LBB81_2:                               ; =>This Inner Loop Header: Depth=1
	v_add_nc_u64_e32 v[6:7], s[12:13], v[4:5]
	v_add_nc_u64_e32 v[8:9], s[4:5], v[2:3]
	;; [unrolled: 1-line block ×3, first 2 shown]
	global_load_b32 v10, v[6:7], off
	s_wait_xcnt 0x0
	v_add_nc_u64_e32 v[6:7], s[8:9], v[4:5]
	v_cmp_le_i64_e32 vcc_lo, s[2:3], v[0:1]
	v_add_nc_u64_e32 v[4:5], s[10:11], v[4:5]
	s_or_b32 s15, vcc_lo, s15
	s_wait_loadcnt 0x0
	v_add_nc_u32_e32 v10, s14, v10
	global_store_b32 v[6:7], v10, off
	global_load_b64 v[6:7], v[8:9], off
	s_wait_xcnt 0x0
	v_add_nc_u64_e32 v[8:9], s[16:17], v[2:3]
	v_add_nc_u64_e32 v[2:3], s[0:1], v[2:3]
	s_wait_loadcnt 0x0
	global_store_b64 v[8:9], v[6:7], off
	s_wait_xcnt 0x0
	s_and_not1_b32 exec_lo, exec_lo, s15
	s_cbranch_execnz .LBB81_2
.LBB81_3:
	s_endpgm
	.section	.rodata,"a",@progbits
	.p2align	6, 0x0
	.amdhsa_kernel _ZN9rocsparseL35csr2bsr_block_dim_equals_one_kernelILj256E21rocsparse_complex_numIfEliEEvT2_S3_S3_S3_21rocsparse_index_base_PKT0_PKT1_PKS3_S4_PS5_PS8_PS3_
		.amdhsa_group_segment_fixed_size 0
		.amdhsa_private_segment_fixed_size 0
		.amdhsa_kernarg_size 336
		.amdhsa_user_sgpr_count 2
		.amdhsa_user_sgpr_dispatch_ptr 0
		.amdhsa_user_sgpr_queue_ptr 0
		.amdhsa_user_sgpr_kernarg_segment_ptr 1
		.amdhsa_user_sgpr_dispatch_id 0
		.amdhsa_user_sgpr_kernarg_preload_length 0
		.amdhsa_user_sgpr_kernarg_preload_offset 0
		.amdhsa_user_sgpr_private_segment_size 0
		.amdhsa_wavefront_size32 1
		.amdhsa_uses_dynamic_stack 0
		.amdhsa_enable_private_segment 0
		.amdhsa_system_sgpr_workgroup_id_x 1
		.amdhsa_system_sgpr_workgroup_id_y 0
		.amdhsa_system_sgpr_workgroup_id_z 0
		.amdhsa_system_sgpr_workgroup_info 0
		.amdhsa_system_vgpr_workitem_id 0
		.amdhsa_next_free_vgpr 11
		.amdhsa_next_free_sgpr 18
		.amdhsa_named_barrier_count 0
		.amdhsa_reserve_vcc 1
		.amdhsa_float_round_mode_32 0
		.amdhsa_float_round_mode_16_64 0
		.amdhsa_float_denorm_mode_32 3
		.amdhsa_float_denorm_mode_16_64 3
		.amdhsa_fp16_overflow 0
		.amdhsa_memory_ordered 1
		.amdhsa_forward_progress 1
		.amdhsa_inst_pref_size 3
		.amdhsa_round_robin_scheduling 0
		.amdhsa_exception_fp_ieee_invalid_op 0
		.amdhsa_exception_fp_denorm_src 0
		.amdhsa_exception_fp_ieee_div_zero 0
		.amdhsa_exception_fp_ieee_overflow 0
		.amdhsa_exception_fp_ieee_underflow 0
		.amdhsa_exception_fp_ieee_inexact 0
		.amdhsa_exception_int_div_zero 0
	.end_amdhsa_kernel
	.section	.text._ZN9rocsparseL35csr2bsr_block_dim_equals_one_kernelILj256E21rocsparse_complex_numIfEliEEvT2_S3_S3_S3_21rocsparse_index_base_PKT0_PKT1_PKS3_S4_PS5_PS8_PS3_,"axG",@progbits,_ZN9rocsparseL35csr2bsr_block_dim_equals_one_kernelILj256E21rocsparse_complex_numIfEliEEvT2_S3_S3_S3_21rocsparse_index_base_PKT0_PKT1_PKS3_S4_PS5_PS8_PS3_,comdat
.Lfunc_end81:
	.size	_ZN9rocsparseL35csr2bsr_block_dim_equals_one_kernelILj256E21rocsparse_complex_numIfEliEEvT2_S3_S3_S3_21rocsparse_index_base_PKT0_PKT1_PKS3_S4_PS5_PS8_PS3_, .Lfunc_end81-_ZN9rocsparseL35csr2bsr_block_dim_equals_one_kernelILj256E21rocsparse_complex_numIfEliEEvT2_S3_S3_S3_21rocsparse_index_base_PKT0_PKT1_PKS3_S4_PS5_PS8_PS3_
                                        ; -- End function
	.set _ZN9rocsparseL35csr2bsr_block_dim_equals_one_kernelILj256E21rocsparse_complex_numIfEliEEvT2_S3_S3_S3_21rocsparse_index_base_PKT0_PKT1_PKS3_S4_PS5_PS8_PS3_.num_vgpr, 11
	.set _ZN9rocsparseL35csr2bsr_block_dim_equals_one_kernelILj256E21rocsparse_complex_numIfEliEEvT2_S3_S3_S3_21rocsparse_index_base_PKT0_PKT1_PKS3_S4_PS5_PS8_PS3_.num_agpr, 0
	.set _ZN9rocsparseL35csr2bsr_block_dim_equals_one_kernelILj256E21rocsparse_complex_numIfEliEEvT2_S3_S3_S3_21rocsparse_index_base_PKT0_PKT1_PKS3_S4_PS5_PS8_PS3_.numbered_sgpr, 18
	.set _ZN9rocsparseL35csr2bsr_block_dim_equals_one_kernelILj256E21rocsparse_complex_numIfEliEEvT2_S3_S3_S3_21rocsparse_index_base_PKT0_PKT1_PKS3_S4_PS5_PS8_PS3_.num_named_barrier, 0
	.set _ZN9rocsparseL35csr2bsr_block_dim_equals_one_kernelILj256E21rocsparse_complex_numIfEliEEvT2_S3_S3_S3_21rocsparse_index_base_PKT0_PKT1_PKS3_S4_PS5_PS8_PS3_.private_seg_size, 0
	.set _ZN9rocsparseL35csr2bsr_block_dim_equals_one_kernelILj256E21rocsparse_complex_numIfEliEEvT2_S3_S3_S3_21rocsparse_index_base_PKT0_PKT1_PKS3_S4_PS5_PS8_PS3_.uses_vcc, 1
	.set _ZN9rocsparseL35csr2bsr_block_dim_equals_one_kernelILj256E21rocsparse_complex_numIfEliEEvT2_S3_S3_S3_21rocsparse_index_base_PKT0_PKT1_PKS3_S4_PS5_PS8_PS3_.uses_flat_scratch, 0
	.set _ZN9rocsparseL35csr2bsr_block_dim_equals_one_kernelILj256E21rocsparse_complex_numIfEliEEvT2_S3_S3_S3_21rocsparse_index_base_PKT0_PKT1_PKS3_S4_PS5_PS8_PS3_.has_dyn_sized_stack, 0
	.set _ZN9rocsparseL35csr2bsr_block_dim_equals_one_kernelILj256E21rocsparse_complex_numIfEliEEvT2_S3_S3_S3_21rocsparse_index_base_PKT0_PKT1_PKS3_S4_PS5_PS8_PS3_.has_recursion, 0
	.set _ZN9rocsparseL35csr2bsr_block_dim_equals_one_kernelILj256E21rocsparse_complex_numIfEliEEvT2_S3_S3_S3_21rocsparse_index_base_PKT0_PKT1_PKS3_S4_PS5_PS8_PS3_.has_indirect_call, 0
	.section	.AMDGPU.csdata,"",@progbits
; Kernel info:
; codeLenInByte = 336
; TotalNumSgprs: 20
; NumVgprs: 11
; ScratchSize: 0
; MemoryBound: 0
; FloatMode: 240
; IeeeMode: 1
; LDSByteSize: 0 bytes/workgroup (compile time only)
; SGPRBlocks: 0
; VGPRBlocks: 0
; NumSGPRsForWavesPerEU: 20
; NumVGPRsForWavesPerEU: 11
; NamedBarCnt: 0
; Occupancy: 16
; WaveLimiterHint : 0
; COMPUTE_PGM_RSRC2:SCRATCH_EN: 0
; COMPUTE_PGM_RSRC2:USER_SGPR: 2
; COMPUTE_PGM_RSRC2:TRAP_HANDLER: 0
; COMPUTE_PGM_RSRC2:TGID_X_EN: 1
; COMPUTE_PGM_RSRC2:TGID_Y_EN: 0
; COMPUTE_PGM_RSRC2:TGID_Z_EN: 0
; COMPUTE_PGM_RSRC2:TIDIG_COMP_CNT: 0
	.section	.text._ZN9rocsparseL42csr2bsr_wavefront_per_row_multipass_kernelILj256ELj16ELj4E21rocsparse_complex_numIfEliEEv20rocsparse_direction_T4_S4_S4_S4_S4_21rocsparse_index_base_PKT2_PKT3_PKS4_S5_PS6_PS9_PS4_,"axG",@progbits,_ZN9rocsparseL42csr2bsr_wavefront_per_row_multipass_kernelILj256ELj16ELj4E21rocsparse_complex_numIfEliEEv20rocsparse_direction_T4_S4_S4_S4_S4_21rocsparse_index_base_PKT2_PKT3_PKS4_S5_PS6_PS9_PS4_,comdat
	.globl	_ZN9rocsparseL42csr2bsr_wavefront_per_row_multipass_kernelILj256ELj16ELj4E21rocsparse_complex_numIfEliEEv20rocsparse_direction_T4_S4_S4_S4_S4_21rocsparse_index_base_PKT2_PKT3_PKS4_S5_PS6_PS9_PS4_ ; -- Begin function _ZN9rocsparseL42csr2bsr_wavefront_per_row_multipass_kernelILj256ELj16ELj4E21rocsparse_complex_numIfEliEEv20rocsparse_direction_T4_S4_S4_S4_S4_21rocsparse_index_base_PKT2_PKT3_PKS4_S5_PS6_PS9_PS4_
	.p2align	8
	.type	_ZN9rocsparseL42csr2bsr_wavefront_per_row_multipass_kernelILj256ELj16ELj4E21rocsparse_complex_numIfEliEEv20rocsparse_direction_T4_S4_S4_S4_S4_21rocsparse_index_base_PKT2_PKT3_PKS4_S5_PS6_PS9_PS4_,@function
_ZN9rocsparseL42csr2bsr_wavefront_per_row_multipass_kernelILj256ELj16ELj4E21rocsparse_complex_numIfEliEEv20rocsparse_direction_T4_S4_S4_S4_S4_21rocsparse_index_base_PKT2_PKT3_PKS4_S5_PS6_PS9_PS4_: ; @_ZN9rocsparseL42csr2bsr_wavefront_per_row_multipass_kernelILj256ELj16ELj4E21rocsparse_complex_numIfEliEEv20rocsparse_direction_T4_S4_S4_S4_S4_21rocsparse_index_base_PKT2_PKT3_PKS4_S5_PS6_PS9_PS4_
; %bb.0:
	s_clause 0x1
	s_load_b128 s[4:7], s[0:1], 0xc
	s_load_b64 s[14:15], s[0:1], 0x0
	s_bfe_u32 s2, ttmp6, 0x4000c
	s_and_b32 s3, ttmp6, 15
	s_add_co_i32 s2, s2, 1
	s_getreg_b32 s8, hwreg(HW_REG_IB_STS2, 6, 4)
	s_mul_i32 s2, ttmp9, s2
	v_lshrrev_b32_e32 v28, 4, v0
	s_add_co_i32 s3, s3, s2
	s_cmp_eq_u32 s8, 0
	v_bfe_u32 v7, v0, 2, 2
	s_cselect_b32 s2, ttmp9, s3
	s_load_b64 s[8:9], s[0:1], 0x28
	v_lshl_or_b32 v1, s2, 4, v28
	v_mov_b64_e32 v[2:3], 0
	v_mov_b64_e32 v[12:13], 0
	s_mov_b32 s3, 0
	s_wait_kmcnt 0x0
	v_mad_u32 v4, v1, s6, v7
	v_cmp_gt_i32_e32 vcc_lo, s6, v7
	s_delay_alu instid0(VALU_DEP_2) | instskip(SKIP_1) | instid1(SALU_CYCLE_1)
	v_cmp_gt_i32_e64 s2, s15, v4
	s_and_b32 s10, vcc_lo, s2
	s_and_saveexec_b32 s11, s10
	s_cbranch_execz .LBB82_2
; %bb.1:
	global_load_b64 v[8:9], v4, s[8:9] scale_offset
	s_mov_b32 s2, s7
	s_wait_loadcnt 0x0
	v_sub_nc_u64_e64 v[12:13], v[8:9], s[2:3]
.LBB82_2:
	s_or_b32 exec_lo, exec_lo, s11
	s_and_saveexec_b32 s2, s10
	s_cbranch_execz .LBB82_4
; %bb.3:
	global_load_b64 v[2:3], v4, s[8:9] offset:8 scale_offset
	s_wait_xcnt 0x0
	s_mov_b32 s9, 0
	s_mov_b32 s8, s7
	s_wait_loadcnt 0x0
	v_sub_nc_u64_e64 v[2:3], v[2:3], s[8:9]
.LBB82_4:
	s_or_b32 exec_lo, exec_lo, s2
	s_load_b32 s8, s[0:1], 0x38
	v_mov_b64_e32 v[4:5], 0
	s_mov_b32 s3, exec_lo
	v_cmpx_gt_i32_e64 s4, v1
	s_cbranch_execz .LBB82_6
; %bb.5:
	s_load_b64 s[10:11], s[0:1], 0x48
	s_mov_b32 s9, 0
	s_wait_kmcnt 0x0
	global_load_b64 v[4:5], v1, s[10:11] scale_offset
	s_wait_loadcnt 0x0
	v_sub_nc_u64_e64 v[4:5], v[4:5], s[8:9]
.LBB82_6:
	s_or_b32 exec_lo, exec_lo, s3
	s_cmp_lt_i32 s5, 1
	s_cbranch_scc1 .LBB82_24
; %bb.7:
	s_load_b64 s[16:17], s[0:1], 0x40
	v_dual_lshlrev_b32 v8, 5, v7 :: v_dual_bitop2_b32 v6, 3, v0 bitop3:0x40
	v_and_b32_e32 v1, 0xf0, v0
	v_mbcnt_lo_u32_b32 v16, -1, 0
	s_clause 0x2
	s_load_b64 s[2:3], s[0:1], 0x50
	s_load_b64 s[10:11], s[0:1], 0x20
	;; [unrolled: 1-line block ×3, first 2 shown]
	v_mul_lo_u32 v0, s6, v6
	v_lshlrev_b32_e32 v10, 3, v6
	v_lshl_or_b32 v29, v1, 3, v8
	v_dual_mov_b32 v1, 0 :: v_dual_bitop2_b32 v8, 2, v16 bitop3:0x14
	v_xor_b32_e32 v11, 1, v16
	s_wait_xcnt 0x0
	v_cmp_gt_u32_e64 s0, s6, v6
	v_xor_b32_e32 v19, 8, v16
	v_cmp_gt_i32_e64 s1, 32, v8
	v_or_b32_e32 v30, v29, v10
	s_mov_b32 s15, 0
	v_lshlrev_b32_e32 v17, 2, v16
	s_mov_b32 s19, s15
	v_cndmask_b32_e64 v14, v16, v8, s1
	s_wait_kmcnt 0x0
	v_lshl_add_u64 v[8:9], v[0:1], 3, s[16:17]
	v_lshlrev_b32_e32 v0, 3, v7
	s_and_b32 s1, vcc_lo, s0
	s_cmp_lg_u32 s14, 0
	v_cmp_gt_i32_e32 vcc_lo, 32, v11
	s_cselect_b32 s4, -1, 0
	s_abs_i32 s9, s6
	v_add_nc_u64_e32 v[8:9], v[8:9], v[0:1]
	v_mul_lo_u32 v0, s6, v7
	s_cvt_f32_u32 s0, s9
	v_dual_cndmask_b32 v11, v16, v11, vcc_lo :: v_dual_mov_b32 v7, v1
	v_lshlrev_b32_e32 v31, 2, v14
	s_delay_alu instid0(SALU_CYCLE_1) | instskip(SKIP_1) | instid1(VALU_DEP_3)
	v_rcp_iflag_f32_e32 v18, s0
	v_cmp_gt_i32_e32 vcc_lo, 32, v19
	v_dual_lshlrev_b32 v32, 2, v11 :: v_dual_bitop2_b32 v33, 12, v17 bitop3:0x54
	v_mov_b32_e32 v11, v1
	s_mov_b32 s14, s6
	v_lshl_add_u64 v[14:15], v[0:1], 3, s[16:17]
	v_xor_b32_e32 v0, 4, v16
	v_readfirstlane_b32 s0, v18
	v_cndmask_b32_e32 v18, v16, v19, vcc_lo
	s_mul_u64 s[16:17], s[14:15], s[14:15]
	s_sub_co_i32 s14, 0, s9
	v_cmp_gt_i32_e32 vcc_lo, 32, v0
	s_mul_f32 s0, s0, 0x4f7ffffe
	v_add_nc_u64_e32 v[10:11], v[14:15], v[10:11]
	v_or_b32_e32 v36, 60, v17
	v_mov_b64_e32 v[14:15], 0
	v_cndmask_b32_e32 v0, v16, v0, vcc_lo
	s_cvt_u32_f32 s0, s0
	v_mov_b64_e32 v[16:17], 0
	v_dual_mov_b32 v37, 1 :: v_dual_lshlrev_b32 v34, 2, v18
	s_delay_alu instid0(VALU_DEP_3) | instskip(SKIP_3) | instid1(SALU_CYCLE_1)
	v_lshlrev_b32_e32 v35, 2, v0
	s_mul_i32 s14, s14, s0
	s_ashr_i32 s18, s6, 31
	s_mul_hi_u32 s14, s0, s14
	s_add_co_i32 s14, s0, s14
	s_branch .LBB82_10
.LBB82_8:                               ;   in Loop: Header=BB82_10 Depth=1
	s_wait_xcnt 0x0
	s_or_b32 exec_lo, exec_lo, s20
	s_wait_dscnt 0x0
	v_mov_b64_e32 v[18:19], 1
.LBB82_9:                               ;   in Loop: Header=BB82_10 Depth=1
	s_or_b32 exec_lo, exec_lo, s0
	ds_bpermute_b32 v0, v34, v38
	v_add_nc_u64_e32 v[4:5], v[18:19], v[4:5]
	s_wait_storecnt_dscnt 0x0
	v_min_i32_e32 v0, v0, v38
	ds_bpermute_b32 v16, v35, v0
	s_wait_dscnt 0x0
	v_min_i32_e32 v0, v16, v0
	ds_bpermute_b32 v16, v31, v0
	s_wait_dscnt 0x0
	;; [unrolled: 3-line block ×4, first 2 shown]
	v_cmp_le_i32_e32 vcc_lo, s5, v16
	v_ashrrev_i32_e32 v17, 31, v16
	s_or_b32 s19, vcc_lo, s19
	s_delay_alu instid0(SALU_CYCLE_1)
	s_and_not1_b32 exec_lo, exec_lo, s19
	s_cbranch_execz .LBB82_24
.LBB82_10:                              ; =>This Loop Header: Depth=1
                                        ;     Child Loop BB82_13 Depth 2
	v_add_nc_u64_e32 v[12:13], v[12:13], v[6:7]
	v_mov_b64_e32 v[22:23], v[2:3]
	v_mov_b32_e32 v38, s5
	s_mov_b32 s20, exec_lo
	ds_store_b8 v28, v1 offset:2048
	ds_store_b64 v30, v[14:15]
	s_wait_dscnt 0x0
	v_cmpx_lt_i64_e64 v[12:13], v[2:3]
	s_cbranch_execz .LBB82_18
; %bb.11:                               ;   in Loop: Header=BB82_10 Depth=1
	v_mov_b64_e32 v[22:23], v[2:3]
	v_lshl_add_u64 v[18:19], v[12:13], 3, s[10:11]
	v_lshl_add_u64 v[20:21], v[12:13], 2, s[12:13]
	v_mov_b32_e32 v38, s5
	s_mov_b32 s21, 0
	s_branch .LBB82_13
.LBB82_12:                              ;   in Loop: Header=BB82_13 Depth=2
	s_wait_xcnt 0x0
	s_or_b32 exec_lo, exec_lo, s0
	v_add_nc_u64_e32 v[12:13], 4, v[12:13]
	s_xor_b32 s22, vcc_lo, -1
	v_add_nc_u64_e32 v[18:19], 32, v[18:19]
	v_add_nc_u64_e32 v[20:21], 16, v[20:21]
	s_delay_alu instid0(VALU_DEP_3) | instskip(SKIP_1) | instid1(SALU_CYCLE_1)
	v_cmp_ge_i64_e64 s0, v[12:13], v[2:3]
	s_or_b32 s0, s22, s0
	s_and_b32 s0, exec_lo, s0
	s_delay_alu instid0(SALU_CYCLE_1) | instskip(NEXT) | instid1(SALU_CYCLE_1)
	s_or_b32 s21, s0, s21
	s_and_not1_b32 exec_lo, exec_lo, s21
	s_cbranch_execz .LBB82_17
.LBB82_13:                              ;   Parent Loop BB82_10 Depth=1
                                        ; =>  This Inner Loop Header: Depth=2
	global_load_b32 v0, v[20:21], off
	s_wait_loadcnt 0x0
	v_subrev_nc_u32_e32 v39, s7, v0
	s_delay_alu instid0(VALU_DEP_1) | instskip(NEXT) | instid1(VALU_DEP_1)
	v_sub_nc_u32_e32 v0, 0, v39
	v_max_i32_e32 v0, v39, v0
	s_delay_alu instid0(VALU_DEP_1) | instskip(NEXT) | instid1(VALU_DEP_1)
	v_mul_u64_e32 v[24:25], s[14:15], v[0:1]
	v_mul_lo_u32 v24, v25, s9
	s_delay_alu instid0(VALU_DEP_1) | instskip(NEXT) | instid1(VALU_DEP_1)
	v_dual_sub_nc_u32 v0, v0, v24 :: v_dual_add_nc_u32 v24, 1, v25
	v_cmp_le_u32_e32 vcc_lo, s9, v0
	s_delay_alu instid0(VALU_DEP_2) | instskip(SKIP_1) | instid1(VALU_DEP_1)
	v_cndmask_b32_e32 v24, v25, v24, vcc_lo
	v_subrev_nc_u32_e32 v26, s9, v0
	v_dual_cndmask_b32 v0, v0, v26 :: v_dual_ashrrev_i32 v25, 31, v39
	s_delay_alu instid0(VALU_DEP_3) | instskip(NEXT) | instid1(VALU_DEP_2)
	v_add_nc_u32_e32 v26, 1, v24
	v_cmp_le_u32_e32 vcc_lo, s9, v0
	s_delay_alu instid0(VALU_DEP_2) | instskip(SKIP_1) | instid1(VALU_DEP_2)
	v_dual_cndmask_b32 v0, v24, v26, vcc_lo :: v_dual_bitop2_b32 v25, s18, v25 bitop3:0x14
	v_mov_b64_e32 v[26:27], v[22:23]
	v_xor_b32_e32 v0, v0, v25
	s_delay_alu instid0(VALU_DEP_1) | instskip(NEXT) | instid1(VALU_DEP_1)
	v_sub_nc_u32_e32 v24, v0, v25
	v_ashrrev_i32_e32 v25, 31, v24
	s_delay_alu instid0(VALU_DEP_1) | instskip(SKIP_3) | instid1(SALU_CYCLE_1)
	v_cmp_ne_u64_e64 s0, v[16:17], v[24:25]
	v_cmp_eq_u64_e32 vcc_lo, v[16:17], v[24:25]
	s_wait_xcnt 0x0
	s_and_saveexec_b32 s22, s0
	s_xor_b32 s0, exec_lo, s22
; %bb.14:                               ;   in Loop: Header=BB82_13 Depth=2
	v_min_i32_e32 v38, v24, v38
                                        ; implicit-def: $vgpr24
                                        ; implicit-def: $vgpr39
                                        ; implicit-def: $vgpr26_vgpr27
; %bb.15:                               ;   in Loop: Header=BB82_13 Depth=2
	s_or_saveexec_b32 s0, s0
	v_mov_b64_e32 v[22:23], v[12:13]
	s_xor_b32 exec_lo, exec_lo, s0
	s_cbranch_execz .LBB82_12
; %bb.16:                               ;   in Loop: Header=BB82_13 Depth=2
	global_load_b64 v[40:41], v[18:19], off
	v_mul_lo_u32 v0, v24, s6
	v_mov_b64_e32 v[22:23], v[26:27]
	s_delay_alu instid0(VALU_DEP_2) | instskip(NEXT) | instid1(VALU_DEP_1)
	v_sub_nc_u32_e32 v0, v39, v0
	v_lshl_add_u32 v0, v0, 3, v29
	ds_store_b8 v28, v37 offset:2048
	s_wait_loadcnt 0x0
	ds_store_b64 v0, v[40:41]
	s_branch .LBB82_12
.LBB82_17:                              ;   in Loop: Header=BB82_10 Depth=1
	s_or_b32 exec_lo, exec_lo, s21
.LBB82_18:                              ;   in Loop: Header=BB82_10 Depth=1
	s_delay_alu instid0(SALU_CYCLE_1)
	s_or_b32 exec_lo, exec_lo, s20
	ds_bpermute_b32 v12, v31, v22
	ds_bpermute_b32 v13, v31, v23
	s_wait_dscnt 0x0
	ds_load_u8 v0, v28 offset:2048
	s_mov_b32 s0, exec_lo
	v_min_i64 v[12:13], v[12:13], v[22:23]
	s_wait_dscnt 0x0
	v_and_b32_e32 v0, 1, v0
	ds_bpermute_b32 v18, v32, v12
	ds_bpermute_b32 v19, v32, v13
	s_wait_dscnt 0x0
	v_min_i64 v[12:13], v[18:19], v[12:13]
	v_mov_b64_e32 v[18:19], 0
	ds_bpermute_b32 v12, v33, v12
	ds_bpermute_b32 v13, v33, v13
	v_cmpx_eq_u32_e32 1, v0
	s_cbranch_execz .LBB82_9
; %bb.19:                               ;   in Loop: Header=BB82_10 Depth=1
	v_add_nc_u32_e32 v0, s8, v16
	v_lshl_add_u64 v[16:17], v[4:5], 2, s[2:3]
	global_store_b32 v[16:17], v0, off
	s_wait_xcnt 0x0
	s_and_saveexec_b32 s20, s1
	s_cbranch_execz .LBB82_8
; %bb.20:                               ;   in Loop: Header=BB82_10 Depth=1
	v_mul_u64_e32 v[16:17], s[16:17], v[4:5]
	ds_load_b64 v[18:19], v30
	s_and_b32 vcc_lo, exec_lo, s4
	s_cbranch_vccz .LBB82_22
; %bb.21:                               ;   in Loop: Header=BB82_10 Depth=1
	v_lshl_add_u64 v[20:21], v[16:17], 3, v[8:9]
	s_wait_dscnt 0x0
	global_store_b64 v[20:21], v[18:19], off
	s_cbranch_execnz .LBB82_8
	s_branch .LBB82_23
.LBB82_22:                              ;   in Loop: Header=BB82_10 Depth=1
.LBB82_23:                              ;   in Loop: Header=BB82_10 Depth=1
	v_lshl_add_u64 v[16:17], v[16:17], 3, v[10:11]
	s_wait_dscnt 0x0
	global_store_b64 v[16:17], v[18:19], off
	s_branch .LBB82_8
.LBB82_24:
	s_endpgm
	.section	.rodata,"a",@progbits
	.p2align	6, 0x0
	.amdhsa_kernel _ZN9rocsparseL42csr2bsr_wavefront_per_row_multipass_kernelILj256ELj16ELj4E21rocsparse_complex_numIfEliEEv20rocsparse_direction_T4_S4_S4_S4_S4_21rocsparse_index_base_PKT2_PKT3_PKS4_S5_PS6_PS9_PS4_
		.amdhsa_group_segment_fixed_size 2064
		.amdhsa_private_segment_fixed_size 0
		.amdhsa_kernarg_size 88
		.amdhsa_user_sgpr_count 2
		.amdhsa_user_sgpr_dispatch_ptr 0
		.amdhsa_user_sgpr_queue_ptr 0
		.amdhsa_user_sgpr_kernarg_segment_ptr 1
		.amdhsa_user_sgpr_dispatch_id 0
		.amdhsa_user_sgpr_kernarg_preload_length 0
		.amdhsa_user_sgpr_kernarg_preload_offset 0
		.amdhsa_user_sgpr_private_segment_size 0
		.amdhsa_wavefront_size32 1
		.amdhsa_uses_dynamic_stack 0
		.amdhsa_enable_private_segment 0
		.amdhsa_system_sgpr_workgroup_id_x 1
		.amdhsa_system_sgpr_workgroup_id_y 0
		.amdhsa_system_sgpr_workgroup_id_z 0
		.amdhsa_system_sgpr_workgroup_info 0
		.amdhsa_system_vgpr_workitem_id 0
		.amdhsa_next_free_vgpr 42
		.amdhsa_next_free_sgpr 23
		.amdhsa_named_barrier_count 0
		.amdhsa_reserve_vcc 1
		.amdhsa_float_round_mode_32 0
		.amdhsa_float_round_mode_16_64 0
		.amdhsa_float_denorm_mode_32 3
		.amdhsa_float_denorm_mode_16_64 3
		.amdhsa_fp16_overflow 0
		.amdhsa_memory_ordered 1
		.amdhsa_forward_progress 1
		.amdhsa_inst_pref_size 11
		.amdhsa_round_robin_scheduling 0
		.amdhsa_exception_fp_ieee_invalid_op 0
		.amdhsa_exception_fp_denorm_src 0
		.amdhsa_exception_fp_ieee_div_zero 0
		.amdhsa_exception_fp_ieee_overflow 0
		.amdhsa_exception_fp_ieee_underflow 0
		.amdhsa_exception_fp_ieee_inexact 0
		.amdhsa_exception_int_div_zero 0
	.end_amdhsa_kernel
	.section	.text._ZN9rocsparseL42csr2bsr_wavefront_per_row_multipass_kernelILj256ELj16ELj4E21rocsparse_complex_numIfEliEEv20rocsparse_direction_T4_S4_S4_S4_S4_21rocsparse_index_base_PKT2_PKT3_PKS4_S5_PS6_PS9_PS4_,"axG",@progbits,_ZN9rocsparseL42csr2bsr_wavefront_per_row_multipass_kernelILj256ELj16ELj4E21rocsparse_complex_numIfEliEEv20rocsparse_direction_T4_S4_S4_S4_S4_21rocsparse_index_base_PKT2_PKT3_PKS4_S5_PS6_PS9_PS4_,comdat
.Lfunc_end82:
	.size	_ZN9rocsparseL42csr2bsr_wavefront_per_row_multipass_kernelILj256ELj16ELj4E21rocsparse_complex_numIfEliEEv20rocsparse_direction_T4_S4_S4_S4_S4_21rocsparse_index_base_PKT2_PKT3_PKS4_S5_PS6_PS9_PS4_, .Lfunc_end82-_ZN9rocsparseL42csr2bsr_wavefront_per_row_multipass_kernelILj256ELj16ELj4E21rocsparse_complex_numIfEliEEv20rocsparse_direction_T4_S4_S4_S4_S4_21rocsparse_index_base_PKT2_PKT3_PKS4_S5_PS6_PS9_PS4_
                                        ; -- End function
	.set _ZN9rocsparseL42csr2bsr_wavefront_per_row_multipass_kernelILj256ELj16ELj4E21rocsparse_complex_numIfEliEEv20rocsparse_direction_T4_S4_S4_S4_S4_21rocsparse_index_base_PKT2_PKT3_PKS4_S5_PS6_PS9_PS4_.num_vgpr, 42
	.set _ZN9rocsparseL42csr2bsr_wavefront_per_row_multipass_kernelILj256ELj16ELj4E21rocsparse_complex_numIfEliEEv20rocsparse_direction_T4_S4_S4_S4_S4_21rocsparse_index_base_PKT2_PKT3_PKS4_S5_PS6_PS9_PS4_.num_agpr, 0
	.set _ZN9rocsparseL42csr2bsr_wavefront_per_row_multipass_kernelILj256ELj16ELj4E21rocsparse_complex_numIfEliEEv20rocsparse_direction_T4_S4_S4_S4_S4_21rocsparse_index_base_PKT2_PKT3_PKS4_S5_PS6_PS9_PS4_.numbered_sgpr, 23
	.set _ZN9rocsparseL42csr2bsr_wavefront_per_row_multipass_kernelILj256ELj16ELj4E21rocsparse_complex_numIfEliEEv20rocsparse_direction_T4_S4_S4_S4_S4_21rocsparse_index_base_PKT2_PKT3_PKS4_S5_PS6_PS9_PS4_.num_named_barrier, 0
	.set _ZN9rocsparseL42csr2bsr_wavefront_per_row_multipass_kernelILj256ELj16ELj4E21rocsparse_complex_numIfEliEEv20rocsparse_direction_T4_S4_S4_S4_S4_21rocsparse_index_base_PKT2_PKT3_PKS4_S5_PS6_PS9_PS4_.private_seg_size, 0
	.set _ZN9rocsparseL42csr2bsr_wavefront_per_row_multipass_kernelILj256ELj16ELj4E21rocsparse_complex_numIfEliEEv20rocsparse_direction_T4_S4_S4_S4_S4_21rocsparse_index_base_PKT2_PKT3_PKS4_S5_PS6_PS9_PS4_.uses_vcc, 1
	.set _ZN9rocsparseL42csr2bsr_wavefront_per_row_multipass_kernelILj256ELj16ELj4E21rocsparse_complex_numIfEliEEv20rocsparse_direction_T4_S4_S4_S4_S4_21rocsparse_index_base_PKT2_PKT3_PKS4_S5_PS6_PS9_PS4_.uses_flat_scratch, 0
	.set _ZN9rocsparseL42csr2bsr_wavefront_per_row_multipass_kernelILj256ELj16ELj4E21rocsparse_complex_numIfEliEEv20rocsparse_direction_T4_S4_S4_S4_S4_21rocsparse_index_base_PKT2_PKT3_PKS4_S5_PS6_PS9_PS4_.has_dyn_sized_stack, 0
	.set _ZN9rocsparseL42csr2bsr_wavefront_per_row_multipass_kernelILj256ELj16ELj4E21rocsparse_complex_numIfEliEEv20rocsparse_direction_T4_S4_S4_S4_S4_21rocsparse_index_base_PKT2_PKT3_PKS4_S5_PS6_PS9_PS4_.has_recursion, 0
	.set _ZN9rocsparseL42csr2bsr_wavefront_per_row_multipass_kernelILj256ELj16ELj4E21rocsparse_complex_numIfEliEEv20rocsparse_direction_T4_S4_S4_S4_S4_21rocsparse_index_base_PKT2_PKT3_PKS4_S5_PS6_PS9_PS4_.has_indirect_call, 0
	.section	.AMDGPU.csdata,"",@progbits
; Kernel info:
; codeLenInByte = 1392
; TotalNumSgprs: 25
; NumVgprs: 42
; ScratchSize: 0
; MemoryBound: 0
; FloatMode: 240
; IeeeMode: 1
; LDSByteSize: 2064 bytes/workgroup (compile time only)
; SGPRBlocks: 0
; VGPRBlocks: 2
; NumSGPRsForWavesPerEU: 25
; NumVGPRsForWavesPerEU: 42
; NamedBarCnt: 0
; Occupancy: 16
; WaveLimiterHint : 0
; COMPUTE_PGM_RSRC2:SCRATCH_EN: 0
; COMPUTE_PGM_RSRC2:USER_SGPR: 2
; COMPUTE_PGM_RSRC2:TRAP_HANDLER: 0
; COMPUTE_PGM_RSRC2:TGID_X_EN: 1
; COMPUTE_PGM_RSRC2:TGID_Y_EN: 0
; COMPUTE_PGM_RSRC2:TGID_Z_EN: 0
; COMPUTE_PGM_RSRC2:TIDIG_COMP_CNT: 0
	.section	.text._ZN9rocsparseL42csr2bsr_wavefront_per_row_multipass_kernelILj256ELj64ELj8E21rocsparse_complex_numIfEliEEv20rocsparse_direction_T4_S4_S4_S4_S4_21rocsparse_index_base_PKT2_PKT3_PKS4_S5_PS6_PS9_PS4_,"axG",@progbits,_ZN9rocsparseL42csr2bsr_wavefront_per_row_multipass_kernelILj256ELj64ELj8E21rocsparse_complex_numIfEliEEv20rocsparse_direction_T4_S4_S4_S4_S4_21rocsparse_index_base_PKT2_PKT3_PKS4_S5_PS6_PS9_PS4_,comdat
	.globl	_ZN9rocsparseL42csr2bsr_wavefront_per_row_multipass_kernelILj256ELj64ELj8E21rocsparse_complex_numIfEliEEv20rocsparse_direction_T4_S4_S4_S4_S4_21rocsparse_index_base_PKT2_PKT3_PKS4_S5_PS6_PS9_PS4_ ; -- Begin function _ZN9rocsparseL42csr2bsr_wavefront_per_row_multipass_kernelILj256ELj64ELj8E21rocsparse_complex_numIfEliEEv20rocsparse_direction_T4_S4_S4_S4_S4_21rocsparse_index_base_PKT2_PKT3_PKS4_S5_PS6_PS9_PS4_
	.p2align	8
	.type	_ZN9rocsparseL42csr2bsr_wavefront_per_row_multipass_kernelILj256ELj64ELj8E21rocsparse_complex_numIfEliEEv20rocsparse_direction_T4_S4_S4_S4_S4_21rocsparse_index_base_PKT2_PKT3_PKS4_S5_PS6_PS9_PS4_,@function
_ZN9rocsparseL42csr2bsr_wavefront_per_row_multipass_kernelILj256ELj64ELj8E21rocsparse_complex_numIfEliEEv20rocsparse_direction_T4_S4_S4_S4_S4_21rocsparse_index_base_PKT2_PKT3_PKS4_S5_PS6_PS9_PS4_: ; @_ZN9rocsparseL42csr2bsr_wavefront_per_row_multipass_kernelILj256ELj64ELj8E21rocsparse_complex_numIfEliEEv20rocsparse_direction_T4_S4_S4_S4_S4_21rocsparse_index_base_PKT2_PKT3_PKS4_S5_PS6_PS9_PS4_
; %bb.0:
	s_clause 0x1
	s_load_b128 s[4:7], s[0:1], 0xc
	s_load_b64 s[14:15], s[0:1], 0x0
	s_bfe_u32 s2, ttmp6, 0x4000c
	s_and_b32 s3, ttmp6, 15
	s_add_co_i32 s2, s2, 1
	s_getreg_b32 s8, hwreg(HW_REG_IB_STS2, 6, 4)
	s_mul_i32 s2, ttmp9, s2
	v_lshrrev_b32_e32 v28, 6, v0
	s_add_co_i32 s3, s3, s2
	s_cmp_eq_u32 s8, 0
	v_bfe_u32 v12, v0, 3, 3
	s_cselect_b32 s2, ttmp9, s3
	s_load_b64 s[8:9], s[0:1], 0x28
	v_lshl_or_b32 v1, s2, 2, v28
	v_mov_b64_e32 v[2:3], 0
	v_mov_b64_e32 v[10:11], 0
	s_mov_b32 s3, 0
	s_wait_kmcnt 0x0
	v_mad_u32 v4, v1, s6, v12
	v_cmp_gt_i32_e32 vcc_lo, s6, v12
	s_delay_alu instid0(VALU_DEP_2) | instskip(SKIP_1) | instid1(SALU_CYCLE_1)
	v_cmp_gt_i32_e64 s2, s15, v4
	s_and_b32 s10, vcc_lo, s2
	s_and_saveexec_b32 s11, s10
	s_cbranch_execz .LBB83_2
; %bb.1:
	global_load_b64 v[6:7], v4, s[8:9] scale_offset
	s_mov_b32 s2, s7
	s_wait_loadcnt 0x0
	v_sub_nc_u64_e64 v[10:11], v[6:7], s[2:3]
.LBB83_2:
	s_or_b32 exec_lo, exec_lo, s11
	s_and_saveexec_b32 s2, s10
	s_cbranch_execz .LBB83_4
; %bb.3:
	global_load_b64 v[2:3], v4, s[8:9] offset:8 scale_offset
	s_wait_xcnt 0x0
	s_mov_b32 s9, 0
	s_mov_b32 s8, s7
	s_wait_loadcnt 0x0
	v_sub_nc_u64_e64 v[2:3], v[2:3], s[8:9]
.LBB83_4:
	s_or_b32 exec_lo, exec_lo, s2
	s_load_b32 s8, s[0:1], 0x38
	v_mov_b64_e32 v[4:5], 0
	s_mov_b32 s3, exec_lo
	v_cmpx_gt_i32_e64 s4, v1
	s_cbranch_execz .LBB83_6
; %bb.5:
	s_load_b64 s[10:11], s[0:1], 0x48
	s_mov_b32 s9, 0
	s_wait_kmcnt 0x0
	global_load_b64 v[4:5], v1, s[10:11] scale_offset
	s_wait_loadcnt 0x0
	v_sub_nc_u64_e64 v[4:5], v[4:5], s[8:9]
.LBB83_6:
	s_or_b32 exec_lo, exec_lo, s3
	s_cmp_lt_i32 s5, 1
	s_cbranch_scc1 .LBB83_24
; %bb.7:
	v_and_b32_e32 v6, 7, v0
	v_and_b32_e32 v0, 0xc0, v0
	v_lshlrev_b32_e32 v1, 6, v12
	v_mbcnt_lo_u32_b32 v16, -1, 0
	s_clause 0x3
	s_load_b64 s[18:19], s[0:1], 0x40
	s_load_b64 s[2:3], s[0:1], 0x50
	;; [unrolled: 1-line block ×4, first 2 shown]
	s_mov_b32 s15, 0
	v_bfrev_b32_e32 v38, 0.5
	v_lshl_or_b32 v29, v0, 3, v1
	v_dual_mov_b32 v1, 0 :: v_dual_bitop2_b32 v9, 2, v16 bitop3:0x14
	v_xor_b32_e32 v7, 4, v16
	v_mul_lo_u32 v0, s6, v6
	v_dual_lshlrev_b32 v14, 3, v6 :: v_dual_bitop2_b32 v15, 1, v16 bitop3:0x14
	v_or_b32_e32 v17, 32, v16
	s_wait_xcnt 0x0
	v_cmp_gt_i32_e64 s0, 32, v7
	v_lshl_or_b32 v34, v16, 2, 28
	v_or_b32_e32 v30, v29, v14
	v_cmp_gt_i32_e64 s1, 32, v15
	s_delay_alu instid0(VALU_DEP_4) | instskip(SKIP_2) | instid1(VALU_DEP_1)
	v_dual_mov_b32 v39, 1 :: v_dual_cndmask_b32 v8, v16, v7, s0
	v_mov_b32_e32 v7, v1
	v_cmp_gt_i32_e64 s0, 32, v9
	v_dual_cndmask_b32 v13, v16, v9, s0 :: v_dual_lshlrev_b32 v31, 2, v8
	s_wait_kmcnt 0x0
	v_lshl_add_u64 v[8:9], v[0:1], 3, s[18:19]
	v_lshlrev_b32_e32 v0, 3, v12
	v_cmp_gt_u32_e64 s0, s6, v6
	v_dual_lshlrev_b32 v32, 2, v13 :: v_dual_cndmask_b32 v13, v16, v15, s1
	v_mov_b32_e32 v15, v1
	s_delay_alu instid0(VALU_DEP_4)
	v_add_nc_u64_e32 v[8:9], v[8:9], v[0:1]
	v_mul_lo_u32 v0, s6, v12
	s_and_b32 s1, vcc_lo, s0
	s_cmp_lg_u32 s14, 0
	v_lshlrev_b32_e32 v33, 2, v13
	s_cselect_b32 s4, -1, 0
	s_abs_i32 s9, s6
	v_cmp_gt_i32_e32 vcc_lo, 32, v17
	s_cvt_f32_u32 s0, s9
	s_mov_b32 s14, s6
	s_delay_alu instid0(SALU_CYCLE_1) | instskip(NEXT) | instid1(VALU_DEP_3)
	s_mul_u64 s[16:17], s[14:15], s[14:15]
	v_lshl_add_u64 v[12:13], v[0:1], 3, s[18:19]
	v_dual_cndmask_b32 v17, v16, v17, vcc_lo :: v_dual_bitop2_b32 v0, 16, v16 bitop3:0x14
	v_rcp_iflag_f32_e32 v18, s0
	v_xor_b32_e32 v19, 8, v16
	s_sub_co_i32 s14, 0, s9
	s_delay_alu instid0(VALU_DEP_2)
	v_cmp_gt_i32_e32 vcc_lo, 32, v0
	v_lshlrev_b32_e32 v35, 2, v17
	v_add_nc_u64_e32 v[12:13], v[12:13], v[14:15]
	v_mov_b64_e32 v[14:15], 0
	v_readfirstlane_b32 s0, v18
	v_cndmask_b32_e32 v0, v16, v0, vcc_lo
	v_cmp_gt_i32_e32 vcc_lo, 32, v19
	s_ashr_i32 s18, s6, 31
	s_mov_b32 s19, s15
	s_mul_f32 s0, s0, 0x4f7ffffe
	v_dual_cndmask_b32 v16, v16, v19, vcc_lo :: v_dual_lshlrev_b32 v36, 2, v0
	s_delay_alu instid0(SALU_CYCLE_2) | instskip(NEXT) | instid1(VALU_DEP_1)
	s_cvt_u32_f32 s0, s0
	v_lshlrev_b32_e32 v37, 2, v16
	v_mov_b64_e32 v[16:17], 0
	s_delay_alu instid0(SALU_CYCLE_1) | instskip(NEXT) | instid1(SALU_CYCLE_1)
	s_mul_i32 s14, s14, s0
	s_mul_hi_u32 s14, s0, s14
	s_delay_alu instid0(SALU_CYCLE_1)
	s_add_co_i32 s14, s0, s14
	s_branch .LBB83_10
.LBB83_8:                               ;   in Loop: Header=BB83_10 Depth=1
	s_wait_xcnt 0x0
	s_or_b32 exec_lo, exec_lo, s20
	s_wait_dscnt 0x0
	v_mov_b64_e32 v[18:19], 1
.LBB83_9:                               ;   in Loop: Header=BB83_10 Depth=1
	s_or_b32 exec_lo, exec_lo, s0
	ds_bpermute_b32 v0, v35, v40
	v_add_nc_u64_e32 v[4:5], v[18:19], v[4:5]
	s_wait_storecnt_dscnt 0x0
	v_min_i32_e32 v0, v0, v40
	ds_bpermute_b32 v16, v36, v0
	s_wait_dscnt 0x0
	v_min_i32_e32 v0, v16, v0
	ds_bpermute_b32 v16, v37, v0
	s_wait_dscnt 0x0
	;; [unrolled: 3-line block ×6, first 2 shown]
	v_cmp_le_i32_e32 vcc_lo, s5, v16
	v_ashrrev_i32_e32 v17, 31, v16
	s_or_b32 s19, vcc_lo, s19
	s_delay_alu instid0(SALU_CYCLE_1)
	s_and_not1_b32 exec_lo, exec_lo, s19
	s_cbranch_execz .LBB83_24
.LBB83_10:                              ; =>This Loop Header: Depth=1
                                        ;     Child Loop BB83_13 Depth 2
	v_add_nc_u64_e32 v[10:11], v[10:11], v[6:7]
	v_mov_b64_e32 v[22:23], v[2:3]
	v_mov_b32_e32 v40, s5
	s_mov_b32 s20, exec_lo
	ds_store_b8 v28, v1 offset:2048
	ds_store_b64 v30, v[14:15]
	s_wait_dscnt 0x0
	v_cmpx_lt_i64_e64 v[10:11], v[2:3]
	s_cbranch_execz .LBB83_18
; %bb.11:                               ;   in Loop: Header=BB83_10 Depth=1
	v_mov_b64_e32 v[22:23], v[2:3]
	v_lshl_add_u64 v[18:19], v[10:11], 3, s[10:11]
	v_lshl_add_u64 v[20:21], v[10:11], 2, s[12:13]
	v_mov_b32_e32 v40, s5
	s_mov_b32 s21, 0
	s_branch .LBB83_13
.LBB83_12:                              ;   in Loop: Header=BB83_13 Depth=2
	s_wait_xcnt 0x0
	s_or_b32 exec_lo, exec_lo, s0
	v_add_nc_u64_e32 v[10:11], 8, v[10:11]
	s_xor_b32 s22, vcc_lo, -1
	v_add_nc_u64_e32 v[18:19], 64, v[18:19]
	v_add_nc_u64_e32 v[20:21], 32, v[20:21]
	s_delay_alu instid0(VALU_DEP_3) | instskip(SKIP_1) | instid1(SALU_CYCLE_1)
	v_cmp_ge_i64_e64 s0, v[10:11], v[2:3]
	s_or_b32 s0, s22, s0
	s_and_b32 s0, exec_lo, s0
	s_delay_alu instid0(SALU_CYCLE_1) | instskip(NEXT) | instid1(SALU_CYCLE_1)
	s_or_b32 s21, s0, s21
	s_and_not1_b32 exec_lo, exec_lo, s21
	s_cbranch_execz .LBB83_17
.LBB83_13:                              ;   Parent Loop BB83_10 Depth=1
                                        ; =>  This Inner Loop Header: Depth=2
	global_load_b32 v0, v[20:21], off
	s_wait_loadcnt 0x0
	v_subrev_nc_u32_e32 v41, s7, v0
	s_delay_alu instid0(VALU_DEP_1) | instskip(NEXT) | instid1(VALU_DEP_1)
	v_sub_nc_u32_e32 v0, 0, v41
	v_max_i32_e32 v0, v41, v0
	s_delay_alu instid0(VALU_DEP_1) | instskip(NEXT) | instid1(VALU_DEP_1)
	v_mul_u64_e32 v[24:25], s[14:15], v[0:1]
	v_mul_lo_u32 v24, v25, s9
	s_delay_alu instid0(VALU_DEP_1) | instskip(NEXT) | instid1(VALU_DEP_1)
	v_dual_sub_nc_u32 v0, v0, v24 :: v_dual_add_nc_u32 v24, 1, v25
	v_cmp_le_u32_e32 vcc_lo, s9, v0
	s_delay_alu instid0(VALU_DEP_2) | instskip(SKIP_1) | instid1(VALU_DEP_1)
	v_dual_cndmask_b32 v24, v25, v24 :: v_dual_ashrrev_i32 v25, 31, v41
	v_subrev_nc_u32_e32 v26, s9, v0
	v_dual_cndmask_b32 v0, v0, v26, vcc_lo :: v_dual_add_nc_u32 v26, 1, v24
	s_delay_alu instid0(VALU_DEP_1) | instskip(NEXT) | instid1(VALU_DEP_2)
	v_cmp_le_u32_e32 vcc_lo, s9, v0
	v_dual_cndmask_b32 v0, v24, v26, vcc_lo :: v_dual_bitop2_b32 v25, s18, v25 bitop3:0x14
	v_mov_b64_e32 v[26:27], v[22:23]
	s_delay_alu instid0(VALU_DEP_2) | instskip(NEXT) | instid1(VALU_DEP_1)
	v_xor_b32_e32 v0, v0, v25
	v_sub_nc_u32_e32 v24, v0, v25
	s_delay_alu instid0(VALU_DEP_1) | instskip(NEXT) | instid1(VALU_DEP_1)
	v_ashrrev_i32_e32 v25, 31, v24
	v_cmp_ne_u64_e64 s0, v[16:17], v[24:25]
	v_cmp_eq_u64_e32 vcc_lo, v[16:17], v[24:25]
	s_wait_xcnt 0x0
	s_and_saveexec_b32 s22, s0
	s_delay_alu instid0(SALU_CYCLE_1)
	s_xor_b32 s0, exec_lo, s22
; %bb.14:                               ;   in Loop: Header=BB83_13 Depth=2
	v_min_i32_e32 v40, v24, v40
                                        ; implicit-def: $vgpr24
                                        ; implicit-def: $vgpr41
                                        ; implicit-def: $vgpr26_vgpr27
; %bb.15:                               ;   in Loop: Header=BB83_13 Depth=2
	s_or_saveexec_b32 s0, s0
	v_mov_b64_e32 v[22:23], v[10:11]
	s_xor_b32 exec_lo, exec_lo, s0
	s_cbranch_execz .LBB83_12
; %bb.16:                               ;   in Loop: Header=BB83_13 Depth=2
	global_load_b64 v[42:43], v[18:19], off
	v_mul_lo_u32 v0, v24, s6
	v_mov_b64_e32 v[22:23], v[26:27]
	s_delay_alu instid0(VALU_DEP_2) | instskip(NEXT) | instid1(VALU_DEP_1)
	v_sub_nc_u32_e32 v0, v41, v0
	v_lshl_add_u32 v0, v0, 3, v29
	ds_store_b8 v28, v39 offset:2048
	s_wait_loadcnt 0x0
	ds_store_b64 v0, v[42:43]
	s_branch .LBB83_12
.LBB83_17:                              ;   in Loop: Header=BB83_10 Depth=1
	s_or_b32 exec_lo, exec_lo, s21
.LBB83_18:                              ;   in Loop: Header=BB83_10 Depth=1
	s_delay_alu instid0(SALU_CYCLE_1)
	s_or_b32 exec_lo, exec_lo, s20
	ds_bpermute_b32 v10, v31, v22
	ds_bpermute_b32 v11, v31, v23
	s_wait_dscnt 0x0
	ds_load_u8 v0, v28 offset:2048
	s_mov_b32 s0, exec_lo
	v_min_i64 v[10:11], v[10:11], v[22:23]
	s_wait_dscnt 0x0
	v_and_b32_e32 v0, 1, v0
	ds_bpermute_b32 v18, v32, v10
	ds_bpermute_b32 v19, v32, v11
	s_wait_dscnt 0x0
	v_min_i64 v[10:11], v[18:19], v[10:11]
	ds_bpermute_b32 v18, v33, v10
	ds_bpermute_b32 v19, v33, v11
	s_wait_dscnt 0x0
	v_min_i64 v[10:11], v[18:19], v[10:11]
	v_mov_b64_e32 v[18:19], 0
	ds_bpermute_b32 v10, v34, v10
	ds_bpermute_b32 v11, v34, v11
	v_cmpx_eq_u32_e32 1, v0
	s_cbranch_execz .LBB83_9
; %bb.19:                               ;   in Loop: Header=BB83_10 Depth=1
	v_add_nc_u32_e32 v0, s8, v16
	v_lshl_add_u64 v[16:17], v[4:5], 2, s[2:3]
	global_store_b32 v[16:17], v0, off
	s_wait_xcnt 0x0
	s_and_saveexec_b32 s20, s1
	s_cbranch_execz .LBB83_8
; %bb.20:                               ;   in Loop: Header=BB83_10 Depth=1
	v_mul_u64_e32 v[16:17], s[16:17], v[4:5]
	ds_load_b64 v[18:19], v30
	s_and_b32 vcc_lo, exec_lo, s4
	s_cbranch_vccz .LBB83_22
; %bb.21:                               ;   in Loop: Header=BB83_10 Depth=1
	v_lshl_add_u64 v[20:21], v[16:17], 3, v[8:9]
	s_wait_dscnt 0x0
	global_store_b64 v[20:21], v[18:19], off
	s_cbranch_execnz .LBB83_8
	s_branch .LBB83_23
.LBB83_22:                              ;   in Loop: Header=BB83_10 Depth=1
.LBB83_23:                              ;   in Loop: Header=BB83_10 Depth=1
	v_lshl_add_u64 v[16:17], v[16:17], 3, v[12:13]
	s_wait_dscnt 0x0
	global_store_b64 v[16:17], v[18:19], off
	s_branch .LBB83_8
.LBB83_24:
	s_endpgm
	.section	.rodata,"a",@progbits
	.p2align	6, 0x0
	.amdhsa_kernel _ZN9rocsparseL42csr2bsr_wavefront_per_row_multipass_kernelILj256ELj64ELj8E21rocsparse_complex_numIfEliEEv20rocsparse_direction_T4_S4_S4_S4_S4_21rocsparse_index_base_PKT2_PKT3_PKS4_S5_PS6_PS9_PS4_
		.amdhsa_group_segment_fixed_size 2052
		.amdhsa_private_segment_fixed_size 0
		.amdhsa_kernarg_size 88
		.amdhsa_user_sgpr_count 2
		.amdhsa_user_sgpr_dispatch_ptr 0
		.amdhsa_user_sgpr_queue_ptr 0
		.amdhsa_user_sgpr_kernarg_segment_ptr 1
		.amdhsa_user_sgpr_dispatch_id 0
		.amdhsa_user_sgpr_kernarg_preload_length 0
		.amdhsa_user_sgpr_kernarg_preload_offset 0
		.amdhsa_user_sgpr_private_segment_size 0
		.amdhsa_wavefront_size32 1
		.amdhsa_uses_dynamic_stack 0
		.amdhsa_enable_private_segment 0
		.amdhsa_system_sgpr_workgroup_id_x 1
		.amdhsa_system_sgpr_workgroup_id_y 0
		.amdhsa_system_sgpr_workgroup_id_z 0
		.amdhsa_system_sgpr_workgroup_info 0
		.amdhsa_system_vgpr_workitem_id 0
		.amdhsa_next_free_vgpr 44
		.amdhsa_next_free_sgpr 23
		.amdhsa_named_barrier_count 0
		.amdhsa_reserve_vcc 1
		.amdhsa_float_round_mode_32 0
		.amdhsa_float_round_mode_16_64 0
		.amdhsa_float_denorm_mode_32 3
		.amdhsa_float_denorm_mode_16_64 3
		.amdhsa_fp16_overflow 0
		.amdhsa_memory_ordered 1
		.amdhsa_forward_progress 1
		.amdhsa_inst_pref_size 12
		.amdhsa_round_robin_scheduling 0
		.amdhsa_exception_fp_ieee_invalid_op 0
		.amdhsa_exception_fp_denorm_src 0
		.amdhsa_exception_fp_ieee_div_zero 0
		.amdhsa_exception_fp_ieee_overflow 0
		.amdhsa_exception_fp_ieee_underflow 0
		.amdhsa_exception_fp_ieee_inexact 0
		.amdhsa_exception_int_div_zero 0
	.end_amdhsa_kernel
	.section	.text._ZN9rocsparseL42csr2bsr_wavefront_per_row_multipass_kernelILj256ELj64ELj8E21rocsparse_complex_numIfEliEEv20rocsparse_direction_T4_S4_S4_S4_S4_21rocsparse_index_base_PKT2_PKT3_PKS4_S5_PS6_PS9_PS4_,"axG",@progbits,_ZN9rocsparseL42csr2bsr_wavefront_per_row_multipass_kernelILj256ELj64ELj8E21rocsparse_complex_numIfEliEEv20rocsparse_direction_T4_S4_S4_S4_S4_21rocsparse_index_base_PKT2_PKT3_PKS4_S5_PS6_PS9_PS4_,comdat
.Lfunc_end83:
	.size	_ZN9rocsparseL42csr2bsr_wavefront_per_row_multipass_kernelILj256ELj64ELj8E21rocsparse_complex_numIfEliEEv20rocsparse_direction_T4_S4_S4_S4_S4_21rocsparse_index_base_PKT2_PKT3_PKS4_S5_PS6_PS9_PS4_, .Lfunc_end83-_ZN9rocsparseL42csr2bsr_wavefront_per_row_multipass_kernelILj256ELj64ELj8E21rocsparse_complex_numIfEliEEv20rocsparse_direction_T4_S4_S4_S4_S4_21rocsparse_index_base_PKT2_PKT3_PKS4_S5_PS6_PS9_PS4_
                                        ; -- End function
	.set _ZN9rocsparseL42csr2bsr_wavefront_per_row_multipass_kernelILj256ELj64ELj8E21rocsparse_complex_numIfEliEEv20rocsparse_direction_T4_S4_S4_S4_S4_21rocsparse_index_base_PKT2_PKT3_PKS4_S5_PS6_PS9_PS4_.num_vgpr, 44
	.set _ZN9rocsparseL42csr2bsr_wavefront_per_row_multipass_kernelILj256ELj64ELj8E21rocsparse_complex_numIfEliEEv20rocsparse_direction_T4_S4_S4_S4_S4_21rocsparse_index_base_PKT2_PKT3_PKS4_S5_PS6_PS9_PS4_.num_agpr, 0
	.set _ZN9rocsparseL42csr2bsr_wavefront_per_row_multipass_kernelILj256ELj64ELj8E21rocsparse_complex_numIfEliEEv20rocsparse_direction_T4_S4_S4_S4_S4_21rocsparse_index_base_PKT2_PKT3_PKS4_S5_PS6_PS9_PS4_.numbered_sgpr, 23
	.set _ZN9rocsparseL42csr2bsr_wavefront_per_row_multipass_kernelILj256ELj64ELj8E21rocsparse_complex_numIfEliEEv20rocsparse_direction_T4_S4_S4_S4_S4_21rocsparse_index_base_PKT2_PKT3_PKS4_S5_PS6_PS9_PS4_.num_named_barrier, 0
	.set _ZN9rocsparseL42csr2bsr_wavefront_per_row_multipass_kernelILj256ELj64ELj8E21rocsparse_complex_numIfEliEEv20rocsparse_direction_T4_S4_S4_S4_S4_21rocsparse_index_base_PKT2_PKT3_PKS4_S5_PS6_PS9_PS4_.private_seg_size, 0
	.set _ZN9rocsparseL42csr2bsr_wavefront_per_row_multipass_kernelILj256ELj64ELj8E21rocsparse_complex_numIfEliEEv20rocsparse_direction_T4_S4_S4_S4_S4_21rocsparse_index_base_PKT2_PKT3_PKS4_S5_PS6_PS9_PS4_.uses_vcc, 1
	.set _ZN9rocsparseL42csr2bsr_wavefront_per_row_multipass_kernelILj256ELj64ELj8E21rocsparse_complex_numIfEliEEv20rocsparse_direction_T4_S4_S4_S4_S4_21rocsparse_index_base_PKT2_PKT3_PKS4_S5_PS6_PS9_PS4_.uses_flat_scratch, 0
	.set _ZN9rocsparseL42csr2bsr_wavefront_per_row_multipass_kernelILj256ELj64ELj8E21rocsparse_complex_numIfEliEEv20rocsparse_direction_T4_S4_S4_S4_S4_21rocsparse_index_base_PKT2_PKT3_PKS4_S5_PS6_PS9_PS4_.has_dyn_sized_stack, 0
	.set _ZN9rocsparseL42csr2bsr_wavefront_per_row_multipass_kernelILj256ELj64ELj8E21rocsparse_complex_numIfEliEEv20rocsparse_direction_T4_S4_S4_S4_S4_21rocsparse_index_base_PKT2_PKT3_PKS4_S5_PS6_PS9_PS4_.has_recursion, 0
	.set _ZN9rocsparseL42csr2bsr_wavefront_per_row_multipass_kernelILj256ELj64ELj8E21rocsparse_complex_numIfEliEEv20rocsparse_direction_T4_S4_S4_S4_S4_21rocsparse_index_base_PKT2_PKT3_PKS4_S5_PS6_PS9_PS4_.has_indirect_call, 0
	.section	.AMDGPU.csdata,"",@progbits
; Kernel info:
; codeLenInByte = 1524
; TotalNumSgprs: 25
; NumVgprs: 44
; ScratchSize: 0
; MemoryBound: 0
; FloatMode: 240
; IeeeMode: 1
; LDSByteSize: 2052 bytes/workgroup (compile time only)
; SGPRBlocks: 0
; VGPRBlocks: 2
; NumSGPRsForWavesPerEU: 25
; NumVGPRsForWavesPerEU: 44
; NamedBarCnt: 0
; Occupancy: 16
; WaveLimiterHint : 0
; COMPUTE_PGM_RSRC2:SCRATCH_EN: 0
; COMPUTE_PGM_RSRC2:USER_SGPR: 2
; COMPUTE_PGM_RSRC2:TRAP_HANDLER: 0
; COMPUTE_PGM_RSRC2:TGID_X_EN: 1
; COMPUTE_PGM_RSRC2:TGID_Y_EN: 0
; COMPUTE_PGM_RSRC2:TGID_Z_EN: 0
; COMPUTE_PGM_RSRC2:TIDIG_COMP_CNT: 0
	.section	.text._ZN9rocsparseL42csr2bsr_wavefront_per_row_multipass_kernelILj256ELj32ELj8E21rocsparse_complex_numIfEliEEv20rocsparse_direction_T4_S4_S4_S4_S4_21rocsparse_index_base_PKT2_PKT3_PKS4_S5_PS6_PS9_PS4_,"axG",@progbits,_ZN9rocsparseL42csr2bsr_wavefront_per_row_multipass_kernelILj256ELj32ELj8E21rocsparse_complex_numIfEliEEv20rocsparse_direction_T4_S4_S4_S4_S4_21rocsparse_index_base_PKT2_PKT3_PKS4_S5_PS6_PS9_PS4_,comdat
	.globl	_ZN9rocsparseL42csr2bsr_wavefront_per_row_multipass_kernelILj256ELj32ELj8E21rocsparse_complex_numIfEliEEv20rocsparse_direction_T4_S4_S4_S4_S4_21rocsparse_index_base_PKT2_PKT3_PKS4_S5_PS6_PS9_PS4_ ; -- Begin function _ZN9rocsparseL42csr2bsr_wavefront_per_row_multipass_kernelILj256ELj32ELj8E21rocsparse_complex_numIfEliEEv20rocsparse_direction_T4_S4_S4_S4_S4_21rocsparse_index_base_PKT2_PKT3_PKS4_S5_PS6_PS9_PS4_
	.p2align	8
	.type	_ZN9rocsparseL42csr2bsr_wavefront_per_row_multipass_kernelILj256ELj32ELj8E21rocsparse_complex_numIfEliEEv20rocsparse_direction_T4_S4_S4_S4_S4_21rocsparse_index_base_PKT2_PKT3_PKS4_S5_PS6_PS9_PS4_,@function
_ZN9rocsparseL42csr2bsr_wavefront_per_row_multipass_kernelILj256ELj32ELj8E21rocsparse_complex_numIfEliEEv20rocsparse_direction_T4_S4_S4_S4_S4_21rocsparse_index_base_PKT2_PKT3_PKS4_S5_PS6_PS9_PS4_: ; @_ZN9rocsparseL42csr2bsr_wavefront_per_row_multipass_kernelILj256ELj32ELj8E21rocsparse_complex_numIfEliEEv20rocsparse_direction_T4_S4_S4_S4_S4_21rocsparse_index_base_PKT2_PKT3_PKS4_S5_PS6_PS9_PS4_
; %bb.0:
	s_clause 0x1
	s_load_b128 s[4:7], s[0:1], 0xc
	s_load_b64 s[14:15], s[0:1], 0x0
	s_bfe_u32 s2, ttmp6, 0x4000c
	s_and_b32 s3, ttmp6, 15
	s_add_co_i32 s2, s2, 1
	s_getreg_b32 s8, hwreg(HW_REG_IB_STS2, 6, 4)
	s_mul_i32 s2, ttmp9, s2
	v_lshrrev_b32_e32 v32, 5, v0
	s_add_co_i32 s3, s3, s2
	s_cmp_eq_u32 s8, 0
	v_bfe_u32 v10, v0, 2, 3
	s_cselect_b32 s2, ttmp9, s3
	s_load_b64 s[8:9], s[0:1], 0x28
	v_lshl_or_b32 v1, s2, 3, v32
	v_mov_b64_e32 v[2:3], 0
	v_mov_b64_e32 v[16:17], 0
	s_mov_b32 s3, 0
	s_wait_kmcnt 0x0
	v_mad_u32 v4, v1, s6, v10
	v_cmp_gt_i32_e32 vcc_lo, s6, v10
	s_delay_alu instid0(VALU_DEP_2) | instskip(SKIP_1) | instid1(SALU_CYCLE_1)
	v_cmp_gt_i32_e64 s2, s15, v4
	s_and_b32 s10, vcc_lo, s2
	s_and_saveexec_b32 s11, s10
	s_cbranch_execz .LBB84_2
; %bb.1:
	global_load_b64 v[6:7], v4, s[8:9] scale_offset
	s_mov_b32 s2, s7
	s_wait_loadcnt 0x0
	v_sub_nc_u64_e64 v[16:17], v[6:7], s[2:3]
.LBB84_2:
	s_or_b32 exec_lo, exec_lo, s11
	s_and_saveexec_b32 s2, s10
	s_cbranch_execz .LBB84_4
; %bb.3:
	global_load_b64 v[2:3], v4, s[8:9] offset:8 scale_offset
	s_wait_xcnt 0x0
	s_mov_b32 s9, 0
	s_mov_b32 s8, s7
	s_wait_loadcnt 0x0
	v_sub_nc_u64_e64 v[2:3], v[2:3], s[8:9]
.LBB84_4:
	s_or_b32 exec_lo, exec_lo, s2
	s_load_b32 s8, s[0:1], 0x38
	v_mov_b64_e32 v[4:5], 0
	s_mov_b32 s3, exec_lo
	v_cmpx_gt_i32_e64 s4, v1
	s_cbranch_execz .LBB84_6
; %bb.5:
	s_load_b64 s[10:11], s[0:1], 0x48
	s_mov_b32 s9, 0
	s_wait_kmcnt 0x0
	global_load_b64 v[4:5], v1, s[10:11] scale_offset
	s_wait_loadcnt 0x0
	v_sub_nc_u64_e64 v[4:5], v[4:5], s[8:9]
.LBB84_6:
	s_or_b32 exec_lo, exec_lo, s3
	s_cmp_lt_i32 s5, 1
	s_cbranch_scc1 .LBB84_29
; %bb.7:
	v_mbcnt_lo_u32_b32 v11, -1, 0
	v_lshlrev_b32_e32 v1, 6, v10
	s_clause 0x3
	s_load_b64 s[18:19], s[0:1], 0x40
	s_load_b64 s[2:3], s[0:1], 0x50
	;; [unrolled: 1-line block ×4, first 2 shown]
	v_dual_mov_b32 v7, 0 :: v_dual_bitop2_b32 v0, 3, v0 bitop3:0x40
	v_xor_b32_e32 v6, 2, v11
	s_cmp_lg_u32 s14, 0
	v_lshl_or_b32 v33, v32, 9, v1
	s_cselect_b32 s4, -1, 0
	s_abs_i32 s9, s6
	s_wait_xcnt 0x0
	v_cmp_gt_i32_e64 s0, 32, v6
	v_xor_b32_e32 v8, 1, v11
	s_cvt_f32_u32 s1, s9
	s_mov_b32 s15, 0
	s_mov_b32 s14, s6
	v_cndmask_b32_e64 v6, v11, v6, s0
	v_cmp_gt_i32_e64 s0, 32, v8
	v_rcp_iflag_f32_e32 v18, s1
	s_mul_u64 s[16:17], s[14:15], s[14:15]
	v_lshl_or_b32 v37, v11, 2, 12
	v_dual_lshlrev_b32 v35, 2, v6 :: v_dual_cndmask_b32 v8, v11, v8, s0
	v_dual_mov_b32 v1, v7 :: v_dual_lshlrev_b32 v6, 3, v10
	s_delay_alu instid0(TRANS32_DEP_1) | instskip(SKIP_1) | instid1(VALU_DEP_4)
	v_readfirstlane_b32 s1, v18
	v_mov_b64_e32 v[20:21], 0
	v_lshlrev_b32_e32 v36, 2, v8
	s_wait_kmcnt 0x0
	v_add_nc_u64_e32 v[8:9], s[18:19], v[6:7]
	v_mul_lo_u32 v6, s6, v10
	v_xor_b32_e32 v10, 16, v11
	s_mul_f32 s14, s1, 0x4f7ffffe
	v_mov_b64_e32 v[18:19], 0
	v_lshl_or_b32 v34, v0, 3, v33
	v_dual_mov_b32 v41, 0x7c :: v_dual_mov_b32 v42, 1
	v_cmp_gt_i32_e64 s0, 32, v10
	v_xor_b32_e32 v12, 8, v11
	s_cvt_u32_f32 s14, s14
	s_mov_b32 s20, s15
	v_cndmask_b32_e64 v14, v11, v10, s0
	s_delay_alu instid0(VALU_DEP_2) | instskip(NEXT) | instid1(VALU_DEP_2)
	v_cmp_gt_i32_e64 s0, 32, v12
	v_dual_lshlrev_b32 v38, 2, v14 :: v_dual_bitop2_b32 v13, 4, v11 bitop3:0x14
	s_delay_alu instid0(VALU_DEP_2) | instskip(NEXT) | instid1(VALU_DEP_2)
	v_cndmask_b32_e64 v15, v11, v12, s0
	v_cmp_gt_i32_e64 s0, 32, v13
	v_mul_lo_u32 v12, v0, s6
	s_delay_alu instid0(VALU_DEP_2) | instskip(SKIP_3) | instid1(VALU_DEP_4)
	v_cndmask_b32_e64 v13, v11, v13, s0
	v_cmp_gt_u32_e64 s0, s6, v0
	v_lshl_add_u64 v[10:11], v[6:7], 3, s[18:19]
	v_dual_lshlrev_b32 v39, 2, v15 :: v_dual_bitop2_b32 v6, 4, v0 bitop3:0x54
	v_lshlrev_b32_e32 v40, 2, v13
	s_and_b32 s18, s0, vcc_lo
	s_sub_co_i32 s0, 0, s9
	v_mov_b32_e32 v13, v7
	v_cmp_gt_u32_e64 s1, s6, v6
	s_mul_i32 s0, s0, s14
	v_lshl_add_u32 v14, s6, 2, v12
	v_mov_b32_e32 v15, v7
	s_mul_hi_u32 s0, s14, s0
	s_and_b32 s1, vcc_lo, s1
	s_ashr_i32 s19, s6, 31
	s_add_co_i32 s14, s14, s0
	s_branch .LBB84_10
.LBB84_8:                               ;   in Loop: Header=BB84_10 Depth=1
	s_wait_xcnt 0x0
	s_or_b32 exec_lo, exec_lo, s21
	v_mov_b64_e32 v[22:23], 1
.LBB84_9:                               ;   in Loop: Header=BB84_10 Depth=1
	s_or_b32 exec_lo, exec_lo, s0
	ds_bpermute_b32 v6, v38, v43
	v_add_nc_u64_e32 v[4:5], v[22:23], v[4:5]
	s_wait_storecnt_dscnt 0x0
	v_min_i32_e32 v6, v6, v43
	ds_bpermute_b32 v20, v39, v6
	s_wait_dscnt 0x0
	v_min_i32_e32 v6, v20, v6
	ds_bpermute_b32 v20, v40, v6
	s_wait_dscnt 0x0
	;; [unrolled: 3-line block ×5, first 2 shown]
	v_cmp_le_i32_e32 vcc_lo, s5, v20
	v_ashrrev_i32_e32 v21, 31, v20
	s_or_b32 s20, vcc_lo, s20
	s_delay_alu instid0(SALU_CYCLE_1)
	s_and_not1_b32 exec_lo, exec_lo, s20
	s_cbranch_execz .LBB84_29
.LBB84_10:                              ; =>This Loop Header: Depth=1
                                        ;     Child Loop BB84_13 Depth 2
	v_add_nc_u64_e32 v[16:17], v[16:17], v[0:1]
	v_mov_b64_e32 v[26:27], v[2:3]
	v_mov_b32_e32 v43, s5
	s_mov_b32 s21, exec_lo
	ds_store_b8 v32, v7 offset:4096
	ds_store_2addr_b64 v34, v[18:19], v[18:19] offset1:4
	s_wait_dscnt 0x0
	v_cmpx_lt_i64_e64 v[16:17], v[2:3]
	s_cbranch_execz .LBB84_18
; %bb.11:                               ;   in Loop: Header=BB84_10 Depth=1
	v_mov_b64_e32 v[26:27], v[2:3]
	v_lshl_add_u64 v[22:23], v[16:17], 3, s[10:11]
	v_lshl_add_u64 v[24:25], v[16:17], 2, s[12:13]
	v_mov_b32_e32 v43, s5
	s_mov_b32 s22, 0
	s_branch .LBB84_13
.LBB84_12:                              ;   in Loop: Header=BB84_13 Depth=2
	s_wait_xcnt 0x0
	s_or_b32 exec_lo, exec_lo, s0
	v_add_nc_u64_e32 v[16:17], 4, v[16:17]
	s_xor_b32 s23, vcc_lo, -1
	v_add_nc_u64_e32 v[22:23], 32, v[22:23]
	v_add_nc_u64_e32 v[24:25], 16, v[24:25]
	s_delay_alu instid0(VALU_DEP_3) | instskip(SKIP_1) | instid1(SALU_CYCLE_1)
	v_cmp_ge_i64_e64 s0, v[16:17], v[2:3]
	s_or_b32 s0, s23, s0
	s_and_b32 s0, exec_lo, s0
	s_delay_alu instid0(SALU_CYCLE_1) | instskip(NEXT) | instid1(SALU_CYCLE_1)
	s_or_b32 s22, s0, s22
	s_and_not1_b32 exec_lo, exec_lo, s22
	s_cbranch_execz .LBB84_17
.LBB84_13:                              ;   Parent Loop BB84_10 Depth=1
                                        ; =>  This Inner Loop Header: Depth=2
	global_load_b32 v6, v[24:25], off
	s_wait_loadcnt 0x0
	v_subrev_nc_u32_e32 v44, s7, v6
	s_delay_alu instid0(VALU_DEP_1) | instskip(NEXT) | instid1(VALU_DEP_1)
	v_sub_nc_u32_e32 v6, 0, v44
	v_max_i32_e32 v6, v44, v6
	s_delay_alu instid0(VALU_DEP_1) | instskip(NEXT) | instid1(VALU_DEP_1)
	v_mul_u64_e32 v[28:29], s[14:15], v[6:7]
	v_mul_lo_u32 v28, v29, s9
	s_delay_alu instid0(VALU_DEP_1) | instskip(NEXT) | instid1(VALU_DEP_1)
	v_dual_sub_nc_u32 v6, v6, v28 :: v_dual_add_nc_u32 v28, 1, v29
	v_subrev_nc_u32_e32 v30, s9, v6
	v_cmp_le_u32_e32 vcc_lo, s9, v6
	s_delay_alu instid0(VALU_DEP_3) | instskip(NEXT) | instid1(VALU_DEP_3)
	v_cndmask_b32_e32 v28, v29, v28, vcc_lo
	v_dual_cndmask_b32 v6, v6, v30 :: v_dual_ashrrev_i32 v29, 31, v44
	s_delay_alu instid0(VALU_DEP_2) | instskip(NEXT) | instid1(VALU_DEP_2)
	v_add_nc_u32_e32 v30, 1, v28
	v_cmp_le_u32_e32 vcc_lo, s9, v6
	s_delay_alu instid0(VALU_DEP_2) | instskip(SKIP_1) | instid1(VALU_DEP_2)
	v_dual_cndmask_b32 v6, v28, v30, vcc_lo :: v_dual_bitop2_b32 v29, s19, v29 bitop3:0x14
	v_mov_b64_e32 v[30:31], v[26:27]
	v_xor_b32_e32 v6, v6, v29
	s_delay_alu instid0(VALU_DEP_1) | instskip(NEXT) | instid1(VALU_DEP_1)
	v_sub_nc_u32_e32 v28, v6, v29
	v_ashrrev_i32_e32 v29, 31, v28
	s_delay_alu instid0(VALU_DEP_1) | instskip(SKIP_3) | instid1(SALU_CYCLE_1)
	v_cmp_ne_u64_e64 s0, v[20:21], v[28:29]
	v_cmp_eq_u64_e32 vcc_lo, v[20:21], v[28:29]
	s_wait_xcnt 0x0
	s_and_saveexec_b32 s23, s0
	s_xor_b32 s0, exec_lo, s23
; %bb.14:                               ;   in Loop: Header=BB84_13 Depth=2
	v_min_i32_e32 v43, v28, v43
                                        ; implicit-def: $vgpr28
                                        ; implicit-def: $vgpr44
                                        ; implicit-def: $vgpr30_vgpr31
; %bb.15:                               ;   in Loop: Header=BB84_13 Depth=2
	s_or_saveexec_b32 s0, s0
	v_mov_b64_e32 v[26:27], v[16:17]
	s_xor_b32 exec_lo, exec_lo, s0
	s_cbranch_execz .LBB84_12
; %bb.16:                               ;   in Loop: Header=BB84_13 Depth=2
	global_load_b64 v[46:47], v[22:23], off
	v_mul_lo_u32 v6, v28, s6
	v_mov_b64_e32 v[26:27], v[30:31]
	s_delay_alu instid0(VALU_DEP_2) | instskip(NEXT) | instid1(VALU_DEP_1)
	v_sub_nc_u32_e32 v6, v44, v6
	v_lshl_add_u32 v6, v6, 3, v33
	ds_store_b8 v32, v42 offset:4096
	s_wait_loadcnt 0x0
	ds_store_b64 v6, v[46:47]
	s_branch .LBB84_12
.LBB84_17:                              ;   in Loop: Header=BB84_10 Depth=1
	s_or_b32 exec_lo, exec_lo, s22
.LBB84_18:                              ;   in Loop: Header=BB84_10 Depth=1
	s_delay_alu instid0(SALU_CYCLE_1)
	s_or_b32 exec_lo, exec_lo, s21
	ds_bpermute_b32 v16, v35, v26
	ds_bpermute_b32 v17, v35, v27
	s_wait_dscnt 0x0
	ds_load_u8 v6, v32 offset:4096
	s_mov_b32 s0, exec_lo
	v_min_i64 v[16:17], v[16:17], v[26:27]
	s_wait_dscnt 0x0
	v_and_b32_e32 v6, 1, v6
	ds_bpermute_b32 v22, v36, v16
	ds_bpermute_b32 v23, v36, v17
	s_wait_dscnt 0x0
	v_min_i64 v[16:17], v[22:23], v[16:17]
	v_mov_b64_e32 v[22:23], 0
	ds_bpermute_b32 v16, v37, v16
	ds_bpermute_b32 v17, v37, v17
	v_cmpx_eq_u32_e32 1, v6
	s_cbranch_execz .LBB84_9
; %bb.19:                               ;   in Loop: Header=BB84_10 Depth=1
	v_mul_u64_e32 v[22:23], s[16:17], v[4:5]
	v_add_nc_u32_e32 v6, s8, v20
	s_delay_alu instid0(VALU_DEP_2) | instskip(NEXT) | instid1(VALU_DEP_1)
	v_lshlrev_b64_e32 v[24:25], 3, v[22:23]
	v_add_nc_u64_e32 v[22:23], v[8:9], v[24:25]
	v_add_nc_u64_e32 v[20:21], v[10:11], v[24:25]
	v_lshl_add_u64 v[24:25], v[4:5], 2, s[2:3]
	global_store_b32 v[24:25], v6, off
	s_wait_xcnt 0x0
	s_and_saveexec_b32 s21, s18
	s_cbranch_execz .LBB84_23
; %bb.20:                               ;   in Loop: Header=BB84_10 Depth=1
	ds_load_b64 v[24:25], v34
	s_and_b32 vcc_lo, exec_lo, s4
	s_cbranch_vccz .LBB84_26
; %bb.21:                               ;   in Loop: Header=BB84_10 Depth=1
	v_lshl_add_u64 v[26:27], v[12:13], 3, v[22:23]
	s_wait_dscnt 0x0
	global_store_b64 v[26:27], v[24:25], off
	s_cbranch_execnz .LBB84_23
.LBB84_22:                              ;   in Loop: Header=BB84_10 Depth=1
	v_lshlrev_b32_e32 v6, 3, v0
	s_wait_xcnt 0x0
	s_delay_alu instid0(VALU_DEP_1)
	v_add_nc_u64_e32 v[26:27], v[20:21], v[6:7]
	s_wait_dscnt 0x0
	global_store_b64 v[26:27], v[24:25], off
.LBB84_23:                              ;   in Loop: Header=BB84_10 Depth=1
	s_wait_xcnt 0x0
	s_or_b32 exec_lo, exec_lo, s21
	s_and_saveexec_b32 s21, s1
	s_cbranch_execz .LBB84_8
; %bb.24:                               ;   in Loop: Header=BB84_10 Depth=1
	s_and_not1_b32 vcc_lo, exec_lo, s4
	s_cbranch_vccnz .LBB84_27
; %bb.25:                               ;   in Loop: Header=BB84_10 Depth=1
	s_wait_dscnt 0x0
	ds_load_b64 v[24:25], v34 offset:32
	v_lshl_add_u64 v[22:23], v[14:15], 3, v[22:23]
	s_wait_dscnt 0x0
	global_store_b64 v[22:23], v[24:25], off
	s_cbranch_execnz .LBB84_8
	s_branch .LBB84_28
.LBB84_26:                              ;   in Loop: Header=BB84_10 Depth=1
	s_branch .LBB84_22
.LBB84_27:                              ;   in Loop: Header=BB84_10 Depth=1
.LBB84_28:                              ;   in Loop: Header=BB84_10 Depth=1
	s_wait_xcnt 0x0
	ds_load_b64 v[22:23], v34 offset:32
	v_lshlrev_b32_e32 v6, 3, v0
	s_delay_alu instid0(VALU_DEP_1)
	v_add_nc_u64_e32 v[20:21], v[20:21], v[6:7]
	s_wait_dscnt 0x0
	global_store_b64 v[20:21], v[22:23], off offset:32
	s_branch .LBB84_8
.LBB84_29:
	s_endpgm
	.section	.rodata,"a",@progbits
	.p2align	6, 0x0
	.amdhsa_kernel _ZN9rocsparseL42csr2bsr_wavefront_per_row_multipass_kernelILj256ELj32ELj8E21rocsparse_complex_numIfEliEEv20rocsparse_direction_T4_S4_S4_S4_S4_21rocsparse_index_base_PKT2_PKT3_PKS4_S5_PS6_PS9_PS4_
		.amdhsa_group_segment_fixed_size 4104
		.amdhsa_private_segment_fixed_size 0
		.amdhsa_kernarg_size 88
		.amdhsa_user_sgpr_count 2
		.amdhsa_user_sgpr_dispatch_ptr 0
		.amdhsa_user_sgpr_queue_ptr 0
		.amdhsa_user_sgpr_kernarg_segment_ptr 1
		.amdhsa_user_sgpr_dispatch_id 0
		.amdhsa_user_sgpr_kernarg_preload_length 0
		.amdhsa_user_sgpr_kernarg_preload_offset 0
		.amdhsa_user_sgpr_private_segment_size 0
		.amdhsa_wavefront_size32 1
		.amdhsa_uses_dynamic_stack 0
		.amdhsa_enable_private_segment 0
		.amdhsa_system_sgpr_workgroup_id_x 1
		.amdhsa_system_sgpr_workgroup_id_y 0
		.amdhsa_system_sgpr_workgroup_id_z 0
		.amdhsa_system_sgpr_workgroup_info 0
		.amdhsa_system_vgpr_workitem_id 0
		.amdhsa_next_free_vgpr 48
		.amdhsa_next_free_sgpr 24
		.amdhsa_named_barrier_count 0
		.amdhsa_reserve_vcc 1
		.amdhsa_float_round_mode_32 0
		.amdhsa_float_round_mode_16_64 0
		.amdhsa_float_denorm_mode_32 3
		.amdhsa_float_denorm_mode_16_64 3
		.amdhsa_fp16_overflow 0
		.amdhsa_memory_ordered 1
		.amdhsa_forward_progress 1
		.amdhsa_inst_pref_size 13
		.amdhsa_round_robin_scheduling 0
		.amdhsa_exception_fp_ieee_invalid_op 0
		.amdhsa_exception_fp_denorm_src 0
		.amdhsa_exception_fp_ieee_div_zero 0
		.amdhsa_exception_fp_ieee_overflow 0
		.amdhsa_exception_fp_ieee_underflow 0
		.amdhsa_exception_fp_ieee_inexact 0
		.amdhsa_exception_int_div_zero 0
	.end_amdhsa_kernel
	.section	.text._ZN9rocsparseL42csr2bsr_wavefront_per_row_multipass_kernelILj256ELj32ELj8E21rocsparse_complex_numIfEliEEv20rocsparse_direction_T4_S4_S4_S4_S4_21rocsparse_index_base_PKT2_PKT3_PKS4_S5_PS6_PS9_PS4_,"axG",@progbits,_ZN9rocsparseL42csr2bsr_wavefront_per_row_multipass_kernelILj256ELj32ELj8E21rocsparse_complex_numIfEliEEv20rocsparse_direction_T4_S4_S4_S4_S4_21rocsparse_index_base_PKT2_PKT3_PKS4_S5_PS6_PS9_PS4_,comdat
.Lfunc_end84:
	.size	_ZN9rocsparseL42csr2bsr_wavefront_per_row_multipass_kernelILj256ELj32ELj8E21rocsparse_complex_numIfEliEEv20rocsparse_direction_T4_S4_S4_S4_S4_21rocsparse_index_base_PKT2_PKT3_PKS4_S5_PS6_PS9_PS4_, .Lfunc_end84-_ZN9rocsparseL42csr2bsr_wavefront_per_row_multipass_kernelILj256ELj32ELj8E21rocsparse_complex_numIfEliEEv20rocsparse_direction_T4_S4_S4_S4_S4_21rocsparse_index_base_PKT2_PKT3_PKS4_S5_PS6_PS9_PS4_
                                        ; -- End function
	.set _ZN9rocsparseL42csr2bsr_wavefront_per_row_multipass_kernelILj256ELj32ELj8E21rocsparse_complex_numIfEliEEv20rocsparse_direction_T4_S4_S4_S4_S4_21rocsparse_index_base_PKT2_PKT3_PKS4_S5_PS6_PS9_PS4_.num_vgpr, 48
	.set _ZN9rocsparseL42csr2bsr_wavefront_per_row_multipass_kernelILj256ELj32ELj8E21rocsparse_complex_numIfEliEEv20rocsparse_direction_T4_S4_S4_S4_S4_21rocsparse_index_base_PKT2_PKT3_PKS4_S5_PS6_PS9_PS4_.num_agpr, 0
	.set _ZN9rocsparseL42csr2bsr_wavefront_per_row_multipass_kernelILj256ELj32ELj8E21rocsparse_complex_numIfEliEEv20rocsparse_direction_T4_S4_S4_S4_S4_21rocsparse_index_base_PKT2_PKT3_PKS4_S5_PS6_PS9_PS4_.numbered_sgpr, 24
	.set _ZN9rocsparseL42csr2bsr_wavefront_per_row_multipass_kernelILj256ELj32ELj8E21rocsparse_complex_numIfEliEEv20rocsparse_direction_T4_S4_S4_S4_S4_21rocsparse_index_base_PKT2_PKT3_PKS4_S5_PS6_PS9_PS4_.num_named_barrier, 0
	.set _ZN9rocsparseL42csr2bsr_wavefront_per_row_multipass_kernelILj256ELj32ELj8E21rocsparse_complex_numIfEliEEv20rocsparse_direction_T4_S4_S4_S4_S4_21rocsparse_index_base_PKT2_PKT3_PKS4_S5_PS6_PS9_PS4_.private_seg_size, 0
	.set _ZN9rocsparseL42csr2bsr_wavefront_per_row_multipass_kernelILj256ELj32ELj8E21rocsparse_complex_numIfEliEEv20rocsparse_direction_T4_S4_S4_S4_S4_21rocsparse_index_base_PKT2_PKT3_PKS4_S5_PS6_PS9_PS4_.uses_vcc, 1
	.set _ZN9rocsparseL42csr2bsr_wavefront_per_row_multipass_kernelILj256ELj32ELj8E21rocsparse_complex_numIfEliEEv20rocsparse_direction_T4_S4_S4_S4_S4_21rocsparse_index_base_PKT2_PKT3_PKS4_S5_PS6_PS9_PS4_.uses_flat_scratch, 0
	.set _ZN9rocsparseL42csr2bsr_wavefront_per_row_multipass_kernelILj256ELj32ELj8E21rocsparse_complex_numIfEliEEv20rocsparse_direction_T4_S4_S4_S4_S4_21rocsparse_index_base_PKT2_PKT3_PKS4_S5_PS6_PS9_PS4_.has_dyn_sized_stack, 0
	.set _ZN9rocsparseL42csr2bsr_wavefront_per_row_multipass_kernelILj256ELj32ELj8E21rocsparse_complex_numIfEliEEv20rocsparse_direction_T4_S4_S4_S4_S4_21rocsparse_index_base_PKT2_PKT3_PKS4_S5_PS6_PS9_PS4_.has_recursion, 0
	.set _ZN9rocsparseL42csr2bsr_wavefront_per_row_multipass_kernelILj256ELj32ELj8E21rocsparse_complex_numIfEliEEv20rocsparse_direction_T4_S4_S4_S4_S4_21rocsparse_index_base_PKT2_PKT3_PKS4_S5_PS6_PS9_PS4_.has_indirect_call, 0
	.section	.AMDGPU.csdata,"",@progbits
; Kernel info:
; codeLenInByte = 1600
; TotalNumSgprs: 26
; NumVgprs: 48
; ScratchSize: 0
; MemoryBound: 0
; FloatMode: 240
; IeeeMode: 1
; LDSByteSize: 4104 bytes/workgroup (compile time only)
; SGPRBlocks: 0
; VGPRBlocks: 2
; NumSGPRsForWavesPerEU: 26
; NumVGPRsForWavesPerEU: 48
; NamedBarCnt: 0
; Occupancy: 16
; WaveLimiterHint : 0
; COMPUTE_PGM_RSRC2:SCRATCH_EN: 0
; COMPUTE_PGM_RSRC2:USER_SGPR: 2
; COMPUTE_PGM_RSRC2:TRAP_HANDLER: 0
; COMPUTE_PGM_RSRC2:TGID_X_EN: 1
; COMPUTE_PGM_RSRC2:TGID_Y_EN: 0
; COMPUTE_PGM_RSRC2:TGID_Z_EN: 0
; COMPUTE_PGM_RSRC2:TIDIG_COMP_CNT: 0
	.section	.text._ZN9rocsparseL42csr2bsr_wavefront_per_row_multipass_kernelILj256ELj64ELj16E21rocsparse_complex_numIfEliEEv20rocsparse_direction_T4_S4_S4_S4_S4_21rocsparse_index_base_PKT2_PKT3_PKS4_S5_PS6_PS9_PS4_,"axG",@progbits,_ZN9rocsparseL42csr2bsr_wavefront_per_row_multipass_kernelILj256ELj64ELj16E21rocsparse_complex_numIfEliEEv20rocsparse_direction_T4_S4_S4_S4_S4_21rocsparse_index_base_PKT2_PKT3_PKS4_S5_PS6_PS9_PS4_,comdat
	.globl	_ZN9rocsparseL42csr2bsr_wavefront_per_row_multipass_kernelILj256ELj64ELj16E21rocsparse_complex_numIfEliEEv20rocsparse_direction_T4_S4_S4_S4_S4_21rocsparse_index_base_PKT2_PKT3_PKS4_S5_PS6_PS9_PS4_ ; -- Begin function _ZN9rocsparseL42csr2bsr_wavefront_per_row_multipass_kernelILj256ELj64ELj16E21rocsparse_complex_numIfEliEEv20rocsparse_direction_T4_S4_S4_S4_S4_21rocsparse_index_base_PKT2_PKT3_PKS4_S5_PS6_PS9_PS4_
	.p2align	8
	.type	_ZN9rocsparseL42csr2bsr_wavefront_per_row_multipass_kernelILj256ELj64ELj16E21rocsparse_complex_numIfEliEEv20rocsparse_direction_T4_S4_S4_S4_S4_21rocsparse_index_base_PKT2_PKT3_PKS4_S5_PS6_PS9_PS4_,@function
_ZN9rocsparseL42csr2bsr_wavefront_per_row_multipass_kernelILj256ELj64ELj16E21rocsparse_complex_numIfEliEEv20rocsparse_direction_T4_S4_S4_S4_S4_21rocsparse_index_base_PKT2_PKT3_PKS4_S5_PS6_PS9_PS4_: ; @_ZN9rocsparseL42csr2bsr_wavefront_per_row_multipass_kernelILj256ELj64ELj16E21rocsparse_complex_numIfEliEEv20rocsparse_direction_T4_S4_S4_S4_S4_21rocsparse_index_base_PKT2_PKT3_PKS4_S5_PS6_PS9_PS4_
; %bb.0:
	s_clause 0x1
	s_load_b128 s[4:7], s[0:1], 0xc
	s_load_b64 s[16:17], s[0:1], 0x0
	s_bfe_u32 s2, ttmp6, 0x4000c
	s_and_b32 s3, ttmp6, 15
	s_add_co_i32 s2, s2, 1
	s_getreg_b32 s8, hwreg(HW_REG_IB_STS2, 6, 4)
	s_mul_i32 s2, ttmp9, s2
	v_lshrrev_b32_e32 v38, 6, v0
	s_add_co_i32 s3, s3, s2
	s_cmp_eq_u32 s8, 0
	v_bfe_u32 v10, v0, 2, 4
	s_cselect_b32 s2, ttmp9, s3
	s_load_b64 s[8:9], s[0:1], 0x28
	v_lshl_or_b32 v1, s2, 2, v38
	v_mov_b64_e32 v[2:3], 0
	v_mov_b64_e32 v[14:15], 0
	s_mov_b32 s3, 0
	s_wait_kmcnt 0x0
	v_mad_u32 v4, v1, s6, v10
	v_cmp_gt_i32_e32 vcc_lo, s6, v10
	s_delay_alu instid0(VALU_DEP_2) | instskip(SKIP_1) | instid1(SALU_CYCLE_1)
	v_cmp_gt_i32_e64 s2, s17, v4
	s_and_b32 s10, vcc_lo, s2
	s_and_saveexec_b32 s11, s10
	s_cbranch_execz .LBB85_2
; %bb.1:
	global_load_b64 v[6:7], v4, s[8:9] scale_offset
	s_mov_b32 s2, s7
	s_wait_loadcnt 0x0
	v_sub_nc_u64_e64 v[14:15], v[6:7], s[2:3]
.LBB85_2:
	s_or_b32 exec_lo, exec_lo, s11
	s_and_saveexec_b32 s2, s10
	s_cbranch_execz .LBB85_4
; %bb.3:
	global_load_b64 v[2:3], v4, s[8:9] offset:8 scale_offset
	s_wait_xcnt 0x0
	s_mov_b32 s9, 0
	s_mov_b32 s8, s7
	s_wait_loadcnt 0x0
	v_sub_nc_u64_e64 v[2:3], v[2:3], s[8:9]
.LBB85_4:
	s_or_b32 exec_lo, exec_lo, s2
	s_load_b32 s8, s[0:1], 0x38
	v_mov_b64_e32 v[4:5], 0
	s_mov_b32 s3, exec_lo
	v_cmpx_gt_i32_e64 s4, v1
	s_cbranch_execz .LBB85_6
; %bb.5:
	s_load_b64 s[10:11], s[0:1], 0x48
	s_mov_b32 s9, 0
	s_wait_kmcnt 0x0
	global_load_b64 v[4:5], v1, s[10:11] scale_offset
	s_wait_loadcnt 0x0
	v_sub_nc_u64_e64 v[4:5], v[4:5], s[8:9]
.LBB85_6:
	s_or_b32 exec_lo, exec_lo, s3
	s_cmp_lt_i32 s5, 1
	s_cbranch_scc1 .LBB85_39
; %bb.7:
	s_clause 0x3
	s_load_b64 s[2:3], s[0:1], 0x40
	s_load_b64 s[10:11], s[0:1], 0x50
	;; [unrolled: 1-line block ×4, first 2 shown]
	v_dual_lshlrev_b32 v1, 7, v10 :: v_dual_bitop2_b32 v0, 3, v0 bitop3:0x40
	v_dual_mov_b32 v7, 0 :: v_dual_lshlrev_b32 v6, 3, v10
	v_mbcnt_lo_u32_b32 v12, -1, 0
	s_cmp_lg_u32 s16, 0
	s_delay_alu instid0(VALU_DEP_3) | instskip(NEXT) | instid1(VALU_DEP_3)
	v_lshl_or_b32 v39, v38, 11, v1
	v_mov_b32_e32 v1, v7
	s_cselect_b32 s4, -1, 0
	v_xor_b32_e32 v11, 2, v12
	s_abs_i32 s9, s6
	v_lshl_or_b32 v40, v12, 2, 12
	s_wait_xcnt 0x0
	s_cvt_f32_u32 s1, s9
	s_mov_b32 s17, 0
	v_cmp_gt_i32_e64 s0, 32, v11
	v_xor_b32_e32 v13, 1, v12
	s_wait_kmcnt 0x0
	v_add_nc_u64_e32 v[8:9], s[2:3], v[6:7]
	v_mul_lo_u32 v6, s6, v10
	v_rcp_iflag_f32_e32 v18, s1
	v_cndmask_b32_e64 v10, v12, v11, s0
	v_cmp_gt_i32_e64 s0, 32, v13
	v_or_b32_e32 v16, 32, v12
	s_mov_b32 s16, s6
	v_dual_mov_b32 v19, v7 :: v_dual_bitop2_b32 v20, 12, v0 bitop3:0x54
	v_dual_cndmask_b32 v11, v12, v13, s0 :: v_dual_bitop2_b32 v13, 16, v12 bitop3:0x14
	v_lshlrev_b32_e32 v42, 2, v10
	v_cmp_gt_i32_e64 s0, 32, v16
	s_delay_alu instid0(VALU_DEP_3)
	v_dual_lshlrev_b32 v43, 2, v11 :: v_dual_bitop2_b32 v17, 8, v12 bitop3:0x14
	v_lshl_add_u64 v[10:11], v[6:7], 3, s[2:3]
	s_mul_u64 s[18:19], s[16:17], s[16:17]
	v_cndmask_b32_e64 v6, v12, v16, s0
	v_cmp_gt_i32_e64 s0, 32, v13
	s_lshl_b32 s16, s6, 2
	v_readfirstlane_b32 s20, v18
	v_cmp_gt_u32_e64 s3, s6, v20
	v_mov_b64_e32 v[26:27], 0
	v_cndmask_b32_e64 v13, v12, v13, s0
	v_cmp_gt_i32_e64 s0, 32, v17
	v_dual_lshlrev_b32 v44, 2, v6 :: v_dual_bitop2_b32 v16, 4, v12 bitop3:0x14
	v_or_b32_e32 v6, 4, v0
	s_mul_f32 s21, s20, 0x4f7ffffe
	v_cndmask_b32_e64 v17, v12, v17, s0
	s_delay_alu instid0(VALU_DEP_3) | instskip(SKIP_2) | instid1(VALU_DEP_4)
	v_cmp_gt_i32_e64 s0, 32, v16
	v_mov_b64_e32 v[22:23], 0
	v_cmp_gt_u32_e64 s1, s6, v6
	v_dual_lshlrev_b32 v46, 2, v17 :: v_dual_bitop2_b32 v6, 8, v0 bitop3:0x54
	s_delay_alu instid0(VALU_DEP_4) | instskip(SKIP_3) | instid1(VALU_DEP_4)
	v_cndmask_b32_e64 v16, v12, v16, s0
	v_mul_lo_u32 v12, v0, s6
	v_dual_lshlrev_b32 v45, 2, v13 :: v_dual_mov_b32 v13, v7
	v_cmp_gt_u32_e64 s0, s6, v0
	v_dual_lshlrev_b32 v47, 2, v16 :: v_dual_mov_b32 v17, v7
	v_mov_b32_e32 v21, v7
	v_cmp_gt_u32_e64 s2, s6, v6
	s_and_b32 s20, s0, vcc_lo
	s_cvt_u32_f32 s0, s21
	v_lshl_or_b32 v41, v0, 3, v39
	v_add_nc_u32_e32 v16, s16, v12
	v_bfrev_b32_e32 v48, 0.5
	v_dual_mov_b32 v49, 1 :: v_dual_lshlrev_b32 v24, 3, v0
	s_and_b32 s1, vcc_lo, s1
	s_delay_alu instid0(VALU_DEP_3)
	v_add_nc_u32_e32 v18, s16, v16
	s_and_b32 s2, vcc_lo, s2
	s_and_b32 s3, vcc_lo, s3
	s_ashr_i32 s21, s6, 31
	s_mov_b32 s22, s17
	v_add_nc_u32_e32 v20, s16, v18
	s_sub_co_i32 s16, 0, s9
	s_delay_alu instid0(SALU_CYCLE_1) | instskip(NEXT) | instid1(SALU_CYCLE_1)
	s_mul_i32 s16, s16, s0
	s_mul_hi_u32 s16, s0, s16
	s_delay_alu instid0(SALU_CYCLE_1)
	s_add_co_i32 s16, s0, s16
	s_branch .LBB85_10
.LBB85_8:                               ;   in Loop: Header=BB85_10 Depth=1
	s_wait_xcnt 0x0
	s_or_b32 exec_lo, exec_lo, s23
	v_mov_b64_e32 v[28:29], 1
.LBB85_9:                               ;   in Loop: Header=BB85_10 Depth=1
	s_or_b32 exec_lo, exec_lo, s0
	ds_bpermute_b32 v6, v44, v50
	v_add_nc_u64_e32 v[4:5], v[28:29], v[4:5]
	s_wait_storecnt_dscnt 0x0
	v_min_i32_e32 v6, v6, v50
	ds_bpermute_b32 v25, v45, v6
	s_wait_dscnt 0x0
	v_min_i32_e32 v6, v25, v6
	ds_bpermute_b32 v25, v46, v6
	s_wait_dscnt 0x0
	;; [unrolled: 3-line block ×6, first 2 shown]
	v_cmp_le_i32_e32 vcc_lo, s5, v26
	v_ashrrev_i32_e32 v27, 31, v26
	s_or_b32 s22, vcc_lo, s22
	s_delay_alu instid0(SALU_CYCLE_1)
	s_and_not1_b32 exec_lo, exec_lo, s22
	s_cbranch_execz .LBB85_39
.LBB85_10:                              ; =>This Loop Header: Depth=1
                                        ;     Child Loop BB85_13 Depth 2
	v_add_nc_u64_e32 v[14:15], v[14:15], v[0:1]
	v_mov_b64_e32 v[32:33], v[2:3]
	v_mov_b32_e32 v50, s5
	s_mov_b32 s23, exec_lo
	ds_store_b8 v38, v7 offset:8192
	ds_store_2addr_b64 v41, v[22:23], v[22:23] offset1:4
	ds_store_2addr_b64 v41, v[22:23], v[22:23] offset0:8 offset1:12
	s_wait_dscnt 0x0
	v_cmpx_lt_i64_e64 v[14:15], v[2:3]
	s_cbranch_execz .LBB85_18
; %bb.11:                               ;   in Loop: Header=BB85_10 Depth=1
	v_mov_b64_e32 v[32:33], v[2:3]
	v_lshl_add_u64 v[28:29], v[14:15], 3, s[12:13]
	v_lshl_add_u64 v[30:31], v[14:15], 2, s[14:15]
	v_mov_b32_e32 v50, s5
	s_mov_b32 s24, 0
	s_branch .LBB85_13
.LBB85_12:                              ;   in Loop: Header=BB85_13 Depth=2
	s_wait_xcnt 0x0
	s_or_b32 exec_lo, exec_lo, s0
	v_add_nc_u64_e32 v[14:15], 4, v[14:15]
	s_xor_b32 s25, vcc_lo, -1
	v_add_nc_u64_e32 v[28:29], 32, v[28:29]
	v_add_nc_u64_e32 v[30:31], 16, v[30:31]
	s_delay_alu instid0(VALU_DEP_3) | instskip(SKIP_1) | instid1(SALU_CYCLE_1)
	v_cmp_ge_i64_e64 s0, v[14:15], v[2:3]
	s_or_b32 s0, s25, s0
	s_and_b32 s0, exec_lo, s0
	s_delay_alu instid0(SALU_CYCLE_1) | instskip(NEXT) | instid1(SALU_CYCLE_1)
	s_or_b32 s24, s0, s24
	s_and_not1_b32 exec_lo, exec_lo, s24
	s_cbranch_execz .LBB85_17
.LBB85_13:                              ;   Parent Loop BB85_10 Depth=1
                                        ; =>  This Inner Loop Header: Depth=2
	global_load_b32 v6, v[30:31], off
	s_wait_loadcnt 0x0
	v_subrev_nc_u32_e32 v25, s7, v6
	s_delay_alu instid0(VALU_DEP_1) | instskip(NEXT) | instid1(VALU_DEP_1)
	v_sub_nc_u32_e32 v6, 0, v25
	v_max_i32_e32 v6, v25, v6
	s_delay_alu instid0(VALU_DEP_1) | instskip(NEXT) | instid1(VALU_DEP_1)
	v_mul_u64_e32 v[34:35], s[16:17], v[6:7]
	v_mul_lo_u32 v34, v35, s9
	s_delay_alu instid0(VALU_DEP_1) | instskip(NEXT) | instid1(VALU_DEP_1)
	v_dual_sub_nc_u32 v6, v6, v34 :: v_dual_add_nc_u32 v34, 1, v35
	v_cmp_le_u32_e32 vcc_lo, s9, v6
	s_delay_alu instid0(VALU_DEP_2) | instskip(SKIP_1) | instid1(VALU_DEP_1)
	v_cndmask_b32_e32 v34, v35, v34, vcc_lo
	v_subrev_nc_u32_e32 v36, s9, v6
	v_dual_cndmask_b32 v6, v6, v36 :: v_dual_ashrrev_i32 v35, 31, v25
	s_delay_alu instid0(VALU_DEP_3) | instskip(NEXT) | instid1(VALU_DEP_2)
	v_add_nc_u32_e32 v36, 1, v34
	v_cmp_le_u32_e32 vcc_lo, s9, v6
	s_delay_alu instid0(VALU_DEP_2) | instskip(SKIP_1) | instid1(VALU_DEP_2)
	v_dual_cndmask_b32 v6, v34, v36, vcc_lo :: v_dual_bitop2_b32 v35, s21, v35 bitop3:0x14
	v_mov_b64_e32 v[36:37], v[32:33]
	v_xor_b32_e32 v6, v6, v35
	s_delay_alu instid0(VALU_DEP_1) | instskip(NEXT) | instid1(VALU_DEP_1)
	v_sub_nc_u32_e32 v34, v6, v35
	v_ashrrev_i32_e32 v35, 31, v34
	s_delay_alu instid0(VALU_DEP_1) | instskip(SKIP_3) | instid1(SALU_CYCLE_1)
	v_cmp_ne_u64_e64 s0, v[26:27], v[34:35]
	v_cmp_eq_u64_e32 vcc_lo, v[26:27], v[34:35]
	s_wait_xcnt 0x0
	s_and_saveexec_b32 s25, s0
	s_xor_b32 s0, exec_lo, s25
; %bb.14:                               ;   in Loop: Header=BB85_13 Depth=2
	v_min_i32_e32 v50, v34, v50
                                        ; implicit-def: $vgpr34
                                        ; implicit-def: $vgpr25
                                        ; implicit-def: $vgpr36_vgpr37
; %bb.15:                               ;   in Loop: Header=BB85_13 Depth=2
	s_or_saveexec_b32 s0, s0
	v_mov_b64_e32 v[32:33], v[14:15]
	s_xor_b32 exec_lo, exec_lo, s0
	s_cbranch_execz .LBB85_12
; %bb.16:                               ;   in Loop: Header=BB85_13 Depth=2
	global_load_b64 v[52:53], v[28:29], off
	v_mul_lo_u32 v6, v34, s6
	v_mov_b64_e32 v[32:33], v[36:37]
	s_delay_alu instid0(VALU_DEP_2) | instskip(NEXT) | instid1(VALU_DEP_1)
	v_sub_nc_u32_e32 v6, v25, v6
	v_lshl_add_u32 v6, v6, 3, v39
	ds_store_b8 v38, v49 offset:8192
	s_wait_loadcnt 0x0
	ds_store_b64 v6, v[52:53]
	s_branch .LBB85_12
.LBB85_17:                              ;   in Loop: Header=BB85_10 Depth=1
	s_or_b32 exec_lo, exec_lo, s24
.LBB85_18:                              ;   in Loop: Header=BB85_10 Depth=1
	s_delay_alu instid0(SALU_CYCLE_1)
	s_or_b32 exec_lo, exec_lo, s23
	ds_bpermute_b32 v14, v42, v32
	ds_bpermute_b32 v15, v42, v33
	s_wait_dscnt 0x0
	ds_load_u8 v6, v38 offset:8192
	s_mov_b32 s0, exec_lo
	v_min_i64 v[14:15], v[14:15], v[32:33]
	s_wait_dscnt 0x0
	v_and_b32_e32 v6, 1, v6
	ds_bpermute_b32 v28, v43, v14
	ds_bpermute_b32 v29, v43, v15
	s_wait_dscnt 0x0
	v_min_i64 v[14:15], v[28:29], v[14:15]
	v_mov_b64_e32 v[28:29], 0
	ds_bpermute_b32 v14, v40, v14
	ds_bpermute_b32 v15, v40, v15
	v_cmpx_eq_u32_e32 1, v6
	s_cbranch_execz .LBB85_9
; %bb.19:                               ;   in Loop: Header=BB85_10 Depth=1
	v_mul_u64_e32 v[28:29], s[18:19], v[4:5]
	v_add_nc_u32_e32 v6, s8, v26
	s_delay_alu instid0(VALU_DEP_2) | instskip(NEXT) | instid1(VALU_DEP_1)
	v_lshlrev_b64_e32 v[30:31], 3, v[28:29]
	v_add_nc_u64_e32 v[28:29], v[8:9], v[30:31]
	v_add_nc_u64_e32 v[26:27], v[10:11], v[30:31]
	v_lshl_add_u64 v[30:31], v[4:5], 2, s[10:11]
	global_store_b32 v[30:31], v6, off
	s_wait_xcnt 0x0
	s_and_saveexec_b32 s23, s20
	s_cbranch_execz .LBB85_23
; %bb.20:                               ;   in Loop: Header=BB85_10 Depth=1
	ds_load_b64 v[30:31], v41
	s_and_b32 vcc_lo, exec_lo, s4
	s_cbranch_vccz .LBB85_34
; %bb.21:                               ;   in Loop: Header=BB85_10 Depth=1
	v_lshl_add_u64 v[32:33], v[12:13], 3, v[28:29]
	s_wait_dscnt 0x0
	global_store_b64 v[32:33], v[30:31], off
	s_cbranch_execnz .LBB85_23
.LBB85_22:                              ;   in Loop: Header=BB85_10 Depth=1
	v_mov_b32_e32 v25, v7
	s_wait_xcnt 0x0
	s_delay_alu instid0(VALU_DEP_1)
	v_add_nc_u64_e32 v[32:33], v[26:27], v[24:25]
	s_wait_dscnt 0x0
	global_store_b64 v[32:33], v[30:31], off
.LBB85_23:                              ;   in Loop: Header=BB85_10 Depth=1
	s_wait_xcnt 0x0
	s_or_b32 exec_lo, exec_lo, s23
	s_and_saveexec_b32 s23, s1
	s_cbranch_execz .LBB85_27
; %bb.24:                               ;   in Loop: Header=BB85_10 Depth=1
	s_and_not1_b32 vcc_lo, exec_lo, s4
	s_cbranch_vccnz .LBB85_35
; %bb.25:                               ;   in Loop: Header=BB85_10 Depth=1
	s_wait_dscnt 0x0
	ds_load_b64 v[30:31], v41 offset:32
	v_lshl_add_u64 v[32:33], v[16:17], 3, v[28:29]
	s_wait_dscnt 0x0
	global_store_b64 v[32:33], v[30:31], off
	s_cbranch_execnz .LBB85_27
.LBB85_26:                              ;   in Loop: Header=BB85_10 Depth=1
	s_wait_dscnt 0x0
	s_wait_xcnt 0x0
	ds_load_b64 v[30:31], v41 offset:32
	v_mov_b32_e32 v25, v7
	s_delay_alu instid0(VALU_DEP_1)
	v_add_nc_u64_e32 v[32:33], v[26:27], v[24:25]
	s_wait_dscnt 0x0
	global_store_b64 v[32:33], v[30:31], off offset:32
.LBB85_27:                              ;   in Loop: Header=BB85_10 Depth=1
	s_wait_xcnt 0x0
	s_or_b32 exec_lo, exec_lo, s23
	s_and_saveexec_b32 s23, s2
	s_cbranch_execz .LBB85_31
; %bb.28:                               ;   in Loop: Header=BB85_10 Depth=1
	s_and_not1_b32 vcc_lo, exec_lo, s4
	s_cbranch_vccnz .LBB85_36
; %bb.29:                               ;   in Loop: Header=BB85_10 Depth=1
	s_wait_dscnt 0x0
	ds_load_b64 v[30:31], v41 offset:64
	v_lshl_add_u64 v[32:33], v[18:19], 3, v[28:29]
	s_wait_dscnt 0x0
	global_store_b64 v[32:33], v[30:31], off
	s_cbranch_execnz .LBB85_31
.LBB85_30:                              ;   in Loop: Header=BB85_10 Depth=1
	s_wait_dscnt 0x0
	s_wait_xcnt 0x0
	ds_load_b64 v[30:31], v41 offset:64
	v_mov_b32_e32 v25, v7
	s_delay_alu instid0(VALU_DEP_1)
	v_add_nc_u64_e32 v[32:33], v[26:27], v[24:25]
	s_wait_dscnt 0x0
	global_store_b64 v[32:33], v[30:31], off offset:64
.LBB85_31:                              ;   in Loop: Header=BB85_10 Depth=1
	s_wait_xcnt 0x0
	s_or_b32 exec_lo, exec_lo, s23
	s_and_saveexec_b32 s23, s3
	s_cbranch_execz .LBB85_8
; %bb.32:                               ;   in Loop: Header=BB85_10 Depth=1
	s_and_not1_b32 vcc_lo, exec_lo, s4
	s_cbranch_vccnz .LBB85_37
; %bb.33:                               ;   in Loop: Header=BB85_10 Depth=1
	s_wait_dscnt 0x0
	ds_load_b64 v[30:31], v41 offset:96
	v_lshl_add_u64 v[28:29], v[20:21], 3, v[28:29]
	s_wait_dscnt 0x0
	global_store_b64 v[28:29], v[30:31], off
	s_cbranch_execnz .LBB85_8
	s_branch .LBB85_38
.LBB85_34:                              ;   in Loop: Header=BB85_10 Depth=1
	s_branch .LBB85_22
.LBB85_35:                              ;   in Loop: Header=BB85_10 Depth=1
	s_branch .LBB85_26
.LBB85_36:                              ;   in Loop: Header=BB85_10 Depth=1
	s_branch .LBB85_30
.LBB85_37:                              ;   in Loop: Header=BB85_10 Depth=1
.LBB85_38:                              ;   in Loop: Header=BB85_10 Depth=1
	s_wait_xcnt 0x0
	ds_load_b64 v[28:29], v41 offset:96
	v_mov_b32_e32 v25, v7
	s_delay_alu instid0(VALU_DEP_1)
	v_add_nc_u64_e32 v[26:27], v[26:27], v[24:25]
	s_wait_dscnt 0x0
	global_store_b64 v[26:27], v[28:29], off offset:96
	s_branch .LBB85_8
.LBB85_39:
	s_endpgm
	.section	.rodata,"a",@progbits
	.p2align	6, 0x0
	.amdhsa_kernel _ZN9rocsparseL42csr2bsr_wavefront_per_row_multipass_kernelILj256ELj64ELj16E21rocsparse_complex_numIfEliEEv20rocsparse_direction_T4_S4_S4_S4_S4_21rocsparse_index_base_PKT2_PKT3_PKS4_S5_PS6_PS9_PS4_
		.amdhsa_group_segment_fixed_size 8196
		.amdhsa_private_segment_fixed_size 0
		.amdhsa_kernarg_size 88
		.amdhsa_user_sgpr_count 2
		.amdhsa_user_sgpr_dispatch_ptr 0
		.amdhsa_user_sgpr_queue_ptr 0
		.amdhsa_user_sgpr_kernarg_segment_ptr 1
		.amdhsa_user_sgpr_dispatch_id 0
		.amdhsa_user_sgpr_kernarg_preload_length 0
		.amdhsa_user_sgpr_kernarg_preload_offset 0
		.amdhsa_user_sgpr_private_segment_size 0
		.amdhsa_wavefront_size32 1
		.amdhsa_uses_dynamic_stack 0
		.amdhsa_enable_private_segment 0
		.amdhsa_system_sgpr_workgroup_id_x 1
		.amdhsa_system_sgpr_workgroup_id_y 0
		.amdhsa_system_sgpr_workgroup_id_z 0
		.amdhsa_system_sgpr_workgroup_info 0
		.amdhsa_system_vgpr_workitem_id 0
		.amdhsa_next_free_vgpr 54
		.amdhsa_next_free_sgpr 26
		.amdhsa_named_barrier_count 0
		.amdhsa_reserve_vcc 1
		.amdhsa_float_round_mode_32 0
		.amdhsa_float_round_mode_16_64 0
		.amdhsa_float_denorm_mode_32 3
		.amdhsa_float_denorm_mode_16_64 3
		.amdhsa_fp16_overflow 0
		.amdhsa_memory_ordered 1
		.amdhsa_forward_progress 1
		.amdhsa_inst_pref_size 16
		.amdhsa_round_robin_scheduling 0
		.amdhsa_exception_fp_ieee_invalid_op 0
		.amdhsa_exception_fp_denorm_src 0
		.amdhsa_exception_fp_ieee_div_zero 0
		.amdhsa_exception_fp_ieee_overflow 0
		.amdhsa_exception_fp_ieee_underflow 0
		.amdhsa_exception_fp_ieee_inexact 0
		.amdhsa_exception_int_div_zero 0
	.end_amdhsa_kernel
	.section	.text._ZN9rocsparseL42csr2bsr_wavefront_per_row_multipass_kernelILj256ELj64ELj16E21rocsparse_complex_numIfEliEEv20rocsparse_direction_T4_S4_S4_S4_S4_21rocsparse_index_base_PKT2_PKT3_PKS4_S5_PS6_PS9_PS4_,"axG",@progbits,_ZN9rocsparseL42csr2bsr_wavefront_per_row_multipass_kernelILj256ELj64ELj16E21rocsparse_complex_numIfEliEEv20rocsparse_direction_T4_S4_S4_S4_S4_21rocsparse_index_base_PKT2_PKT3_PKS4_S5_PS6_PS9_PS4_,comdat
.Lfunc_end85:
	.size	_ZN9rocsparseL42csr2bsr_wavefront_per_row_multipass_kernelILj256ELj64ELj16E21rocsparse_complex_numIfEliEEv20rocsparse_direction_T4_S4_S4_S4_S4_21rocsparse_index_base_PKT2_PKT3_PKS4_S5_PS6_PS9_PS4_, .Lfunc_end85-_ZN9rocsparseL42csr2bsr_wavefront_per_row_multipass_kernelILj256ELj64ELj16E21rocsparse_complex_numIfEliEEv20rocsparse_direction_T4_S4_S4_S4_S4_21rocsparse_index_base_PKT2_PKT3_PKS4_S5_PS6_PS9_PS4_
                                        ; -- End function
	.set _ZN9rocsparseL42csr2bsr_wavefront_per_row_multipass_kernelILj256ELj64ELj16E21rocsparse_complex_numIfEliEEv20rocsparse_direction_T4_S4_S4_S4_S4_21rocsparse_index_base_PKT2_PKT3_PKS4_S5_PS6_PS9_PS4_.num_vgpr, 54
	.set _ZN9rocsparseL42csr2bsr_wavefront_per_row_multipass_kernelILj256ELj64ELj16E21rocsparse_complex_numIfEliEEv20rocsparse_direction_T4_S4_S4_S4_S4_21rocsparse_index_base_PKT2_PKT3_PKS4_S5_PS6_PS9_PS4_.num_agpr, 0
	.set _ZN9rocsparseL42csr2bsr_wavefront_per_row_multipass_kernelILj256ELj64ELj16E21rocsparse_complex_numIfEliEEv20rocsparse_direction_T4_S4_S4_S4_S4_21rocsparse_index_base_PKT2_PKT3_PKS4_S5_PS6_PS9_PS4_.numbered_sgpr, 26
	.set _ZN9rocsparseL42csr2bsr_wavefront_per_row_multipass_kernelILj256ELj64ELj16E21rocsparse_complex_numIfEliEEv20rocsparse_direction_T4_S4_S4_S4_S4_21rocsparse_index_base_PKT2_PKT3_PKS4_S5_PS6_PS9_PS4_.num_named_barrier, 0
	.set _ZN9rocsparseL42csr2bsr_wavefront_per_row_multipass_kernelILj256ELj64ELj16E21rocsparse_complex_numIfEliEEv20rocsparse_direction_T4_S4_S4_S4_S4_21rocsparse_index_base_PKT2_PKT3_PKS4_S5_PS6_PS9_PS4_.private_seg_size, 0
	.set _ZN9rocsparseL42csr2bsr_wavefront_per_row_multipass_kernelILj256ELj64ELj16E21rocsparse_complex_numIfEliEEv20rocsparse_direction_T4_S4_S4_S4_S4_21rocsparse_index_base_PKT2_PKT3_PKS4_S5_PS6_PS9_PS4_.uses_vcc, 1
	.set _ZN9rocsparseL42csr2bsr_wavefront_per_row_multipass_kernelILj256ELj64ELj16E21rocsparse_complex_numIfEliEEv20rocsparse_direction_T4_S4_S4_S4_S4_21rocsparse_index_base_PKT2_PKT3_PKS4_S5_PS6_PS9_PS4_.uses_flat_scratch, 0
	.set _ZN9rocsparseL42csr2bsr_wavefront_per_row_multipass_kernelILj256ELj64ELj16E21rocsparse_complex_numIfEliEEv20rocsparse_direction_T4_S4_S4_S4_S4_21rocsparse_index_base_PKT2_PKT3_PKS4_S5_PS6_PS9_PS4_.has_dyn_sized_stack, 0
	.set _ZN9rocsparseL42csr2bsr_wavefront_per_row_multipass_kernelILj256ELj64ELj16E21rocsparse_complex_numIfEliEEv20rocsparse_direction_T4_S4_S4_S4_S4_21rocsparse_index_base_PKT2_PKT3_PKS4_S5_PS6_PS9_PS4_.has_recursion, 0
	.set _ZN9rocsparseL42csr2bsr_wavefront_per_row_multipass_kernelILj256ELj64ELj16E21rocsparse_complex_numIfEliEEv20rocsparse_direction_T4_S4_S4_S4_S4_21rocsparse_index_base_PKT2_PKT3_PKS4_S5_PS6_PS9_PS4_.has_indirect_call, 0
	.section	.AMDGPU.csdata,"",@progbits
; Kernel info:
; codeLenInByte = 1948
; TotalNumSgprs: 28
; NumVgprs: 54
; ScratchSize: 0
; MemoryBound: 0
; FloatMode: 240
; IeeeMode: 1
; LDSByteSize: 8196 bytes/workgroup (compile time only)
; SGPRBlocks: 0
; VGPRBlocks: 3
; NumSGPRsForWavesPerEU: 28
; NumVGPRsForWavesPerEU: 54
; NamedBarCnt: 0
; Occupancy: 16
; WaveLimiterHint : 0
; COMPUTE_PGM_RSRC2:SCRATCH_EN: 0
; COMPUTE_PGM_RSRC2:USER_SGPR: 2
; COMPUTE_PGM_RSRC2:TRAP_HANDLER: 0
; COMPUTE_PGM_RSRC2:TGID_X_EN: 1
; COMPUTE_PGM_RSRC2:TGID_Y_EN: 0
; COMPUTE_PGM_RSRC2:TGID_Z_EN: 0
; COMPUTE_PGM_RSRC2:TIDIG_COMP_CNT: 0
	.section	.text._ZN9rocsparseL42csr2bsr_wavefront_per_row_multipass_kernelILj256ELj32ELj16E21rocsparse_complex_numIfEliEEv20rocsparse_direction_T4_S4_S4_S4_S4_21rocsparse_index_base_PKT2_PKT3_PKS4_S5_PS6_PS9_PS4_,"axG",@progbits,_ZN9rocsparseL42csr2bsr_wavefront_per_row_multipass_kernelILj256ELj32ELj16E21rocsparse_complex_numIfEliEEv20rocsparse_direction_T4_S4_S4_S4_S4_21rocsparse_index_base_PKT2_PKT3_PKS4_S5_PS6_PS9_PS4_,comdat
	.globl	_ZN9rocsparseL42csr2bsr_wavefront_per_row_multipass_kernelILj256ELj32ELj16E21rocsparse_complex_numIfEliEEv20rocsparse_direction_T4_S4_S4_S4_S4_21rocsparse_index_base_PKT2_PKT3_PKS4_S5_PS6_PS9_PS4_ ; -- Begin function _ZN9rocsparseL42csr2bsr_wavefront_per_row_multipass_kernelILj256ELj32ELj16E21rocsparse_complex_numIfEliEEv20rocsparse_direction_T4_S4_S4_S4_S4_21rocsparse_index_base_PKT2_PKT3_PKS4_S5_PS6_PS9_PS4_
	.p2align	8
	.type	_ZN9rocsparseL42csr2bsr_wavefront_per_row_multipass_kernelILj256ELj32ELj16E21rocsparse_complex_numIfEliEEv20rocsparse_direction_T4_S4_S4_S4_S4_21rocsparse_index_base_PKT2_PKT3_PKS4_S5_PS6_PS9_PS4_,@function
_ZN9rocsparseL42csr2bsr_wavefront_per_row_multipass_kernelILj256ELj32ELj16E21rocsparse_complex_numIfEliEEv20rocsparse_direction_T4_S4_S4_S4_S4_21rocsparse_index_base_PKT2_PKT3_PKS4_S5_PS6_PS9_PS4_: ; @_ZN9rocsparseL42csr2bsr_wavefront_per_row_multipass_kernelILj256ELj32ELj16E21rocsparse_complex_numIfEliEEv20rocsparse_direction_T4_S4_S4_S4_S4_21rocsparse_index_base_PKT2_PKT3_PKS4_S5_PS6_PS9_PS4_
; %bb.0:
	s_clause 0x1
	s_load_b128 s[8:11], s[0:1], 0xc
	s_load_b64 s[4:5], s[0:1], 0x0
	s_bfe_u32 s2, ttmp6, 0x4000c
	s_and_b32 s3, ttmp6, 15
	s_add_co_i32 s2, s2, 1
	s_getreg_b32 s6, hwreg(HW_REG_IB_STS2, 6, 4)
	s_mul_i32 s2, ttmp9, s2
	v_lshrrev_b32_e32 v46, 5, v0
	s_add_co_i32 s3, s3, s2
	s_cmp_eq_u32 s6, 0
	v_bfe_u32 v10, v0, 1, 4
	s_cselect_b32 s2, ttmp9, s3
	s_load_b64 s[6:7], s[0:1], 0x28
	v_lshl_or_b32 v1, s2, 3, v46
	v_mov_b64_e32 v[2:3], 0
	v_mov_b64_e32 v[18:19], 0
	s_mov_b32 s3, 0
	s_wait_kmcnt 0x0
	v_mad_u32 v4, v1, s10, v10
	v_cmp_gt_i32_e32 vcc_lo, s10, v10
	s_delay_alu instid0(VALU_DEP_2) | instskip(SKIP_1) | instid1(SALU_CYCLE_1)
	v_cmp_gt_i32_e64 s2, s5, v4
	s_and_b32 s5, vcc_lo, s2
	s_and_saveexec_b32 s12, s5
	s_cbranch_execz .LBB86_2
; %bb.1:
	global_load_b64 v[6:7], v4, s[6:7] scale_offset
	s_mov_b32 s2, s11
	s_wait_loadcnt 0x0
	v_sub_nc_u64_e64 v[18:19], v[6:7], s[2:3]
.LBB86_2:
	s_or_b32 exec_lo, exec_lo, s12
	s_and_saveexec_b32 s2, s5
	s_cbranch_execz .LBB86_4
; %bb.3:
	global_load_b64 v[2:3], v4, s[6:7] offset:8 scale_offset
	s_wait_xcnt 0x0
	s_mov_b32 s7, 0
	s_mov_b32 s6, s11
	s_wait_loadcnt 0x0
	v_sub_nc_u64_e64 v[2:3], v[2:3], s[6:7]
.LBB86_4:
	s_or_b32 exec_lo, exec_lo, s2
	s_load_b32 s12, s[0:1], 0x38
	v_mov_b64_e32 v[4:5], 0
	s_mov_b32 s3, exec_lo
	v_cmpx_gt_i32_e64 s8, v1
	s_cbranch_execz .LBB86_6
; %bb.5:
	s_load_b64 s[6:7], s[0:1], 0x48
	s_mov_b32 s13, 0
	s_wait_kmcnt 0x0
	global_load_b64 v[4:5], v1, s[6:7] scale_offset
	s_wait_loadcnt 0x0
	v_sub_nc_u64_e64 v[4:5], v[4:5], s[12:13]
.LBB86_6:
	s_or_b32 exec_lo, exec_lo, s3
	s_cmp_lt_i32 s9, 1
	s_cbranch_scc1 .LBB86_59
; %bb.7:
	v_mbcnt_lo_u32_b32 v11, -1, 0
	v_lshlrev_b32_e32 v1, 7, v10
	s_load_b64 s[6:7], s[0:1], 0x40
	v_dual_mov_b32 v7, 0 :: v_dual_bitop2_b32 v0, 1, v0 bitop3:0x40
	s_delay_alu instid0(VALU_DEP_3) | instskip(NEXT) | instid1(VALU_DEP_3)
	v_xor_b32_e32 v6, 1, v11
	v_lshl_or_b32 v47, v46, 11, v1
	s_clause 0x2
	s_load_b64 s[14:15], s[0:1], 0x50
	s_load_b64 s[16:17], s[0:1], 0x20
	s_load_b64 s[18:19], s[0:1], 0x30
	s_mov_b32 s21, 0
	s_cmp_lg_u32 s4, 0
	v_cmp_gt_i32_e64 s2, 32, v6
	s_mov_b32 s20, s10
	s_cselect_b32 s8, -1, 0
	s_mul_u64 s[22:23], s[20:21], s[20:21]
	s_lshl_b32 s20, s10, 1
	v_dual_cndmask_b32 v6, v11, v6, s2 :: v_dual_bitop2_b32 v12, 16, v11 bitop3:0x14
	v_mov_b32_e32 v1, v7
	v_lshl_or_b32 v50, v11, 2, 4
	s_abs_i32 s13, s10
	s_delay_alu instid0(VALU_DEP_3)
	v_lshlrev_b32_e32 v49, 2, v6
	v_lshlrev_b32_e32 v6, 3, v10
	s_wait_xcnt 0x0
	v_cmp_gt_i32_e64 s0, 32, v12
	v_xor_b32_e32 v13, 4, v11
	v_or_b32_e32 v17, 4, v0
	v_or_b32_e32 v22, 8, v0
	s_wait_kmcnt 0x0
	v_add_nc_u64_e32 v[8:9], s[6:7], v[6:7]
	v_mul_lo_u32 v6, s10, v10
	v_dual_cndmask_b32 v14, v11, v12, s0 :: v_dual_bitop2_b32 v10, 8, v11 bitop3:0x14
	v_dual_mov_b32 v27, v7 :: v_dual_bitop2_b32 v29, 14, v0 bitop3:0x54
	v_mov_b64_e32 v[34:35], 0
	s_delay_alu instid0(VALU_DEP_3) | instskip(SKIP_3) | instid1(VALU_DEP_4)
	v_cmp_gt_i32_e64 s0, 32, v10
	v_xor_b32_e32 v12, 2, v11
	v_mov_b64_e32 v[30:31], 0
	v_lshl_or_b32 v48, v0, 3, v47
	v_dual_lshlrev_b32 v32, 3, v0 :: v_dual_cndmask_b32 v15, v11, v10, s0
	v_mul_lo_u32 v10, v0, s10
	v_cmp_gt_i32_e64 s0, 32, v13
	v_lshlrev_b32_e32 v51, 2, v14
	s_delay_alu instid0(VALU_DEP_4) | instskip(SKIP_1) | instid1(VALU_DEP_4)
	v_dual_mov_b32 v55, 0x7c :: v_dual_lshlrev_b32 v52, 2, v15
	v_mov_b32_e32 v15, v7
	v_cndmask_b32_e64 v16, v11, v13, s0
	v_cmp_gt_i32_e64 s0, 32, v12
	v_cmp_gt_u32_e64 s2, s10, v17
	v_mov_b32_e32 v17, v7
	v_cmp_gt_u32_e64 s4, s10, v22
	s_delay_alu instid0(VALU_DEP_4) | instskip(SKIP_2) | instid1(VALU_DEP_3)
	v_dual_add_nc_u32 v14, s20, v10 :: v_dual_cndmask_b32 v11, v11, v12, s0
	v_lshl_add_u64 v[12:13], v[6:7], 3, s[6:7]
	v_lshlrev_b32_e32 v53, 2, v16
	v_dual_add_nc_u32 v16, s20, v14 :: v_dual_bitop2_b32 v6, 2, v0 bitop3:0x54
	s_cvt_f32_u32 s6, s13
	v_dual_mov_b32 v11, v7 :: v_dual_lshlrev_b32 v54, 2, v11
	s_delay_alu instid0(VALU_DEP_2) | instskip(SKIP_4) | instid1(VALU_DEP_3)
	v_cmp_gt_u32_e64 s1, s10, v6
	v_or_b32_e32 v6, 6, v0
	v_dual_mov_b32 v21, v7 :: v_dual_add_nc_u32 v20, s20, v16
	v_rcp_iflag_f32_e32 v28, s6
	v_cmp_gt_u32_e64 s0, s10, v0
	v_cmp_gt_u32_e64 s3, s10, v6
	s_delay_alu instid0(VALU_DEP_3) | instskip(SKIP_1) | instid1(TRANS32_DEP_1)
	v_dual_mov_b32 v25, v7 :: v_dual_add_nc_u32 v22, s20, v20
	v_dual_mov_b32 v23, v7 :: v_dual_bitop2_b32 v6, 10, v0 bitop3:0x54
	v_readfirstlane_b32 s25, v28
	s_delay_alu instid0(VALU_DEP_3)
	v_add_nc_u32_e32 v24, s20, v22
	s_and_b32 s24, s0, vcc_lo
	v_cmp_gt_u32_e64 s5, s10, v6
	v_or_b32_e32 v6, 12, v0
	s_mul_f32 s0, s25, 0x4f7ffffe
	v_add_nc_u32_e32 v26, s20, v24
	v_cmp_gt_u32_e64 s7, s10, v29
	v_mov_b32_e32 v29, v7
	s_cvt_u32_f32 s0, s0
	v_cmp_gt_u32_e64 s6, s10, v6
	v_dual_add_nc_u32 v28, s20, v26 :: v_dual_mov_b32 v56, 1
	s_sub_co_i32 s20, 0, s13
	s_and_b32 s1, vcc_lo, s1
	s_mul_i32 s20, s20, s0
	s_and_b32 s2, vcc_lo, s2
	s_mul_hi_u32 s20, s0, s20
	s_and_b32 s3, vcc_lo, s3
	s_and_b32 s4, vcc_lo, s4
	;; [unrolled: 1-line block ×5, first 2 shown]
	s_ashr_i32 s25, s10, 31
	s_add_co_i32 s20, s0, s20
	s_mov_b32 s26, s21
	s_branch .LBB86_10
.LBB86_8:                               ;   in Loop: Header=BB86_10 Depth=1
	s_wait_xcnt 0x0
	s_or_b32 exec_lo, exec_lo, s27
	v_mov_b64_e32 v[36:37], 1
.LBB86_9:                               ;   in Loop: Header=BB86_10 Depth=1
	s_or_b32 exec_lo, exec_lo, s0
	ds_bpermute_b32 v6, v51, v57
	v_add_nc_u64_e32 v[4:5], v[36:37], v[4:5]
	s_wait_storecnt_dscnt 0x0
	v_min_i32_e32 v6, v6, v57
	ds_bpermute_b32 v33, v52, v6
	s_wait_dscnt 0x0
	v_min_i32_e32 v6, v33, v6
	ds_bpermute_b32 v33, v53, v6
	s_wait_dscnt 0x0
	v_min_i32_e32 v6, v33, v6
	ds_bpermute_b32 v33, v54, v6
	s_wait_dscnt 0x0
	v_min_i32_e32 v6, v33, v6
	ds_bpermute_b32 v33, v49, v6
	s_wait_dscnt 0x0
	v_min_i32_e32 v6, v33, v6
	ds_bpermute_b32 v34, v55, v6
	s_wait_dscnt 0x0
	v_cmp_le_i32_e32 vcc_lo, s9, v34
	v_ashrrev_i32_e32 v35, 31, v34
	s_or_b32 s26, vcc_lo, s26
	s_delay_alu instid0(SALU_CYCLE_1)
	s_and_not1_b32 exec_lo, exec_lo, s26
	s_cbranch_execz .LBB86_59
.LBB86_10:                              ; =>This Loop Header: Depth=1
                                        ;     Child Loop BB86_13 Depth 2
	v_add_nc_u64_e32 v[18:19], v[18:19], v[0:1]
	v_mov_b64_e32 v[40:41], v[2:3]
	v_mov_b32_e32 v57, s9
	s_mov_b32 s27, exec_lo
	ds_store_b8 v46, v7 offset:16384
	ds_store_2addr_b64 v48, v[30:31], v[30:31] offset1:2
	ds_store_2addr_b64 v48, v[30:31], v[30:31] offset0:4 offset1:6
	ds_store_2addr_b64 v48, v[30:31], v[30:31] offset0:8 offset1:10
	;; [unrolled: 1-line block ×3, first 2 shown]
	s_wait_dscnt 0x0
	v_cmpx_lt_i64_e64 v[18:19], v[2:3]
	s_cbranch_execz .LBB86_18
; %bb.11:                               ;   in Loop: Header=BB86_10 Depth=1
	v_mov_b64_e32 v[40:41], v[2:3]
	v_lshl_add_u64 v[36:37], v[18:19], 3, s[16:17]
	v_lshl_add_u64 v[38:39], v[18:19], 2, s[18:19]
	v_mov_b32_e32 v57, s9
	s_mov_b32 s28, 0
	s_branch .LBB86_13
.LBB86_12:                              ;   in Loop: Header=BB86_13 Depth=2
	s_wait_xcnt 0x0
	s_or_b32 exec_lo, exec_lo, s0
	v_add_nc_u64_e32 v[18:19], 2, v[18:19]
	s_xor_b32 s29, vcc_lo, -1
	v_add_nc_u64_e32 v[36:37], 16, v[36:37]
	v_add_nc_u64_e32 v[38:39], 8, v[38:39]
	s_delay_alu instid0(VALU_DEP_3) | instskip(SKIP_1) | instid1(SALU_CYCLE_1)
	v_cmp_ge_i64_e64 s0, v[18:19], v[2:3]
	s_or_b32 s0, s29, s0
	s_and_b32 s0, exec_lo, s0
	s_delay_alu instid0(SALU_CYCLE_1) | instskip(NEXT) | instid1(SALU_CYCLE_1)
	s_or_b32 s28, s0, s28
	s_and_not1_b32 exec_lo, exec_lo, s28
	s_cbranch_execz .LBB86_17
.LBB86_13:                              ;   Parent Loop BB86_10 Depth=1
                                        ; =>  This Inner Loop Header: Depth=2
	global_load_b32 v6, v[38:39], off
	s_wait_loadcnt 0x0
	v_subrev_nc_u32_e32 v33, s11, v6
	s_delay_alu instid0(VALU_DEP_1) | instskip(NEXT) | instid1(VALU_DEP_1)
	v_sub_nc_u32_e32 v6, 0, v33
	v_max_i32_e32 v6, v33, v6
	s_delay_alu instid0(VALU_DEP_1) | instskip(NEXT) | instid1(VALU_DEP_1)
	v_mul_u64_e32 v[42:43], s[20:21], v[6:7]
	v_mul_lo_u32 v42, v43, s13
	s_delay_alu instid0(VALU_DEP_1) | instskip(NEXT) | instid1(VALU_DEP_1)
	v_dual_sub_nc_u32 v6, v6, v42 :: v_dual_add_nc_u32 v42, 1, v43
	v_cmp_le_u32_e32 vcc_lo, s13, v6
	s_delay_alu instid0(VALU_DEP_2) | instskip(SKIP_1) | instid1(VALU_DEP_1)
	v_cndmask_b32_e32 v42, v43, v42, vcc_lo
	v_subrev_nc_u32_e32 v44, s13, v6
	v_dual_cndmask_b32 v6, v6, v44 :: v_dual_ashrrev_i32 v43, 31, v33
	s_delay_alu instid0(VALU_DEP_3) | instskip(NEXT) | instid1(VALU_DEP_2)
	v_add_nc_u32_e32 v44, 1, v42
	v_cmp_le_u32_e32 vcc_lo, s13, v6
	s_delay_alu instid0(VALU_DEP_2) | instskip(SKIP_1) | instid1(VALU_DEP_2)
	v_dual_cndmask_b32 v6, v42, v44, vcc_lo :: v_dual_bitop2_b32 v43, s25, v43 bitop3:0x14
	v_mov_b64_e32 v[44:45], v[40:41]
	v_xor_b32_e32 v6, v6, v43
	s_delay_alu instid0(VALU_DEP_1) | instskip(NEXT) | instid1(VALU_DEP_1)
	v_sub_nc_u32_e32 v42, v6, v43
	v_ashrrev_i32_e32 v43, 31, v42
	s_delay_alu instid0(VALU_DEP_1) | instskip(SKIP_3) | instid1(SALU_CYCLE_1)
	v_cmp_ne_u64_e64 s0, v[34:35], v[42:43]
	v_cmp_eq_u64_e32 vcc_lo, v[34:35], v[42:43]
	s_wait_xcnt 0x0
	s_and_saveexec_b32 s29, s0
	s_xor_b32 s0, exec_lo, s29
; %bb.14:                               ;   in Loop: Header=BB86_13 Depth=2
	v_min_i32_e32 v57, v42, v57
                                        ; implicit-def: $vgpr42
                                        ; implicit-def: $vgpr33
                                        ; implicit-def: $vgpr44_vgpr45
; %bb.15:                               ;   in Loop: Header=BB86_13 Depth=2
	s_or_saveexec_b32 s0, s0
	v_mov_b64_e32 v[40:41], v[18:19]
	s_xor_b32 exec_lo, exec_lo, s0
	s_cbranch_execz .LBB86_12
; %bb.16:                               ;   in Loop: Header=BB86_13 Depth=2
	global_load_b64 v[58:59], v[36:37], off
	v_mul_lo_u32 v6, v42, s10
	v_mov_b64_e32 v[40:41], v[44:45]
	s_delay_alu instid0(VALU_DEP_2) | instskip(NEXT) | instid1(VALU_DEP_1)
	v_sub_nc_u32_e32 v6, v33, v6
	v_lshl_add_u32 v6, v6, 3, v47
	ds_store_b8 v46, v56 offset:16384
	s_wait_loadcnt 0x0
	ds_store_b64 v6, v[58:59]
	s_branch .LBB86_12
.LBB86_17:                              ;   in Loop: Header=BB86_10 Depth=1
	s_or_b32 exec_lo, exec_lo, s28
.LBB86_18:                              ;   in Loop: Header=BB86_10 Depth=1
	s_delay_alu instid0(SALU_CYCLE_1)
	s_or_b32 exec_lo, exec_lo, s27
	ds_bpermute_b32 v18, v49, v40
	ds_bpermute_b32 v19, v49, v41
	s_wait_dscnt 0x0
	ds_load_u8 v6, v46 offset:16384
	v_mov_b64_e32 v[36:37], 0
	s_mov_b32 s0, exec_lo
	v_min_i64 v[18:19], v[18:19], v[40:41]
	s_wait_dscnt 0x0
	v_and_b32_e32 v6, 1, v6
	ds_bpermute_b32 v18, v50, v18
	ds_bpermute_b32 v19, v50, v19
	v_cmpx_eq_u32_e32 1, v6
	s_cbranch_execz .LBB86_9
; %bb.19:                               ;   in Loop: Header=BB86_10 Depth=1
	v_mul_u64_e32 v[36:37], s[22:23], v[4:5]
	v_add_nc_u32_e32 v6, s12, v34
	s_delay_alu instid0(VALU_DEP_2) | instskip(NEXT) | instid1(VALU_DEP_1)
	v_lshlrev_b64_e32 v[38:39], 3, v[36:37]
	v_add_nc_u64_e32 v[36:37], v[8:9], v[38:39]
	v_add_nc_u64_e32 v[34:35], v[12:13], v[38:39]
	v_lshl_add_u64 v[38:39], v[4:5], 2, s[14:15]
	global_store_b32 v[38:39], v6, off
	s_wait_xcnt 0x0
	s_and_saveexec_b32 s27, s24
	s_cbranch_execz .LBB86_23
; %bb.20:                               ;   in Loop: Header=BB86_10 Depth=1
	ds_load_b64 v[38:39], v48
	s_and_b32 vcc_lo, exec_lo, s8
	s_cbranch_vccz .LBB86_50
; %bb.21:                               ;   in Loop: Header=BB86_10 Depth=1
	v_lshl_add_u64 v[40:41], v[10:11], 3, v[36:37]
	s_wait_dscnt 0x0
	global_store_b64 v[40:41], v[38:39], off
	s_cbranch_execnz .LBB86_23
.LBB86_22:                              ;   in Loop: Header=BB86_10 Depth=1
	v_mov_b32_e32 v33, v7
	s_wait_xcnt 0x0
	s_delay_alu instid0(VALU_DEP_1)
	v_add_nc_u64_e32 v[40:41], v[34:35], v[32:33]
	s_wait_dscnt 0x0
	global_store_b64 v[40:41], v[38:39], off
.LBB86_23:                              ;   in Loop: Header=BB86_10 Depth=1
	s_wait_xcnt 0x0
	s_or_b32 exec_lo, exec_lo, s27
	s_and_saveexec_b32 s27, s1
	s_cbranch_execz .LBB86_27
; %bb.24:                               ;   in Loop: Header=BB86_10 Depth=1
	s_and_not1_b32 vcc_lo, exec_lo, s8
	s_cbranch_vccnz .LBB86_51
; %bb.25:                               ;   in Loop: Header=BB86_10 Depth=1
	s_wait_dscnt 0x0
	ds_load_b64 v[38:39], v48 offset:16
	v_lshl_add_u64 v[40:41], v[14:15], 3, v[36:37]
	s_wait_dscnt 0x0
	global_store_b64 v[40:41], v[38:39], off
	s_cbranch_execnz .LBB86_27
.LBB86_26:                              ;   in Loop: Header=BB86_10 Depth=1
	s_wait_dscnt 0x0
	s_wait_xcnt 0x0
	ds_load_b64 v[38:39], v48 offset:16
	v_mov_b32_e32 v33, v7
	s_delay_alu instid0(VALU_DEP_1)
	v_add_nc_u64_e32 v[40:41], v[34:35], v[32:33]
	s_wait_dscnt 0x0
	global_store_b64 v[40:41], v[38:39], off offset:16
.LBB86_27:                              ;   in Loop: Header=BB86_10 Depth=1
	s_wait_xcnt 0x0
	s_or_b32 exec_lo, exec_lo, s27
	s_and_saveexec_b32 s27, s2
	s_cbranch_execz .LBB86_31
; %bb.28:                               ;   in Loop: Header=BB86_10 Depth=1
	s_and_not1_b32 vcc_lo, exec_lo, s8
	s_cbranch_vccnz .LBB86_52
; %bb.29:                               ;   in Loop: Header=BB86_10 Depth=1
	s_wait_dscnt 0x0
	ds_load_b64 v[38:39], v48 offset:32
	v_lshl_add_u64 v[40:41], v[16:17], 3, v[36:37]
	s_wait_dscnt 0x0
	global_store_b64 v[40:41], v[38:39], off
	s_cbranch_execnz .LBB86_31
.LBB86_30:                              ;   in Loop: Header=BB86_10 Depth=1
	s_wait_dscnt 0x0
	s_wait_xcnt 0x0
	ds_load_b64 v[38:39], v48 offset:32
	v_mov_b32_e32 v33, v7
	s_delay_alu instid0(VALU_DEP_1)
	v_add_nc_u64_e32 v[40:41], v[34:35], v[32:33]
	s_wait_dscnt 0x0
	global_store_b64 v[40:41], v[38:39], off offset:32
.LBB86_31:                              ;   in Loop: Header=BB86_10 Depth=1
	s_wait_xcnt 0x0
	s_or_b32 exec_lo, exec_lo, s27
	s_and_saveexec_b32 s27, s3
	s_cbranch_execz .LBB86_35
; %bb.32:                               ;   in Loop: Header=BB86_10 Depth=1
	s_and_not1_b32 vcc_lo, exec_lo, s8
	s_cbranch_vccnz .LBB86_53
; %bb.33:                               ;   in Loop: Header=BB86_10 Depth=1
	s_wait_dscnt 0x0
	ds_load_b64 v[38:39], v48 offset:48
	v_lshl_add_u64 v[40:41], v[20:21], 3, v[36:37]
	s_wait_dscnt 0x0
	global_store_b64 v[40:41], v[38:39], off
	s_cbranch_execnz .LBB86_35
.LBB86_34:                              ;   in Loop: Header=BB86_10 Depth=1
	s_wait_dscnt 0x0
	s_wait_xcnt 0x0
	ds_load_b64 v[38:39], v48 offset:48
	v_mov_b32_e32 v33, v7
	s_delay_alu instid0(VALU_DEP_1)
	v_add_nc_u64_e32 v[40:41], v[34:35], v[32:33]
	s_wait_dscnt 0x0
	global_store_b64 v[40:41], v[38:39], off offset:48
.LBB86_35:                              ;   in Loop: Header=BB86_10 Depth=1
	s_wait_xcnt 0x0
	s_or_b32 exec_lo, exec_lo, s27
	s_and_saveexec_b32 s27, s4
	s_cbranch_execz .LBB86_39
; %bb.36:                               ;   in Loop: Header=BB86_10 Depth=1
	s_and_not1_b32 vcc_lo, exec_lo, s8
	s_cbranch_vccnz .LBB86_54
; %bb.37:                               ;   in Loop: Header=BB86_10 Depth=1
	s_wait_dscnt 0x0
	ds_load_b64 v[38:39], v48 offset:64
	v_lshl_add_u64 v[40:41], v[22:23], 3, v[36:37]
	s_wait_dscnt 0x0
	global_store_b64 v[40:41], v[38:39], off
	s_cbranch_execnz .LBB86_39
.LBB86_38:                              ;   in Loop: Header=BB86_10 Depth=1
	s_wait_dscnt 0x0
	s_wait_xcnt 0x0
	ds_load_b64 v[38:39], v48 offset:64
	v_mov_b32_e32 v33, v7
	s_delay_alu instid0(VALU_DEP_1)
	v_add_nc_u64_e32 v[40:41], v[34:35], v[32:33]
	s_wait_dscnt 0x0
	global_store_b64 v[40:41], v[38:39], off offset:64
.LBB86_39:                              ;   in Loop: Header=BB86_10 Depth=1
	s_wait_xcnt 0x0
	s_or_b32 exec_lo, exec_lo, s27
	s_and_saveexec_b32 s27, s5
	s_cbranch_execz .LBB86_43
; %bb.40:                               ;   in Loop: Header=BB86_10 Depth=1
	s_and_not1_b32 vcc_lo, exec_lo, s8
	s_cbranch_vccnz .LBB86_55
; %bb.41:                               ;   in Loop: Header=BB86_10 Depth=1
	s_wait_dscnt 0x0
	ds_load_b64 v[38:39], v48 offset:80
	v_lshl_add_u64 v[40:41], v[24:25], 3, v[36:37]
	s_wait_dscnt 0x0
	global_store_b64 v[40:41], v[38:39], off
	s_cbranch_execnz .LBB86_43
.LBB86_42:                              ;   in Loop: Header=BB86_10 Depth=1
	s_wait_dscnt 0x0
	s_wait_xcnt 0x0
	ds_load_b64 v[38:39], v48 offset:80
	v_mov_b32_e32 v33, v7
	s_delay_alu instid0(VALU_DEP_1)
	v_add_nc_u64_e32 v[40:41], v[34:35], v[32:33]
	s_wait_dscnt 0x0
	global_store_b64 v[40:41], v[38:39], off offset:80
.LBB86_43:                              ;   in Loop: Header=BB86_10 Depth=1
	s_wait_xcnt 0x0
	s_or_b32 exec_lo, exec_lo, s27
	s_and_saveexec_b32 s27, s6
	s_cbranch_execz .LBB86_47
; %bb.44:                               ;   in Loop: Header=BB86_10 Depth=1
	s_and_not1_b32 vcc_lo, exec_lo, s8
	s_cbranch_vccnz .LBB86_56
; %bb.45:                               ;   in Loop: Header=BB86_10 Depth=1
	s_wait_dscnt 0x0
	ds_load_b64 v[38:39], v48 offset:96
	v_lshl_add_u64 v[40:41], v[26:27], 3, v[36:37]
	s_wait_dscnt 0x0
	global_store_b64 v[40:41], v[38:39], off
	s_cbranch_execnz .LBB86_47
.LBB86_46:                              ;   in Loop: Header=BB86_10 Depth=1
	s_wait_dscnt 0x0
	s_wait_xcnt 0x0
	ds_load_b64 v[38:39], v48 offset:96
	v_mov_b32_e32 v33, v7
	s_delay_alu instid0(VALU_DEP_1)
	v_add_nc_u64_e32 v[40:41], v[34:35], v[32:33]
	s_wait_dscnt 0x0
	global_store_b64 v[40:41], v[38:39], off offset:96
.LBB86_47:                              ;   in Loop: Header=BB86_10 Depth=1
	s_wait_xcnt 0x0
	s_or_b32 exec_lo, exec_lo, s27
	s_and_saveexec_b32 s27, s7
	s_cbranch_execz .LBB86_8
; %bb.48:                               ;   in Loop: Header=BB86_10 Depth=1
	s_and_not1_b32 vcc_lo, exec_lo, s8
	s_cbranch_vccnz .LBB86_57
; %bb.49:                               ;   in Loop: Header=BB86_10 Depth=1
	s_wait_dscnt 0x0
	ds_load_b64 v[38:39], v48 offset:112
	v_lshl_add_u64 v[36:37], v[28:29], 3, v[36:37]
	s_wait_dscnt 0x0
	global_store_b64 v[36:37], v[38:39], off
	s_cbranch_execnz .LBB86_8
	s_branch .LBB86_58
.LBB86_50:                              ;   in Loop: Header=BB86_10 Depth=1
	s_branch .LBB86_22
.LBB86_51:                              ;   in Loop: Header=BB86_10 Depth=1
	s_branch .LBB86_26
.LBB86_52:                              ;   in Loop: Header=BB86_10 Depth=1
	s_branch .LBB86_30
.LBB86_53:                              ;   in Loop: Header=BB86_10 Depth=1
	s_branch .LBB86_34
.LBB86_54:                              ;   in Loop: Header=BB86_10 Depth=1
	s_branch .LBB86_38
.LBB86_55:                              ;   in Loop: Header=BB86_10 Depth=1
	s_branch .LBB86_42
.LBB86_56:                              ;   in Loop: Header=BB86_10 Depth=1
	s_branch .LBB86_46
.LBB86_57:                              ;   in Loop: Header=BB86_10 Depth=1
.LBB86_58:                              ;   in Loop: Header=BB86_10 Depth=1
	s_wait_xcnt 0x0
	ds_load_b64 v[36:37], v48 offset:112
	v_mov_b32_e32 v33, v7
	s_delay_alu instid0(VALU_DEP_1)
	v_add_nc_u64_e32 v[34:35], v[34:35], v[32:33]
	s_wait_dscnt 0x0
	global_store_b64 v[34:35], v[36:37], off offset:112
	s_branch .LBB86_8
.LBB86_59:
	s_endpgm
	.section	.rodata,"a",@progbits
	.p2align	6, 0x0
	.amdhsa_kernel _ZN9rocsparseL42csr2bsr_wavefront_per_row_multipass_kernelILj256ELj32ELj16E21rocsparse_complex_numIfEliEEv20rocsparse_direction_T4_S4_S4_S4_S4_21rocsparse_index_base_PKT2_PKT3_PKS4_S5_PS6_PS9_PS4_
		.amdhsa_group_segment_fixed_size 16392
		.amdhsa_private_segment_fixed_size 0
		.amdhsa_kernarg_size 88
		.amdhsa_user_sgpr_count 2
		.amdhsa_user_sgpr_dispatch_ptr 0
		.amdhsa_user_sgpr_queue_ptr 0
		.amdhsa_user_sgpr_kernarg_segment_ptr 1
		.amdhsa_user_sgpr_dispatch_id 0
		.amdhsa_user_sgpr_kernarg_preload_length 0
		.amdhsa_user_sgpr_kernarg_preload_offset 0
		.amdhsa_user_sgpr_private_segment_size 0
		.amdhsa_wavefront_size32 1
		.amdhsa_uses_dynamic_stack 0
		.amdhsa_enable_private_segment 0
		.amdhsa_system_sgpr_workgroup_id_x 1
		.amdhsa_system_sgpr_workgroup_id_y 0
		.amdhsa_system_sgpr_workgroup_id_z 0
		.amdhsa_system_sgpr_workgroup_info 0
		.amdhsa_system_vgpr_workitem_id 0
		.amdhsa_next_free_vgpr 60
		.amdhsa_next_free_sgpr 30
		.amdhsa_named_barrier_count 0
		.amdhsa_reserve_vcc 1
		.amdhsa_float_round_mode_32 0
		.amdhsa_float_round_mode_16_64 0
		.amdhsa_float_denorm_mode_32 3
		.amdhsa_float_denorm_mode_16_64 3
		.amdhsa_fp16_overflow 0
		.amdhsa_memory_ordered 1
		.amdhsa_forward_progress 1
		.amdhsa_inst_pref_size 20
		.amdhsa_round_robin_scheduling 0
		.amdhsa_exception_fp_ieee_invalid_op 0
		.amdhsa_exception_fp_denorm_src 0
		.amdhsa_exception_fp_ieee_div_zero 0
		.amdhsa_exception_fp_ieee_overflow 0
		.amdhsa_exception_fp_ieee_underflow 0
		.amdhsa_exception_fp_ieee_inexact 0
		.amdhsa_exception_int_div_zero 0
	.end_amdhsa_kernel
	.section	.text._ZN9rocsparseL42csr2bsr_wavefront_per_row_multipass_kernelILj256ELj32ELj16E21rocsparse_complex_numIfEliEEv20rocsparse_direction_T4_S4_S4_S4_S4_21rocsparse_index_base_PKT2_PKT3_PKS4_S5_PS6_PS9_PS4_,"axG",@progbits,_ZN9rocsparseL42csr2bsr_wavefront_per_row_multipass_kernelILj256ELj32ELj16E21rocsparse_complex_numIfEliEEv20rocsparse_direction_T4_S4_S4_S4_S4_21rocsparse_index_base_PKT2_PKT3_PKS4_S5_PS6_PS9_PS4_,comdat
.Lfunc_end86:
	.size	_ZN9rocsparseL42csr2bsr_wavefront_per_row_multipass_kernelILj256ELj32ELj16E21rocsparse_complex_numIfEliEEv20rocsparse_direction_T4_S4_S4_S4_S4_21rocsparse_index_base_PKT2_PKT3_PKS4_S5_PS6_PS9_PS4_, .Lfunc_end86-_ZN9rocsparseL42csr2bsr_wavefront_per_row_multipass_kernelILj256ELj32ELj16E21rocsparse_complex_numIfEliEEv20rocsparse_direction_T4_S4_S4_S4_S4_21rocsparse_index_base_PKT2_PKT3_PKS4_S5_PS6_PS9_PS4_
                                        ; -- End function
	.set _ZN9rocsparseL42csr2bsr_wavefront_per_row_multipass_kernelILj256ELj32ELj16E21rocsparse_complex_numIfEliEEv20rocsparse_direction_T4_S4_S4_S4_S4_21rocsparse_index_base_PKT2_PKT3_PKS4_S5_PS6_PS9_PS4_.num_vgpr, 60
	.set _ZN9rocsparseL42csr2bsr_wavefront_per_row_multipass_kernelILj256ELj32ELj16E21rocsparse_complex_numIfEliEEv20rocsparse_direction_T4_S4_S4_S4_S4_21rocsparse_index_base_PKT2_PKT3_PKS4_S5_PS6_PS9_PS4_.num_agpr, 0
	.set _ZN9rocsparseL42csr2bsr_wavefront_per_row_multipass_kernelILj256ELj32ELj16E21rocsparse_complex_numIfEliEEv20rocsparse_direction_T4_S4_S4_S4_S4_21rocsparse_index_base_PKT2_PKT3_PKS4_S5_PS6_PS9_PS4_.numbered_sgpr, 30
	.set _ZN9rocsparseL42csr2bsr_wavefront_per_row_multipass_kernelILj256ELj32ELj16E21rocsparse_complex_numIfEliEEv20rocsparse_direction_T4_S4_S4_S4_S4_21rocsparse_index_base_PKT2_PKT3_PKS4_S5_PS6_PS9_PS4_.num_named_barrier, 0
	.set _ZN9rocsparseL42csr2bsr_wavefront_per_row_multipass_kernelILj256ELj32ELj16E21rocsparse_complex_numIfEliEEv20rocsparse_direction_T4_S4_S4_S4_S4_21rocsparse_index_base_PKT2_PKT3_PKS4_S5_PS6_PS9_PS4_.private_seg_size, 0
	.set _ZN9rocsparseL42csr2bsr_wavefront_per_row_multipass_kernelILj256ELj32ELj16E21rocsparse_complex_numIfEliEEv20rocsparse_direction_T4_S4_S4_S4_S4_21rocsparse_index_base_PKT2_PKT3_PKS4_S5_PS6_PS9_PS4_.uses_vcc, 1
	.set _ZN9rocsparseL42csr2bsr_wavefront_per_row_multipass_kernelILj256ELj32ELj16E21rocsparse_complex_numIfEliEEv20rocsparse_direction_T4_S4_S4_S4_S4_21rocsparse_index_base_PKT2_PKT3_PKS4_S5_PS6_PS9_PS4_.uses_flat_scratch, 0
	.set _ZN9rocsparseL42csr2bsr_wavefront_per_row_multipass_kernelILj256ELj32ELj16E21rocsparse_complex_numIfEliEEv20rocsparse_direction_T4_S4_S4_S4_S4_21rocsparse_index_base_PKT2_PKT3_PKS4_S5_PS6_PS9_PS4_.has_dyn_sized_stack, 0
	.set _ZN9rocsparseL42csr2bsr_wavefront_per_row_multipass_kernelILj256ELj32ELj16E21rocsparse_complex_numIfEliEEv20rocsparse_direction_T4_S4_S4_S4_S4_21rocsparse_index_base_PKT2_PKT3_PKS4_S5_PS6_PS9_PS4_.has_recursion, 0
	.set _ZN9rocsparseL42csr2bsr_wavefront_per_row_multipass_kernelILj256ELj32ELj16E21rocsparse_complex_numIfEliEEv20rocsparse_direction_T4_S4_S4_S4_S4_21rocsparse_index_base_PKT2_PKT3_PKS4_S5_PS6_PS9_PS4_.has_indirect_call, 0
	.section	.AMDGPU.csdata,"",@progbits
; Kernel info:
; codeLenInByte = 2440
; TotalNumSgprs: 32
; NumVgprs: 60
; ScratchSize: 0
; MemoryBound: 0
; FloatMode: 240
; IeeeMode: 1
; LDSByteSize: 16392 bytes/workgroup (compile time only)
; SGPRBlocks: 0
; VGPRBlocks: 3
; NumSGPRsForWavesPerEU: 32
; NumVGPRsForWavesPerEU: 60
; NamedBarCnt: 0
; Occupancy: 16
; WaveLimiterHint : 0
; COMPUTE_PGM_RSRC2:SCRATCH_EN: 0
; COMPUTE_PGM_RSRC2:USER_SGPR: 2
; COMPUTE_PGM_RSRC2:TRAP_HANDLER: 0
; COMPUTE_PGM_RSRC2:TGID_X_EN: 1
; COMPUTE_PGM_RSRC2:TGID_Y_EN: 0
; COMPUTE_PGM_RSRC2:TGID_Z_EN: 0
; COMPUTE_PGM_RSRC2:TIDIG_COMP_CNT: 0
	.section	.text._ZN9rocsparseL38csr2bsr_block_per_row_multipass_kernelILj256ELj32E21rocsparse_complex_numIfEliEEv20rocsparse_direction_T3_S4_S4_S4_S4_21rocsparse_index_base_PKT1_PKT2_PKS4_S5_PS6_PS9_PS4_,"axG",@progbits,_ZN9rocsparseL38csr2bsr_block_per_row_multipass_kernelILj256ELj32E21rocsparse_complex_numIfEliEEv20rocsparse_direction_T3_S4_S4_S4_S4_21rocsparse_index_base_PKT1_PKT2_PKS4_S5_PS6_PS9_PS4_,comdat
	.globl	_ZN9rocsparseL38csr2bsr_block_per_row_multipass_kernelILj256ELj32E21rocsparse_complex_numIfEliEEv20rocsparse_direction_T3_S4_S4_S4_S4_21rocsparse_index_base_PKT1_PKT2_PKS4_S5_PS6_PS9_PS4_ ; -- Begin function _ZN9rocsparseL38csr2bsr_block_per_row_multipass_kernelILj256ELj32E21rocsparse_complex_numIfEliEEv20rocsparse_direction_T3_S4_S4_S4_S4_21rocsparse_index_base_PKT1_PKT2_PKS4_S5_PS6_PS9_PS4_
	.p2align	8
	.type	_ZN9rocsparseL38csr2bsr_block_per_row_multipass_kernelILj256ELj32E21rocsparse_complex_numIfEliEEv20rocsparse_direction_T3_S4_S4_S4_S4_21rocsparse_index_base_PKT1_PKT2_PKS4_S5_PS6_PS9_PS4_,@function
_ZN9rocsparseL38csr2bsr_block_per_row_multipass_kernelILj256ELj32E21rocsparse_complex_numIfEliEEv20rocsparse_direction_T3_S4_S4_S4_S4_21rocsparse_index_base_PKT1_PKT2_PKS4_S5_PS6_PS9_PS4_: ; @_ZN9rocsparseL38csr2bsr_block_per_row_multipass_kernelILj256ELj32E21rocsparse_complex_numIfEliEEv20rocsparse_direction_T3_S4_S4_S4_S4_21rocsparse_index_base_PKT1_PKT2_PKS4_S5_PS6_PS9_PS4_
; %bb.0:
	s_clause 0x1
	s_load_b96 s[12:14], s[0:1], 0x10
	s_load_b64 s[4:5], s[0:1], 0x0
	s_bfe_u32 s2, ttmp6, 0x4000c
	s_and_b32 s3, ttmp6, 15
	s_add_co_i32 s2, s2, 1
	s_getreg_b32 s6, hwreg(HW_REG_IB_STS2, 6, 4)
	s_mul_i32 s2, ttmp9, s2
	v_lshrrev_b32_e32 v1, 3, v0
	s_add_co_i32 s3, s3, s2
	s_cmp_eq_u32 s6, 0
	s_load_b64 s[8:9], s[0:1], 0x28
	s_cselect_b32 s6, ttmp9, s3
	v_mov_b64_e32 v[2:3], 0
	v_mov_b64_e32 v[18:19], 0
	s_mov_b32 s3, 0
	s_wait_kmcnt 0x0
	v_mad_u32 v4, s13, s6, v1
	v_cmp_gt_i32_e32 vcc_lo, s13, v1
	s_delay_alu instid0(VALU_DEP_2) | instskip(SKIP_1) | instid1(SALU_CYCLE_1)
	v_cmp_gt_i32_e64 s2, s5, v4
	s_and_b32 s5, vcc_lo, s2
	s_and_saveexec_b32 s7, s5
	s_cbranch_execnz .LBB87_3
; %bb.1:
	s_or_b32 exec_lo, exec_lo, s7
	s_and_saveexec_b32 s2, s5
	s_cbranch_execnz .LBB87_4
.LBB87_2:
	s_or_b32 exec_lo, exec_lo, s2
	s_cmp_lt_i32 s12, 1
	s_cbranch_scc0 .LBB87_5
	s_branch .LBB87_53
.LBB87_3:
	global_load_b64 v[6:7], v4, s[8:9] scale_offset
	s_mov_b32 s2, s14
	s_wait_loadcnt 0x0
	v_sub_nc_u64_e64 v[18:19], v[6:7], s[2:3]
	s_or_b32 exec_lo, exec_lo, s7
	s_and_saveexec_b32 s2, s5
	s_cbranch_execz .LBB87_2
.LBB87_4:
	global_load_b64 v[2:3], v4, s[8:9] offset:8 scale_offset
	s_wait_xcnt 0x0
	s_mov_b32 s9, 0
	s_mov_b32 s8, s14
	s_wait_loadcnt 0x0
	v_sub_nc_u64_e64 v[2:3], v[2:3], s[8:9]
	s_or_b32 exec_lo, exec_lo, s2
	s_cmp_lt_i32 s12, 1
	s_cbranch_scc1 .LBB87_53
.LBB87_5:
	s_clause 0x3
	s_load_b128 s[8:11], s[0:1], 0x40
	s_load_b64 s[20:21], s[0:1], 0x50
	s_load_b64 s[22:23], s[0:1], 0x20
	s_load_b96 s[16:18], s[0:1], 0x30
	s_ashr_i32 s7, s6, 31
	v_dual_lshlrev_b32 v34, 8, v1 :: v_dual_bitop2_b32 v4, 7, v0 bitop3:0x40
	v_mbcnt_lo_u32_b32 v10, -1, 0
	s_lshl_b64 s[6:7], s[6:7], 3
	s_cmp_lg_u32 s4, 0
	s_delay_alu instid0(VALU_DEP_2) | instskip(NEXT) | instid1(VALU_DEP_2)
	v_dual_mov_b32 v7, 0 :: v_dual_lshlrev_b32 v20, 3, v4
	v_dual_lshlrev_b32 v6, 3, v1 :: v_dual_bitop2_b32 v11, 4, v10 bitop3:0x14
	s_mov_b32 s25, 0
	s_cselect_b32 s15, -1, 0
	s_abs_i32 s19, s13
	v_lshl_or_b32 v36, v10, 2, 28
	v_dual_mov_b32 v17, v7 :: v_dual_bitop2_b32 v14, 24, v4 bitop3:0x54
	s_wait_kmcnt 0x0
	s_add_nc_u64 s[4:5], s[10:11], s[6:7]
	v_add_nc_u64_e32 v[8:9], s[8:9], v[6:7]
	s_load_b64 s[6:7], s[4:5], 0x0
	s_wait_xcnt 0x0
	v_cmp_gt_i32_e64 s4, 32, v11
	v_xor_b32_e32 v12, 2, v10
	v_mul_lo_u32 v6, s13, v1
	s_mov_b32 s24, s18
	v_dual_lshlrev_b32 v35, 2, v0 :: v_dual_mov_b32 v5, v7
	v_cndmask_b32_e64 v1, v10, v11, s4
	v_cmp_gt_i32_e64 s4, 32, v12
	v_dual_mov_b32 v15, v7 :: v_dual_bitop2_b32 v13, 1, v10 bitop3:0x14
	v_cmp_gt_u32_e64 s0, 0x80, v0
	v_cmp_gt_u32_e64 s1, 64, v0
	s_delay_alu instid0(VALU_DEP_4) | instskip(NEXT) | instid1(VALU_DEP_4)
	v_cndmask_b32_e64 v11, v10, v12, s4
	v_cmp_gt_i32_e64 s4, 32, v13
	v_dual_mov_b32 v21, v7 :: v_dual_lshlrev_b32 v37, 2, v1
	s_delay_alu instid0(VALU_DEP_3) | instskip(NEXT) | instid1(VALU_DEP_3)
	v_dual_lshlrev_b32 v38, 2, v11 :: v_dual_bitop2_b32 v1, 8, v4 bitop3:0x54
	v_cndmask_b32_e64 v12, v10, v13, s4
	s_wait_kmcnt 0x0
	s_sub_nc_u64 s[10:11], s[6:7], s[24:25]
	s_mov_b32 s24, s13
	v_lshl_add_u64 v[10:11], v[6:7], 3, s[8:9]
	s_mul_u64 s[26:27], s[24:25], s[24:25]
	s_cvt_f32_u32 s24, s19
	v_dual_lshlrev_b32 v39, 2, v12 :: v_dual_mov_b32 v13, v7
	v_mul_lo_u32 v12, v4, s13
	v_cmp_gt_u32_e64 s9, s13, v1
	v_rcp_iflag_f32_e32 v1, s24
	v_cmp_gt_u32_e64 s8, s13, v4
	v_or_b32_e32 v6, 16, v4
	s_lshl_b32 s24, s13, 3
	v_cmp_gt_u32_e64 s2, 32, v0
	v_cmp_gt_u32_e64 s3, 16, v0
	v_cmp_gt_u32_e64 s4, 8, v0
	v_readfirstlane_b32 s30, v1
	v_cmp_gt_u32_e64 s5, 4, v0
	v_cmp_gt_u32_e64 s6, 2, v0
	v_cmp_eq_u32_e64 s7, 0, v0
	s_and_b32 s28, vcc_lo, s8
	v_dual_mov_b32 v1, v7 :: v_dual_add_nc_u32 v0, s24, v12
	v_cmp_gt_u32_e64 s8, s13, v6
	s_mul_f32 s33, s30, 0x4f7ffffe
	s_and_b32 s29, vcc_lo, s9
	v_cmp_gt_u32_e64 s9, s13, v14
	v_dual_add_nc_u32 v14, s24, v0 :: v_dual_add_nc_u32 v40, v20, v34
	s_and_b32 s30, vcc_lo, s8
	s_cvt_u32_f32 s8, s33
	s_and_b32 s31, vcc_lo, s9
	s_sub_co_i32 s9, 0, s19
	v_add_nc_u64_e32 v[10:11], v[10:11], v[20:21]
	v_mov_b64_e32 v[22:23], 0
	v_mov_b64_e32 v[20:21], 0
	s_mul_i32 s9, s9, s8
	v_dual_mov_b32 v41, 1 :: v_dual_add_nc_u32 v16, s24, v14
	s_mul_hi_u32 s9, s8, s9
	s_ashr_i32 s33, s13, 31
	s_add_co_i32 s24, s8, s9
	s_branch .LBB87_7
.LBB87_6:                               ;   in Loop: Header=BB87_7 Depth=1
	s_or_b32 exec_lo, exec_lo, s34
	s_wait_dscnt 0x0
	s_barrier_signal -1
	s_barrier_wait -1
	ds_load_b32 v22, v7
	s_add_nc_u64 s[10:11], s[8:9], s[10:11]
	s_wait_dscnt 0x0
	s_barrier_signal -1
	s_barrier_wait -1
	v_cmp_gt_i32_e32 vcc_lo, s12, v22
	v_ashrrev_i32_e32 v23, 31, v22
	s_cbranch_vccz .LBB87_53
.LBB87_7:                               ; =>This Loop Header: Depth=1
                                        ;     Child Loop BB87_10 Depth 2
	v_add_nc_u64_e32 v[18:19], v[18:19], v[4:5]
	v_mov_b64_e32 v[28:29], v[2:3]
	v_mov_b32_e32 v42, s12
	s_mov_b32 s9, exec_lo
	ds_store_b8 v7, v7 offset:8192
	ds_store_2addr_b64 v40, v[20:21], v[20:21] offset1:8
	ds_store_2addr_b64 v40, v[20:21], v[20:21] offset0:16 offset1:24
	s_wait_dscnt 0x0
	s_barrier_signal -1
	s_barrier_wait -1
	v_cmpx_lt_i64_e64 v[18:19], v[2:3]
	s_cbranch_execz .LBB87_15
; %bb.8:                                ;   in Loop: Header=BB87_7 Depth=1
	v_mov_b64_e32 v[28:29], v[2:3]
	v_lshl_add_u64 v[24:25], v[18:19], 3, s[22:23]
	v_lshl_add_u64 v[26:27], v[18:19], 2, s[16:17]
	v_mov_b32_e32 v42, s12
	s_mov_b32 s34, 0
	s_branch .LBB87_10
.LBB87_9:                               ;   in Loop: Header=BB87_10 Depth=2
	s_wait_xcnt 0x0
	s_or_b32 exec_lo, exec_lo, s8
	v_add_nc_u64_e32 v[18:19], 8, v[18:19]
	s_xor_b32 s35, vcc_lo, -1
	v_add_nc_u64_e32 v[24:25], 64, v[24:25]
	v_add_nc_u64_e32 v[26:27], 32, v[26:27]
	s_delay_alu instid0(VALU_DEP_3) | instskip(SKIP_1) | instid1(SALU_CYCLE_1)
	v_cmp_ge_i64_e64 s8, v[18:19], v[2:3]
	s_or_b32 s8, s35, s8
	s_and_b32 s8, exec_lo, s8
	s_delay_alu instid0(SALU_CYCLE_1) | instskip(NEXT) | instid1(SALU_CYCLE_1)
	s_or_b32 s34, s8, s34
	s_and_not1_b32 exec_lo, exec_lo, s34
	s_cbranch_execz .LBB87_14
.LBB87_10:                              ;   Parent Loop BB87_7 Depth=1
                                        ; =>  This Inner Loop Header: Depth=2
	global_load_b32 v6, v[26:27], off
	s_wait_loadcnt 0x0
	v_subrev_nc_u32_e32 v43, s14, v6
	s_delay_alu instid0(VALU_DEP_1) | instskip(NEXT) | instid1(VALU_DEP_1)
	v_sub_nc_u32_e32 v6, 0, v43
	v_max_i32_e32 v6, v43, v6
	s_delay_alu instid0(VALU_DEP_1) | instskip(NEXT) | instid1(VALU_DEP_1)
	v_mul_u64_e32 v[30:31], s[24:25], v[6:7]
	v_mul_lo_u32 v30, v31, s19
	s_delay_alu instid0(VALU_DEP_1) | instskip(NEXT) | instid1(VALU_DEP_1)
	v_dual_sub_nc_u32 v6, v6, v30 :: v_dual_add_nc_u32 v30, 1, v31
	v_cmp_le_u32_e32 vcc_lo, s19, v6
	s_delay_alu instid0(VALU_DEP_2) | instskip(SKIP_1) | instid1(VALU_DEP_1)
	v_dual_cndmask_b32 v30, v31, v30 :: v_dual_ashrrev_i32 v31, 31, v43
	v_subrev_nc_u32_e32 v32, s19, v6
	v_dual_cndmask_b32 v6, v6, v32, vcc_lo :: v_dual_add_nc_u32 v32, 1, v30
	s_delay_alu instid0(VALU_DEP_1) | instskip(NEXT) | instid1(VALU_DEP_2)
	v_cmp_le_u32_e32 vcc_lo, s19, v6
	v_dual_cndmask_b32 v6, v30, v32, vcc_lo :: v_dual_bitop2_b32 v31, s33, v31 bitop3:0x14
	v_mov_b64_e32 v[32:33], v[28:29]
	s_delay_alu instid0(VALU_DEP_2) | instskip(NEXT) | instid1(VALU_DEP_1)
	v_xor_b32_e32 v6, v6, v31
	v_sub_nc_u32_e32 v30, v6, v31
	s_delay_alu instid0(VALU_DEP_1) | instskip(NEXT) | instid1(VALU_DEP_1)
	v_ashrrev_i32_e32 v31, 31, v30
	v_cmp_ne_u64_e64 s8, v[22:23], v[30:31]
	v_cmp_eq_u64_e32 vcc_lo, v[22:23], v[30:31]
	s_wait_xcnt 0x0
	s_and_saveexec_b32 s35, s8
	s_delay_alu instid0(SALU_CYCLE_1)
	s_xor_b32 s8, exec_lo, s35
; %bb.11:                               ;   in Loop: Header=BB87_10 Depth=2
	v_min_i32_e32 v42, v30, v42
                                        ; implicit-def: $vgpr30
                                        ; implicit-def: $vgpr43
                                        ; implicit-def: $vgpr32_vgpr33
; %bb.12:                               ;   in Loop: Header=BB87_10 Depth=2
	s_or_saveexec_b32 s8, s8
	v_mov_b64_e32 v[28:29], v[18:19]
	s_xor_b32 exec_lo, exec_lo, s8
	s_cbranch_execz .LBB87_9
; %bb.13:                               ;   in Loop: Header=BB87_10 Depth=2
	global_load_b64 v[44:45], v[24:25], off
	v_mul_lo_u32 v6, v30, s13
	v_mov_b64_e32 v[28:29], v[32:33]
	s_delay_alu instid0(VALU_DEP_2) | instskip(NEXT) | instid1(VALU_DEP_1)
	v_sub_nc_u32_e32 v6, v43, v6
	v_lshl_add_u32 v6, v6, 3, v34
	ds_store_b8 v7, v41 offset:8192
	s_wait_loadcnt 0x0
	ds_store_b64 v6, v[44:45]
	s_branch .LBB87_9
.LBB87_14:                              ;   in Loop: Header=BB87_7 Depth=1
	s_or_b32 exec_lo, exec_lo, s34
.LBB87_15:                              ;   in Loop: Header=BB87_7 Depth=1
	s_delay_alu instid0(SALU_CYCLE_1)
	s_or_b32 exec_lo, exec_lo, s9
	ds_bpermute_b32 v18, v37, v28
	ds_bpermute_b32 v19, v37, v29
	s_wait_dscnt 0x0
	s_barrier_signal -1
	s_barrier_wait -1
	ds_load_u8 v6, v7 offset:8192
	s_mov_b64 s[8:9], 0
	v_min_i64 v[18:19], v[18:19], v[28:29]
	s_wait_dscnt 0x0
	v_and_b32_e32 v6, 1, v6
	s_delay_alu instid0(VALU_DEP_1)
	v_cmp_eq_u32_e32 vcc_lo, 0, v6
	s_and_b32 vcc_lo, exec_lo, vcc_lo
	ds_bpermute_b32 v24, v38, v18
	ds_bpermute_b32 v25, v38, v19
	s_wait_dscnt 0x0
	v_min_i64 v[18:19], v[24:25], v[18:19]
	ds_bpermute_b32 v24, v39, v18
	ds_bpermute_b32 v25, v39, v19
	s_wait_dscnt 0x0
	v_min_i64 v[18:19], v[24:25], v[18:19]
	ds_bpermute_b32 v18, v36, v18
	ds_bpermute_b32 v19, v36, v19
	s_cbranch_vccnz .LBB87_33
; %bb.16:                               ;   in Loop: Header=BB87_7 Depth=1
	s_mul_u64 s[8:9], s[26:27], s[10:11]
	v_add_nc_u32_e32 v6, s18, v22
	s_lshl_b64 s[8:9], s[8:9], 3
	s_delay_alu instid0(SALU_CYCLE_1) | instskip(SKIP_2) | instid1(SALU_CYCLE_1)
	v_add_nc_u64_e32 v[26:27], s[8:9], v[8:9]
	v_add_nc_u64_e32 v[24:25], s[8:9], v[10:11]
	s_lshl_b64 s[8:9], s[10:11], 2
	s_add_nc_u64 s[8:9], s[20:21], s[8:9]
	global_store_b32 v7, v6, s[8:9]
	s_wait_xcnt 0x0
	s_and_saveexec_b32 s8, s28
	s_cbranch_execz .LBB87_20
; %bb.17:                               ;   in Loop: Header=BB87_7 Depth=1
	s_and_b32 vcc_lo, exec_lo, s15
	s_cbranch_vccz .LBB87_49
; %bb.18:                               ;   in Loop: Header=BB87_7 Depth=1
	ds_load_b64 v[22:23], v40
	v_lshl_add_u64 v[28:29], v[12:13], 3, v[26:27]
	s_wait_dscnt 0x0
	global_store_b64 v[28:29], v[22:23], off
	s_cbranch_execnz .LBB87_20
.LBB87_19:                              ;   in Loop: Header=BB87_7 Depth=1
	s_wait_xcnt 0x0
	ds_load_b64 v[22:23], v40
	s_wait_dscnt 0x0
	global_store_b64 v[24:25], v[22:23], off
.LBB87_20:                              ;   in Loop: Header=BB87_7 Depth=1
	s_wait_xcnt 0x0
	s_or_b32 exec_lo, exec_lo, s8
	s_and_saveexec_b32 s8, s29
	s_cbranch_execz .LBB87_24
; %bb.21:                               ;   in Loop: Header=BB87_7 Depth=1
	ds_load_b64 v[22:23], v40 offset:64
	s_and_not1_b32 vcc_lo, exec_lo, s15
	s_cbranch_vccnz .LBB87_50
; %bb.22:                               ;   in Loop: Header=BB87_7 Depth=1
	v_lshl_add_u64 v[28:29], v[0:1], 3, v[26:27]
	s_wait_dscnt 0x0
	global_store_b64 v[28:29], v[22:23], off
	s_cbranch_execnz .LBB87_24
.LBB87_23:                              ;   in Loop: Header=BB87_7 Depth=1
	s_wait_dscnt 0x0
	global_store_b64 v[24:25], v[22:23], off offset:64
.LBB87_24:                              ;   in Loop: Header=BB87_7 Depth=1
	s_wait_xcnt 0x0
	s_or_b32 exec_lo, exec_lo, s8
	s_and_saveexec_b32 s8, s30
	s_cbranch_execz .LBB87_28
; %bb.25:                               ;   in Loop: Header=BB87_7 Depth=1
	s_wait_dscnt 0x0
	ds_load_b64 v[22:23], v40 offset:128
	s_and_not1_b32 vcc_lo, exec_lo, s15
	s_cbranch_vccnz .LBB87_51
; %bb.26:                               ;   in Loop: Header=BB87_7 Depth=1
	v_lshl_add_u64 v[28:29], v[14:15], 3, v[26:27]
	s_wait_dscnt 0x0
	global_store_b64 v[28:29], v[22:23], off
	s_cbranch_execnz .LBB87_28
.LBB87_27:                              ;   in Loop: Header=BB87_7 Depth=1
	s_wait_dscnt 0x0
	global_store_b64 v[24:25], v[22:23], off offset:128
.LBB87_28:                              ;   in Loop: Header=BB87_7 Depth=1
	s_wait_xcnt 0x0
	s_or_b32 exec_lo, exec_lo, s8
	s_and_saveexec_b32 s8, s31
	s_cbranch_execz .LBB87_32
; %bb.29:                               ;   in Loop: Header=BB87_7 Depth=1
	s_wait_dscnt 0x0
	ds_load_b64 v[22:23], v40 offset:192
	s_and_not1_b32 vcc_lo, exec_lo, s15
	s_cbranch_vccnz .LBB87_52
; %bb.30:                               ;   in Loop: Header=BB87_7 Depth=1
	v_lshl_add_u64 v[26:27], v[16:17], 3, v[26:27]
	s_wait_dscnt 0x0
	global_store_b64 v[26:27], v[22:23], off
	s_cbranch_execnz .LBB87_32
.LBB87_31:                              ;   in Loop: Header=BB87_7 Depth=1
	s_wait_dscnt 0x0
	global_store_b64 v[24:25], v[22:23], off offset:192
.LBB87_32:                              ;   in Loop: Header=BB87_7 Depth=1
	s_wait_xcnt 0x0
	s_or_b32 exec_lo, exec_lo, s8
	s_mov_b64 s[8:9], 1
.LBB87_33:                              ;   in Loop: Header=BB87_7 Depth=1
	s_wait_storecnt_dscnt 0x0
	s_barrier_signal -1
	s_barrier_wait -1
	ds_store_b32 v35, v42
	s_wait_dscnt 0x0
	s_barrier_signal -1
	s_barrier_wait -1
	s_and_saveexec_b32 s34, s0
	s_cbranch_execz .LBB87_35
; %bb.34:                               ;   in Loop: Header=BB87_7 Depth=1
	ds_load_2addr_stride64_b32 v[22:23], v35 offset1:2
	s_wait_dscnt 0x0
	v_min_i32_e32 v6, v23, v22
	ds_store_b32 v35, v6
.LBB87_35:                              ;   in Loop: Header=BB87_7 Depth=1
	s_or_b32 exec_lo, exec_lo, s34
	s_wait_dscnt 0x0
	s_barrier_signal -1
	s_barrier_wait -1
	s_and_saveexec_b32 s34, s1
	s_cbranch_execz .LBB87_37
; %bb.36:                               ;   in Loop: Header=BB87_7 Depth=1
	ds_load_2addr_stride64_b32 v[22:23], v35 offset1:1
	s_wait_dscnt 0x0
	v_min_i32_e32 v6, v23, v22
	ds_store_b32 v35, v6
.LBB87_37:                              ;   in Loop: Header=BB87_7 Depth=1
	s_or_b32 exec_lo, exec_lo, s34
	s_wait_dscnt 0x0
	s_barrier_signal -1
	s_barrier_wait -1
	s_and_saveexec_b32 s34, s2
	s_cbranch_execz .LBB87_39
; %bb.38:                               ;   in Loop: Header=BB87_7 Depth=1
	ds_load_2addr_b32 v[22:23], v35 offset1:32
	s_wait_dscnt 0x0
	v_min_i32_e32 v6, v23, v22
	ds_store_b32 v35, v6
.LBB87_39:                              ;   in Loop: Header=BB87_7 Depth=1
	s_or_b32 exec_lo, exec_lo, s34
	s_wait_dscnt 0x0
	s_barrier_signal -1
	s_barrier_wait -1
	s_and_saveexec_b32 s34, s3
	s_cbranch_execz .LBB87_41
; %bb.40:                               ;   in Loop: Header=BB87_7 Depth=1
	ds_load_2addr_b32 v[22:23], v35 offset1:16
	s_wait_dscnt 0x0
	v_min_i32_e32 v6, v23, v22
	ds_store_b32 v35, v6
.LBB87_41:                              ;   in Loop: Header=BB87_7 Depth=1
	;; [unrolled: 12-line block ×5, first 2 shown]
	s_or_b32 exec_lo, exec_lo, s34
	s_wait_dscnt 0x0
	s_barrier_signal -1
	s_barrier_wait -1
	s_and_saveexec_b32 s34, s7
	s_cbranch_execz .LBB87_6
; %bb.48:                               ;   in Loop: Header=BB87_7 Depth=1
	ds_load_b64 v[22:23], v7
	s_wait_dscnt 0x0
	v_min_i32_e32 v6, v23, v22
	ds_store_b32 v7, v6
	s_branch .LBB87_6
.LBB87_49:                              ;   in Loop: Header=BB87_7 Depth=1
	s_branch .LBB87_19
.LBB87_50:                              ;   in Loop: Header=BB87_7 Depth=1
	s_branch .LBB87_23
.LBB87_51:                              ;   in Loop: Header=BB87_7 Depth=1
	s_branch .LBB87_27
.LBB87_52:                              ;   in Loop: Header=BB87_7 Depth=1
	s_branch .LBB87_31
.LBB87_53:
	s_endpgm
	.section	.rodata,"a",@progbits
	.p2align	6, 0x0
	.amdhsa_kernel _ZN9rocsparseL38csr2bsr_block_per_row_multipass_kernelILj256ELj32E21rocsparse_complex_numIfEliEEv20rocsparse_direction_T3_S4_S4_S4_S4_21rocsparse_index_base_PKT1_PKT2_PKS4_S5_PS6_PS9_PS4_
		.amdhsa_group_segment_fixed_size 8196
		.amdhsa_private_segment_fixed_size 0
		.amdhsa_kernarg_size 88
		.amdhsa_user_sgpr_count 2
		.amdhsa_user_sgpr_dispatch_ptr 0
		.amdhsa_user_sgpr_queue_ptr 0
		.amdhsa_user_sgpr_kernarg_segment_ptr 1
		.amdhsa_user_sgpr_dispatch_id 0
		.amdhsa_user_sgpr_kernarg_preload_length 0
		.amdhsa_user_sgpr_kernarg_preload_offset 0
		.amdhsa_user_sgpr_private_segment_size 0
		.amdhsa_wavefront_size32 1
		.amdhsa_uses_dynamic_stack 0
		.amdhsa_enable_private_segment 0
		.amdhsa_system_sgpr_workgroup_id_x 1
		.amdhsa_system_sgpr_workgroup_id_y 0
		.amdhsa_system_sgpr_workgroup_id_z 0
		.amdhsa_system_sgpr_workgroup_info 0
		.amdhsa_system_vgpr_workitem_id 0
		.amdhsa_next_free_vgpr 46
		.amdhsa_next_free_sgpr 36
		.amdhsa_named_barrier_count 0
		.amdhsa_reserve_vcc 1
		.amdhsa_float_round_mode_32 0
		.amdhsa_float_round_mode_16_64 0
		.amdhsa_float_denorm_mode_32 3
		.amdhsa_float_denorm_mode_16_64 3
		.amdhsa_fp16_overflow 0
		.amdhsa_memory_ordered 1
		.amdhsa_forward_progress 1
		.amdhsa_inst_pref_size 17
		.amdhsa_round_robin_scheduling 0
		.amdhsa_exception_fp_ieee_invalid_op 0
		.amdhsa_exception_fp_denorm_src 0
		.amdhsa_exception_fp_ieee_div_zero 0
		.amdhsa_exception_fp_ieee_overflow 0
		.amdhsa_exception_fp_ieee_underflow 0
		.amdhsa_exception_fp_ieee_inexact 0
		.amdhsa_exception_int_div_zero 0
	.end_amdhsa_kernel
	.section	.text._ZN9rocsparseL38csr2bsr_block_per_row_multipass_kernelILj256ELj32E21rocsparse_complex_numIfEliEEv20rocsparse_direction_T3_S4_S4_S4_S4_21rocsparse_index_base_PKT1_PKT2_PKS4_S5_PS6_PS9_PS4_,"axG",@progbits,_ZN9rocsparseL38csr2bsr_block_per_row_multipass_kernelILj256ELj32E21rocsparse_complex_numIfEliEEv20rocsparse_direction_T3_S4_S4_S4_S4_21rocsparse_index_base_PKT1_PKT2_PKS4_S5_PS6_PS9_PS4_,comdat
.Lfunc_end87:
	.size	_ZN9rocsparseL38csr2bsr_block_per_row_multipass_kernelILj256ELj32E21rocsparse_complex_numIfEliEEv20rocsparse_direction_T3_S4_S4_S4_S4_21rocsparse_index_base_PKT1_PKT2_PKS4_S5_PS6_PS9_PS4_, .Lfunc_end87-_ZN9rocsparseL38csr2bsr_block_per_row_multipass_kernelILj256ELj32E21rocsparse_complex_numIfEliEEv20rocsparse_direction_T3_S4_S4_S4_S4_21rocsparse_index_base_PKT1_PKT2_PKS4_S5_PS6_PS9_PS4_
                                        ; -- End function
	.set _ZN9rocsparseL38csr2bsr_block_per_row_multipass_kernelILj256ELj32E21rocsparse_complex_numIfEliEEv20rocsparse_direction_T3_S4_S4_S4_S4_21rocsparse_index_base_PKT1_PKT2_PKS4_S5_PS6_PS9_PS4_.num_vgpr, 46
	.set _ZN9rocsparseL38csr2bsr_block_per_row_multipass_kernelILj256ELj32E21rocsparse_complex_numIfEliEEv20rocsparse_direction_T3_S4_S4_S4_S4_21rocsparse_index_base_PKT1_PKT2_PKS4_S5_PS6_PS9_PS4_.num_agpr, 0
	.set _ZN9rocsparseL38csr2bsr_block_per_row_multipass_kernelILj256ELj32E21rocsparse_complex_numIfEliEEv20rocsparse_direction_T3_S4_S4_S4_S4_21rocsparse_index_base_PKT1_PKT2_PKS4_S5_PS6_PS9_PS4_.numbered_sgpr, 36
	.set _ZN9rocsparseL38csr2bsr_block_per_row_multipass_kernelILj256ELj32E21rocsparse_complex_numIfEliEEv20rocsparse_direction_T3_S4_S4_S4_S4_21rocsparse_index_base_PKT1_PKT2_PKS4_S5_PS6_PS9_PS4_.num_named_barrier, 0
	.set _ZN9rocsparseL38csr2bsr_block_per_row_multipass_kernelILj256ELj32E21rocsparse_complex_numIfEliEEv20rocsparse_direction_T3_S4_S4_S4_S4_21rocsparse_index_base_PKT1_PKT2_PKS4_S5_PS6_PS9_PS4_.private_seg_size, 0
	.set _ZN9rocsparseL38csr2bsr_block_per_row_multipass_kernelILj256ELj32E21rocsparse_complex_numIfEliEEv20rocsparse_direction_T3_S4_S4_S4_S4_21rocsparse_index_base_PKT1_PKT2_PKS4_S5_PS6_PS9_PS4_.uses_vcc, 1
	.set _ZN9rocsparseL38csr2bsr_block_per_row_multipass_kernelILj256ELj32E21rocsparse_complex_numIfEliEEv20rocsparse_direction_T3_S4_S4_S4_S4_21rocsparse_index_base_PKT1_PKT2_PKS4_S5_PS6_PS9_PS4_.uses_flat_scratch, 0
	.set _ZN9rocsparseL38csr2bsr_block_per_row_multipass_kernelILj256ELj32E21rocsparse_complex_numIfEliEEv20rocsparse_direction_T3_S4_S4_S4_S4_21rocsparse_index_base_PKT1_PKT2_PKS4_S5_PS6_PS9_PS4_.has_dyn_sized_stack, 0
	.set _ZN9rocsparseL38csr2bsr_block_per_row_multipass_kernelILj256ELj32E21rocsparse_complex_numIfEliEEv20rocsparse_direction_T3_S4_S4_S4_S4_21rocsparse_index_base_PKT1_PKT2_PKS4_S5_PS6_PS9_PS4_.has_recursion, 0
	.set _ZN9rocsparseL38csr2bsr_block_per_row_multipass_kernelILj256ELj32E21rocsparse_complex_numIfEliEEv20rocsparse_direction_T3_S4_S4_S4_S4_21rocsparse_index_base_PKT1_PKT2_PKS4_S5_PS6_PS9_PS4_.has_indirect_call, 0
	.section	.AMDGPU.csdata,"",@progbits
; Kernel info:
; codeLenInByte = 2176
; TotalNumSgprs: 38
; NumVgprs: 46
; ScratchSize: 0
; MemoryBound: 0
; FloatMode: 240
; IeeeMode: 1
; LDSByteSize: 8196 bytes/workgroup (compile time only)
; SGPRBlocks: 0
; VGPRBlocks: 2
; NumSGPRsForWavesPerEU: 38
; NumVGPRsForWavesPerEU: 46
; NamedBarCnt: 0
; Occupancy: 16
; WaveLimiterHint : 0
; COMPUTE_PGM_RSRC2:SCRATCH_EN: 0
; COMPUTE_PGM_RSRC2:USER_SGPR: 2
; COMPUTE_PGM_RSRC2:TRAP_HANDLER: 0
; COMPUTE_PGM_RSRC2:TGID_X_EN: 1
; COMPUTE_PGM_RSRC2:TGID_Y_EN: 0
; COMPUTE_PGM_RSRC2:TGID_Z_EN: 0
; COMPUTE_PGM_RSRC2:TIDIG_COMP_CNT: 0
	.section	.text._ZN9rocsparseL38csr2bsr_block_per_row_multipass_kernelILj256ELj64E21rocsparse_complex_numIfEliEEv20rocsparse_direction_T3_S4_S4_S4_S4_21rocsparse_index_base_PKT1_PKT2_PKS4_S5_PS6_PS9_PS4_,"axG",@progbits,_ZN9rocsparseL38csr2bsr_block_per_row_multipass_kernelILj256ELj64E21rocsparse_complex_numIfEliEEv20rocsparse_direction_T3_S4_S4_S4_S4_21rocsparse_index_base_PKT1_PKT2_PKS4_S5_PS6_PS9_PS4_,comdat
	.globl	_ZN9rocsparseL38csr2bsr_block_per_row_multipass_kernelILj256ELj64E21rocsparse_complex_numIfEliEEv20rocsparse_direction_T3_S4_S4_S4_S4_21rocsparse_index_base_PKT1_PKT2_PKS4_S5_PS6_PS9_PS4_ ; -- Begin function _ZN9rocsparseL38csr2bsr_block_per_row_multipass_kernelILj256ELj64E21rocsparse_complex_numIfEliEEv20rocsparse_direction_T3_S4_S4_S4_S4_21rocsparse_index_base_PKT1_PKT2_PKS4_S5_PS6_PS9_PS4_
	.p2align	8
	.type	_ZN9rocsparseL38csr2bsr_block_per_row_multipass_kernelILj256ELj64E21rocsparse_complex_numIfEliEEv20rocsparse_direction_T3_S4_S4_S4_S4_21rocsparse_index_base_PKT1_PKT2_PKS4_S5_PS6_PS9_PS4_,@function
_ZN9rocsparseL38csr2bsr_block_per_row_multipass_kernelILj256ELj64E21rocsparse_complex_numIfEliEEv20rocsparse_direction_T3_S4_S4_S4_S4_21rocsparse_index_base_PKT1_PKT2_PKS4_S5_PS6_PS9_PS4_: ; @_ZN9rocsparseL38csr2bsr_block_per_row_multipass_kernelILj256ELj64E21rocsparse_complex_numIfEliEEv20rocsparse_direction_T3_S4_S4_S4_S4_21rocsparse_index_base_PKT1_PKT2_PKS4_S5_PS6_PS9_PS4_
; %bb.0:
	s_clause 0x1
	s_load_b96 s[16:18], s[0:1], 0x10
	s_load_b64 s[6:7], s[0:1], 0x0
	s_bfe_u32 s2, ttmp6, 0x4000c
	s_and_b32 s3, ttmp6, 15
	s_add_co_i32 s2, s2, 1
	s_getreg_b32 s4, hwreg(HW_REG_IB_STS2, 6, 4)
	s_mul_i32 s2, ttmp9, s2
	v_lshrrev_b32_e32 v1, 2, v0
	s_add_co_i32 s3, s3, s2
	s_cmp_eq_u32 s4, 0
	s_load_b64 s[4:5], s[0:1], 0x28
	s_cselect_b32 s8, ttmp9, s3
	v_mov_b64_e32 v[2:3], 0
	v_mov_b64_e32 v[20:21], 0
	s_mov_b32 s3, 0
	s_wait_kmcnt 0x0
	v_mad_u32 v4, s17, s8, v1
	v_cmp_gt_i32_e32 vcc_lo, s17, v1
	s_delay_alu instid0(VALU_DEP_2) | instskip(SKIP_1) | instid1(SALU_CYCLE_1)
	v_cmp_gt_i32_e64 s2, s7, v4
	s_and_b32 s7, vcc_lo, s2
	s_and_saveexec_b32 s9, s7
	s_cbranch_execnz .LBB88_3
; %bb.1:
	s_or_b32 exec_lo, exec_lo, s9
	s_and_saveexec_b32 s2, s7
	s_cbranch_execnz .LBB88_4
.LBB88_2:
	s_or_b32 exec_lo, exec_lo, s2
	s_cmp_lt_i32 s16, 1
	s_cbranch_scc0 .LBB88_5
	s_branch .LBB88_113
.LBB88_3:
	global_load_b64 v[6:7], v4, s[4:5] scale_offset
	s_mov_b32 s2, s18
	s_wait_loadcnt 0x0
	v_sub_nc_u64_e64 v[20:21], v[6:7], s[2:3]
	s_or_b32 exec_lo, exec_lo, s9
	s_and_saveexec_b32 s2, s7
	s_cbranch_execz .LBB88_2
.LBB88_4:
	global_load_b64 v[2:3], v4, s[4:5] offset:8 scale_offset
	s_wait_xcnt 0x0
	s_mov_b32 s5, 0
	s_mov_b32 s4, s18
	s_wait_loadcnt 0x0
	v_sub_nc_u64_e64 v[2:3], v[2:3], s[4:5]
	s_or_b32 exec_lo, exec_lo, s2
	s_cmp_lt_i32 s16, 1
	s_cbranch_scc1 .LBB88_113
.LBB88_5:
	s_clause 0x3
	s_load_b128 s[12:15], s[0:1], 0x40
	s_load_b64 s[10:11], s[0:1], 0x50
	s_load_b64 s[24:25], s[0:1], 0x20
	s_load_b96 s[20:22], s[0:1], 0x30
	v_dual_lshlrev_b32 v58, 9, v1 :: v_dual_bitop2_b32 v4, 3, v0 bitop3:0x40
	v_mbcnt_lo_u32_b32 v10, -1, 0
	s_ashr_i32 s9, s8, 31
	v_dual_mov_b32 v7, 0 :: v_dual_lshlrev_b32 v6, 3, v1
	s_lshl_b64 s[8:9], s[8:9], 3
	s_delay_alu instid0(VALU_DEP_2) | instskip(SKIP_1) | instid1(VALU_DEP_2)
	v_dual_lshlrev_b32 v44, 3, v4 :: v_dual_bitop2_b32 v11, 2, v10 bitop3:0x14
	s_cmp_lg_u32 s6, 0
	v_dual_mov_b32 v45, v7 :: v_dual_bitop2_b32 v12, 1, v10 bitop3:0x14
	v_lshl_or_b32 v60, v10, 2, 12
	s_delay_alu instid0(VALU_DEP_3)
	v_cmp_gt_i32_e64 s6, 32, v11
	s_mov_b32 s27, 0
	v_dual_lshlrev_b32 v59, 2, v0 :: v_dual_mov_b32 v5, v7
	s_wait_kmcnt 0x0
	s_add_nc_u64 s[8:9], s[14:15], s[8:9]
	v_add_nc_u64_e32 v[8:9], s[12:13], v[6:7]
	s_load_b64 s[14:15], s[8:9], 0x0
	v_mul_lo_u32 v6, s17, v1
	v_cndmask_b32_e64 v1, v10, v11, s6
	v_cmp_gt_i32_e64 s6, 32, v12
	s_mov_b32 s26, s22
	v_cmp_gt_u32_e64 s0, 0x80, v0
	v_cmp_gt_u32_e64 s1, 64, v0
	;; [unrolled: 1-line block ×3, first 2 shown]
	v_cndmask_b32_e64 v11, v10, v12, s6
	v_mul_lo_u32 v10, v4, s17
	v_cmp_gt_u32_e64 s3, 16, v0
	v_cmp_gt_u32_e64 s4, 8, v0
	;; [unrolled: 1-line block ×3, first 2 shown]
	s_wait_xcnt 0x0
	v_cmp_gt_u32_e64 s8, s17, v4
	v_dual_lshlrev_b32 v61, 2, v1 :: v_dual_lshlrev_b32 v62, 2, v11
	v_dual_mov_b32 v11, v7 :: v_dual_bitop2_b32 v1, 4, v4 bitop3:0x54
	v_cmp_gt_u32_e64 s6, 2, v0
	v_cmp_eq_u32_e64 s7, 0, v0
	v_or_b32_e32 v0, 8, v4
	v_lshl_add_u64 v[12:13], v[6:7], 3, s[12:13]
	s_wait_kmcnt 0x0
	s_sub_nc_u64 s[12:13], s[14:15], s[26:27]
	s_mov_b32 s26, s17
	s_cselect_b32 s19, -1, 0
	s_mul_u64 s[14:15], s[26:27], s[26:27]
	s_lshl_b32 s26, s17, 2
	s_and_b32 s23, vcc_lo, s8
	v_cmp_gt_u32_e64 s8, s17, v1
	v_dual_mov_b32 v1, v7 :: v_dual_bitop2_b32 v6, 12, v4 bitop3:0x54
	v_cmp_gt_u32_e64 s9, s17, v0
	v_add_nc_u32_e32 v0, s26, v10
	s_and_b32 s28, vcc_lo, s8
	v_cmp_gt_u32_e64 s8, s17, v6
	v_dual_mov_b32 v15, v7 :: v_dual_bitop2_b32 v6, 16, v4 bitop3:0x54
	s_delay_alu instid0(VALU_DEP_3) | instskip(SKIP_3) | instid1(VALU_DEP_2)
	v_dual_mov_b32 v17, v7 :: v_dual_add_nc_u32 v14, s26, v0
	v_or_b32_e32 v18, 20, v4
	s_and_b32 s29, vcc_lo, s9
	s_and_b32 s30, vcc_lo, s8
	v_add_nc_u32_e32 v16, s26, v14
	v_cmp_gt_u32_e64 s8, s17, v6
	v_cmp_gt_u32_e64 s9, s17, v18
	v_dual_mov_b32 v19, v7 :: v_dual_bitop2_b32 v6, 24, v4 bitop3:0x54
	s_delay_alu instid0(VALU_DEP_4) | instskip(SKIP_1) | instid1(VALU_DEP_2)
	v_dual_mov_b32 v23, v7 :: v_dual_add_nc_u32 v18, s26, v16
	s_and_b32 s31, vcc_lo, s8
	v_cmp_gt_u32_e64 s8, s17, v6
	s_delay_alu instid0(VALU_DEP_2) | instskip(SKIP_3) | instid1(VALU_DEP_2)
	v_dual_add_nc_u32 v22, s26, v18 :: v_dual_bitop2_b32 v6, 28, v4 bitop3:0x54
	v_or_b32_e32 v26, 32, v4
	s_and_b32 s33, vcc_lo, s9
	s_and_b32 s34, vcc_lo, s8
	v_cmp_gt_u32_e64 s8, s17, v6
	v_dual_mov_b32 v25, v7 :: v_dual_add_nc_u32 v24, s26, v22
	v_or_b32_e32 v6, 36, v4
	v_cmp_gt_u32_e64 s9, s17, v26
	s_and_b32 s35, vcc_lo, s8
	v_dual_mov_b32 v27, v7 :: v_dual_add_nc_u32 v26, s26, v24
	v_cmp_gt_u32_e64 s8, s17, v6
	v_dual_mov_b32 v29, v7 :: v_dual_bitop2_b32 v6, 40, v4 bitop3:0x54
	s_delay_alu instid0(VALU_DEP_3) | instskip(SKIP_1) | instid1(VALU_DEP_2)
	v_dual_add_nc_u32 v28, s26, v26 :: v_dual_bitop2_b32 v32, 44, v4 bitop3:0x54
	s_and_b32 s37, vcc_lo, s8
	v_cmp_gt_u32_e64 s8, s17, v6
	v_mov_b32_e32 v31, v7
	s_and_b32 s36, vcc_lo, s9
	v_add_nc_u32_e32 v30, s26, v28
	v_or_b32_e32 v6, 48, v4
	v_cmp_gt_u32_e64 s9, s17, v32
	s_abs_i32 s40, s17
	s_and_b32 s38, vcc_lo, s8
	v_dual_mov_b32 v33, v7 :: v_dual_add_nc_u32 v32, s26, v30
	v_cmp_gt_u32_e64 s8, s17, v6
	v_or_b32_e32 v6, 52, v4
	s_and_b32 s39, vcc_lo, s9
	v_dual_mov_b32 v35, v7 :: v_dual_add_nc_u32 v34, s26, v32
	s_cvt_f32_u32 s9, s40
	s_and_b32 s41, vcc_lo, s8
	v_cmp_gt_u32_e64 s8, s17, v6
	s_delay_alu instid0(VALU_DEP_2) | instskip(SKIP_2) | instid1(VALU_DEP_2)
	v_dual_mov_b32 v37, v7 :: v_dual_add_nc_u32 v36, s26, v34
	v_rcp_iflag_f32_e32 v6, s9
	v_dual_mov_b32 v41, v7 :: v_dual_bitop2_b32 v40, 60, v4 bitop3:0x54
	v_add_nc_u32_e32 v38, s26, v36
	v_or_b32_e32 v39, 56, v4
	s_and_b32 s42, vcc_lo, s8
	s_delay_alu instid0(VALU_DEP_3) | instskip(NEXT) | instid1(TRANS32_DEP_1)
	v_cmp_gt_u32_e64 s9, s17, v40
	v_readfirstlane_b32 s43, v6
	v_add_nc_u32_e32 v40, s26, v38
	v_cmp_gt_u32_e64 s8, s17, v39
	v_add_nc_u64_e32 v[12:13], v[12:13], v[44:45]
	s_and_b32 s44, vcc_lo, s9
	s_mul_f32 s45, s43, 0x4f7ffffe
	s_sub_co_i32 s9, 0, s40
	s_and_b32 s43, vcc_lo, s8
	v_mov_b64_e32 v[50:51], 0
	s_cvt_u32_f32 s8, s45
	v_dual_mov_b32 v64, 1 :: v_dual_add_nc_u32 v63, v44, v58
	v_mov_b64_e32 v[44:45], 0
	s_delay_alu instid0(SALU_CYCLE_1)
	s_mul_i32 s9, s9, s8
	v_dual_mov_b32 v39, v7 :: v_dual_add_nc_u32 v42, s26, v40
	v_mov_b32_e32 v43, v7
	s_mul_hi_u32 s9, s8, s9
	s_ashr_i32 s45, s17, 31
	s_add_co_i32 s26, s8, s9
	s_branch .LBB88_7
.LBB88_6:                               ;   in Loop: Header=BB88_7 Depth=1
	s_or_b32 exec_lo, exec_lo, s46
	s_wait_dscnt 0x0
	s_barrier_signal -1
	s_barrier_wait -1
	ds_load_b32 v50, v7
	s_add_nc_u64 s[12:13], s[8:9], s[12:13]
	s_wait_dscnt 0x0
	s_barrier_signal -1
	s_barrier_wait -1
	v_cmp_gt_i32_e32 vcc_lo, s16, v50
	v_ashrrev_i32_e32 v51, 31, v50
	s_cbranch_vccz .LBB88_113
.LBB88_7:                               ; =>This Loop Header: Depth=1
                                        ;     Child Loop BB88_10 Depth 2
	v_add_nc_u64_e32 v[20:21], v[20:21], v[4:5]
	v_mov_b64_e32 v[52:53], v[2:3]
	v_mov_b32_e32 v65, s16
	s_mov_b32 s9, exec_lo
	ds_store_b8 v7, v7 offset:32768
	ds_store_2addr_b64 v63, v[44:45], v[44:45] offset1:4
	ds_store_2addr_b64 v63, v[44:45], v[44:45] offset0:8 offset1:12
	ds_store_2addr_b64 v63, v[44:45], v[44:45] offset0:16 offset1:20
	;; [unrolled: 1-line block ×7, first 2 shown]
	s_wait_dscnt 0x0
	s_barrier_signal -1
	s_barrier_wait -1
	v_cmpx_lt_i64_e64 v[20:21], v[2:3]
	s_cbranch_execz .LBB88_15
; %bb.8:                                ;   in Loop: Header=BB88_7 Depth=1
	v_mov_b64_e32 v[52:53], v[2:3]
	v_lshl_add_u64 v[46:47], v[20:21], 3, s[24:25]
	v_lshl_add_u64 v[48:49], v[20:21], 2, s[20:21]
	v_mov_b32_e32 v65, s16
	s_mov_b32 s46, 0
	s_branch .LBB88_10
.LBB88_9:                               ;   in Loop: Header=BB88_10 Depth=2
	s_wait_xcnt 0x0
	s_or_b32 exec_lo, exec_lo, s8
	v_add_nc_u64_e32 v[20:21], 4, v[20:21]
	s_xor_b32 s47, vcc_lo, -1
	v_add_nc_u64_e32 v[46:47], 32, v[46:47]
	v_add_nc_u64_e32 v[48:49], 16, v[48:49]
	s_delay_alu instid0(VALU_DEP_3) | instskip(SKIP_1) | instid1(SALU_CYCLE_1)
	v_cmp_ge_i64_e64 s8, v[20:21], v[2:3]
	s_or_b32 s8, s47, s8
	s_and_b32 s8, exec_lo, s8
	s_delay_alu instid0(SALU_CYCLE_1) | instskip(NEXT) | instid1(SALU_CYCLE_1)
	s_or_b32 s46, s8, s46
	s_and_not1_b32 exec_lo, exec_lo, s46
	s_cbranch_execz .LBB88_14
.LBB88_10:                              ;   Parent Loop BB88_7 Depth=1
                                        ; =>  This Inner Loop Header: Depth=2
	global_load_b32 v6, v[48:49], off
	s_wait_loadcnt 0x0
	v_subrev_nc_u32_e32 v66, s18, v6
	s_delay_alu instid0(VALU_DEP_1) | instskip(NEXT) | instid1(VALU_DEP_1)
	v_sub_nc_u32_e32 v6, 0, v66
	v_max_i32_e32 v6, v66, v6
	s_delay_alu instid0(VALU_DEP_1) | instskip(NEXT) | instid1(VALU_DEP_1)
	v_mul_u64_e32 v[54:55], s[26:27], v[6:7]
	v_mul_lo_u32 v54, v55, s40
	s_delay_alu instid0(VALU_DEP_1) | instskip(NEXT) | instid1(VALU_DEP_1)
	v_dual_sub_nc_u32 v6, v6, v54 :: v_dual_add_nc_u32 v54, 1, v55
	v_cmp_le_u32_e32 vcc_lo, s40, v6
	s_delay_alu instid0(VALU_DEP_2) | instskip(SKIP_1) | instid1(VALU_DEP_1)
	v_cndmask_b32_e32 v54, v55, v54, vcc_lo
	v_subrev_nc_u32_e32 v56, s40, v6
	v_dual_cndmask_b32 v6, v6, v56 :: v_dual_ashrrev_i32 v55, 31, v66
	s_delay_alu instid0(VALU_DEP_1) | instskip(NEXT) | instid1(VALU_DEP_2)
	v_dual_add_nc_u32 v56, 1, v54 :: v_dual_bitop2_b32 v55, s45, v55 bitop3:0x14
	v_cmp_le_u32_e32 vcc_lo, s40, v6
	s_delay_alu instid0(VALU_DEP_2) | instskip(SKIP_1) | instid1(VALU_DEP_2)
	v_cndmask_b32_e32 v6, v54, v56, vcc_lo
	v_mov_b64_e32 v[56:57], v[52:53]
	v_xor_b32_e32 v6, v6, v55
	s_delay_alu instid0(VALU_DEP_1) | instskip(NEXT) | instid1(VALU_DEP_1)
	v_sub_nc_u32_e32 v54, v6, v55
	v_ashrrev_i32_e32 v55, 31, v54
	s_delay_alu instid0(VALU_DEP_1) | instskip(SKIP_3) | instid1(SALU_CYCLE_1)
	v_cmp_ne_u64_e64 s8, v[50:51], v[54:55]
	v_cmp_eq_u64_e32 vcc_lo, v[50:51], v[54:55]
	s_wait_xcnt 0x0
	s_and_saveexec_b32 s47, s8
	s_xor_b32 s8, exec_lo, s47
; %bb.11:                               ;   in Loop: Header=BB88_10 Depth=2
	v_min_i32_e32 v65, v54, v65
                                        ; implicit-def: $vgpr54
                                        ; implicit-def: $vgpr66
                                        ; implicit-def: $vgpr56_vgpr57
; %bb.12:                               ;   in Loop: Header=BB88_10 Depth=2
	s_or_saveexec_b32 s8, s8
	v_mov_b64_e32 v[52:53], v[20:21]
	s_xor_b32 exec_lo, exec_lo, s8
	s_cbranch_execz .LBB88_9
; %bb.13:                               ;   in Loop: Header=BB88_10 Depth=2
	global_load_b64 v[68:69], v[46:47], off
	v_mul_lo_u32 v6, v54, s17
	v_mov_b64_e32 v[52:53], v[56:57]
	s_delay_alu instid0(VALU_DEP_2) | instskip(NEXT) | instid1(VALU_DEP_1)
	v_sub_nc_u32_e32 v6, v66, v6
	v_lshl_add_u32 v6, v6, 3, v58
	ds_store_b8 v7, v64 offset:32768
	s_wait_loadcnt 0x0
	ds_store_b64 v6, v[68:69]
	s_branch .LBB88_9
.LBB88_14:                              ;   in Loop: Header=BB88_7 Depth=1
	s_or_b32 exec_lo, exec_lo, s46
.LBB88_15:                              ;   in Loop: Header=BB88_7 Depth=1
	s_delay_alu instid0(SALU_CYCLE_1)
	s_or_b32 exec_lo, exec_lo, s9
	ds_bpermute_b32 v20, v61, v52
	ds_bpermute_b32 v21, v61, v53
	s_wait_dscnt 0x0
	s_barrier_signal -1
	s_barrier_wait -1
	ds_load_u8 v6, v7 offset:32768
	s_mov_b64 s[8:9], 0
	v_min_i64 v[20:21], v[20:21], v[52:53]
	s_wait_dscnt 0x0
	v_and_b32_e32 v6, 1, v6
	s_delay_alu instid0(VALU_DEP_1)
	v_cmp_eq_u32_e32 vcc_lo, 0, v6
	s_and_b32 vcc_lo, exec_lo, vcc_lo
	ds_bpermute_b32 v46, v62, v20
	ds_bpermute_b32 v47, v62, v21
	s_wait_dscnt 0x0
	v_min_i64 v[20:21], v[46:47], v[20:21]
	ds_bpermute_b32 v20, v60, v20
	ds_bpermute_b32 v21, v60, v21
	s_cbranch_vccnz .LBB88_81
; %bb.16:                               ;   in Loop: Header=BB88_7 Depth=1
	s_mul_u64 s[8:9], s[14:15], s[12:13]
	v_add_nc_u32_e32 v6, s22, v50
	s_lshl_b64 s[8:9], s[8:9], 3
	s_delay_alu instid0(SALU_CYCLE_1) | instskip(SKIP_2) | instid1(SALU_CYCLE_1)
	v_add_nc_u64_e32 v[48:49], s[8:9], v[8:9]
	v_add_nc_u64_e32 v[46:47], s[8:9], v[12:13]
	s_lshl_b64 s[8:9], s[12:13], 2
	s_add_nc_u64 s[8:9], s[10:11], s[8:9]
	global_store_b32 v7, v6, s[8:9]
	s_wait_xcnt 0x0
	s_and_saveexec_b32 s8, s23
	s_cbranch_execz .LBB88_20
; %bb.17:                               ;   in Loop: Header=BB88_7 Depth=1
	s_and_b32 vcc_lo, exec_lo, s19
	s_cbranch_vccz .LBB88_97
; %bb.18:                               ;   in Loop: Header=BB88_7 Depth=1
	ds_load_b64 v[50:51], v63
	v_lshl_add_u64 v[52:53], v[10:11], 3, v[48:49]
	s_wait_dscnt 0x0
	global_store_b64 v[52:53], v[50:51], off
	s_cbranch_execnz .LBB88_20
.LBB88_19:                              ;   in Loop: Header=BB88_7 Depth=1
	s_wait_xcnt 0x0
	ds_load_b64 v[50:51], v63
	s_wait_dscnt 0x0
	global_store_b64 v[46:47], v[50:51], off
.LBB88_20:                              ;   in Loop: Header=BB88_7 Depth=1
	s_wait_xcnt 0x0
	s_or_b32 exec_lo, exec_lo, s8
	s_and_saveexec_b32 s8, s28
	s_cbranch_execz .LBB88_24
; %bb.21:                               ;   in Loop: Header=BB88_7 Depth=1
	ds_load_b64 v[50:51], v63 offset:32
	s_and_not1_b32 vcc_lo, exec_lo, s19
	s_cbranch_vccnz .LBB88_98
; %bb.22:                               ;   in Loop: Header=BB88_7 Depth=1
	v_lshl_add_u64 v[52:53], v[0:1], 3, v[48:49]
	s_wait_dscnt 0x0
	global_store_b64 v[52:53], v[50:51], off
	s_cbranch_execnz .LBB88_24
.LBB88_23:                              ;   in Loop: Header=BB88_7 Depth=1
	s_wait_dscnt 0x0
	global_store_b64 v[46:47], v[50:51], off offset:32
.LBB88_24:                              ;   in Loop: Header=BB88_7 Depth=1
	s_wait_xcnt 0x0
	s_or_b32 exec_lo, exec_lo, s8
	s_and_saveexec_b32 s8, s29
	s_cbranch_execz .LBB88_28
; %bb.25:                               ;   in Loop: Header=BB88_7 Depth=1
	s_wait_dscnt 0x0
	ds_load_b64 v[50:51], v63 offset:64
	s_and_not1_b32 vcc_lo, exec_lo, s19
	s_cbranch_vccnz .LBB88_99
; %bb.26:                               ;   in Loop: Header=BB88_7 Depth=1
	v_lshl_add_u64 v[52:53], v[14:15], 3, v[48:49]
	s_wait_dscnt 0x0
	global_store_b64 v[52:53], v[50:51], off
	s_cbranch_execnz .LBB88_28
.LBB88_27:                              ;   in Loop: Header=BB88_7 Depth=1
	s_wait_dscnt 0x0
	global_store_b64 v[46:47], v[50:51], off offset:64
.LBB88_28:                              ;   in Loop: Header=BB88_7 Depth=1
	s_wait_xcnt 0x0
	s_or_b32 exec_lo, exec_lo, s8
	s_and_saveexec_b32 s8, s30
	s_cbranch_execz .LBB88_32
; %bb.29:                               ;   in Loop: Header=BB88_7 Depth=1
	s_wait_dscnt 0x0
	ds_load_b64 v[50:51], v63 offset:96
	s_and_not1_b32 vcc_lo, exec_lo, s19
	s_cbranch_vccnz .LBB88_100
; %bb.30:                               ;   in Loop: Header=BB88_7 Depth=1
	v_lshl_add_u64 v[52:53], v[16:17], 3, v[48:49]
	s_wait_dscnt 0x0
	global_store_b64 v[52:53], v[50:51], off
	s_cbranch_execnz .LBB88_32
.LBB88_31:                              ;   in Loop: Header=BB88_7 Depth=1
	s_wait_dscnt 0x0
	global_store_b64 v[46:47], v[50:51], off offset:96
.LBB88_32:                              ;   in Loop: Header=BB88_7 Depth=1
	s_wait_xcnt 0x0
	s_or_b32 exec_lo, exec_lo, s8
	s_and_saveexec_b32 s8, s31
	s_cbranch_execz .LBB88_36
; %bb.33:                               ;   in Loop: Header=BB88_7 Depth=1
	s_wait_dscnt 0x0
	ds_load_b64 v[50:51], v63 offset:128
	s_and_not1_b32 vcc_lo, exec_lo, s19
	s_cbranch_vccnz .LBB88_101
; %bb.34:                               ;   in Loop: Header=BB88_7 Depth=1
	v_lshl_add_u64 v[52:53], v[18:19], 3, v[48:49]
	s_wait_dscnt 0x0
	global_store_b64 v[52:53], v[50:51], off
	s_cbranch_execnz .LBB88_36
.LBB88_35:                              ;   in Loop: Header=BB88_7 Depth=1
	s_wait_dscnt 0x0
	global_store_b64 v[46:47], v[50:51], off offset:128
.LBB88_36:                              ;   in Loop: Header=BB88_7 Depth=1
	s_wait_xcnt 0x0
	s_or_b32 exec_lo, exec_lo, s8
	s_and_saveexec_b32 s8, s33
	s_cbranch_execz .LBB88_40
; %bb.37:                               ;   in Loop: Header=BB88_7 Depth=1
	s_wait_dscnt 0x0
	ds_load_b64 v[50:51], v63 offset:160
	s_and_not1_b32 vcc_lo, exec_lo, s19
	s_cbranch_vccnz .LBB88_102
; %bb.38:                               ;   in Loop: Header=BB88_7 Depth=1
	v_lshl_add_u64 v[52:53], v[22:23], 3, v[48:49]
	s_wait_dscnt 0x0
	global_store_b64 v[52:53], v[50:51], off
	s_cbranch_execnz .LBB88_40
.LBB88_39:                              ;   in Loop: Header=BB88_7 Depth=1
	s_wait_dscnt 0x0
	global_store_b64 v[46:47], v[50:51], off offset:160
.LBB88_40:                              ;   in Loop: Header=BB88_7 Depth=1
	s_wait_xcnt 0x0
	s_or_b32 exec_lo, exec_lo, s8
	s_and_saveexec_b32 s8, s34
	s_cbranch_execz .LBB88_44
; %bb.41:                               ;   in Loop: Header=BB88_7 Depth=1
	s_wait_dscnt 0x0
	ds_load_b64 v[50:51], v63 offset:192
	s_and_not1_b32 vcc_lo, exec_lo, s19
	s_cbranch_vccnz .LBB88_103
; %bb.42:                               ;   in Loop: Header=BB88_7 Depth=1
	v_lshl_add_u64 v[52:53], v[24:25], 3, v[48:49]
	s_wait_dscnt 0x0
	global_store_b64 v[52:53], v[50:51], off
	s_cbranch_execnz .LBB88_44
.LBB88_43:                              ;   in Loop: Header=BB88_7 Depth=1
	s_wait_dscnt 0x0
	global_store_b64 v[46:47], v[50:51], off offset:192
.LBB88_44:                              ;   in Loop: Header=BB88_7 Depth=1
	s_wait_xcnt 0x0
	s_or_b32 exec_lo, exec_lo, s8
	s_and_saveexec_b32 s8, s35
	s_cbranch_execz .LBB88_48
; %bb.45:                               ;   in Loop: Header=BB88_7 Depth=1
	s_wait_dscnt 0x0
	ds_load_b64 v[50:51], v63 offset:224
	s_and_not1_b32 vcc_lo, exec_lo, s19
	s_cbranch_vccnz .LBB88_104
; %bb.46:                               ;   in Loop: Header=BB88_7 Depth=1
	v_lshl_add_u64 v[52:53], v[26:27], 3, v[48:49]
	s_wait_dscnt 0x0
	global_store_b64 v[52:53], v[50:51], off
	s_cbranch_execnz .LBB88_48
.LBB88_47:                              ;   in Loop: Header=BB88_7 Depth=1
	s_wait_dscnt 0x0
	global_store_b64 v[46:47], v[50:51], off offset:224
.LBB88_48:                              ;   in Loop: Header=BB88_7 Depth=1
	s_wait_xcnt 0x0
	s_or_b32 exec_lo, exec_lo, s8
	s_and_saveexec_b32 s8, s36
	s_cbranch_execz .LBB88_52
; %bb.49:                               ;   in Loop: Header=BB88_7 Depth=1
	s_wait_dscnt 0x0
	ds_load_b64 v[50:51], v63 offset:256
	s_and_not1_b32 vcc_lo, exec_lo, s19
	s_cbranch_vccnz .LBB88_105
; %bb.50:                               ;   in Loop: Header=BB88_7 Depth=1
	v_lshl_add_u64 v[52:53], v[28:29], 3, v[48:49]
	s_wait_dscnt 0x0
	global_store_b64 v[52:53], v[50:51], off
	s_cbranch_execnz .LBB88_52
.LBB88_51:                              ;   in Loop: Header=BB88_7 Depth=1
	s_wait_dscnt 0x0
	global_store_b64 v[46:47], v[50:51], off offset:256
.LBB88_52:                              ;   in Loop: Header=BB88_7 Depth=1
	s_wait_xcnt 0x0
	s_or_b32 exec_lo, exec_lo, s8
	s_and_saveexec_b32 s8, s37
	s_cbranch_execz .LBB88_56
; %bb.53:                               ;   in Loop: Header=BB88_7 Depth=1
	s_wait_dscnt 0x0
	ds_load_b64 v[50:51], v63 offset:288
	s_and_not1_b32 vcc_lo, exec_lo, s19
	s_cbranch_vccnz .LBB88_106
; %bb.54:                               ;   in Loop: Header=BB88_7 Depth=1
	v_lshl_add_u64 v[52:53], v[30:31], 3, v[48:49]
	s_wait_dscnt 0x0
	global_store_b64 v[52:53], v[50:51], off
	s_cbranch_execnz .LBB88_56
.LBB88_55:                              ;   in Loop: Header=BB88_7 Depth=1
	s_wait_dscnt 0x0
	global_store_b64 v[46:47], v[50:51], off offset:288
.LBB88_56:                              ;   in Loop: Header=BB88_7 Depth=1
	s_wait_xcnt 0x0
	s_or_b32 exec_lo, exec_lo, s8
	s_and_saveexec_b32 s8, s38
	s_cbranch_execz .LBB88_60
; %bb.57:                               ;   in Loop: Header=BB88_7 Depth=1
	s_wait_dscnt 0x0
	ds_load_b64 v[50:51], v63 offset:320
	s_and_not1_b32 vcc_lo, exec_lo, s19
	s_cbranch_vccnz .LBB88_107
; %bb.58:                               ;   in Loop: Header=BB88_7 Depth=1
	v_lshl_add_u64 v[52:53], v[32:33], 3, v[48:49]
	s_wait_dscnt 0x0
	global_store_b64 v[52:53], v[50:51], off
	s_cbranch_execnz .LBB88_60
.LBB88_59:                              ;   in Loop: Header=BB88_7 Depth=1
	s_wait_dscnt 0x0
	global_store_b64 v[46:47], v[50:51], off offset:320
.LBB88_60:                              ;   in Loop: Header=BB88_7 Depth=1
	s_wait_xcnt 0x0
	s_or_b32 exec_lo, exec_lo, s8
	s_and_saveexec_b32 s8, s39
	s_cbranch_execz .LBB88_64
; %bb.61:                               ;   in Loop: Header=BB88_7 Depth=1
	s_wait_dscnt 0x0
	ds_load_b64 v[50:51], v63 offset:352
	s_and_not1_b32 vcc_lo, exec_lo, s19
	s_cbranch_vccnz .LBB88_108
; %bb.62:                               ;   in Loop: Header=BB88_7 Depth=1
	v_lshl_add_u64 v[52:53], v[34:35], 3, v[48:49]
	s_wait_dscnt 0x0
	global_store_b64 v[52:53], v[50:51], off
	s_cbranch_execnz .LBB88_64
.LBB88_63:                              ;   in Loop: Header=BB88_7 Depth=1
	s_wait_dscnt 0x0
	global_store_b64 v[46:47], v[50:51], off offset:352
.LBB88_64:                              ;   in Loop: Header=BB88_7 Depth=1
	s_wait_xcnt 0x0
	s_or_b32 exec_lo, exec_lo, s8
	s_and_saveexec_b32 s8, s41
	s_cbranch_execz .LBB88_68
; %bb.65:                               ;   in Loop: Header=BB88_7 Depth=1
	s_wait_dscnt 0x0
	ds_load_b64 v[50:51], v63 offset:384
	s_and_not1_b32 vcc_lo, exec_lo, s19
	s_cbranch_vccnz .LBB88_109
; %bb.66:                               ;   in Loop: Header=BB88_7 Depth=1
	v_lshl_add_u64 v[52:53], v[36:37], 3, v[48:49]
	s_wait_dscnt 0x0
	global_store_b64 v[52:53], v[50:51], off
	s_cbranch_execnz .LBB88_68
.LBB88_67:                              ;   in Loop: Header=BB88_7 Depth=1
	s_wait_dscnt 0x0
	global_store_b64 v[46:47], v[50:51], off offset:384
.LBB88_68:                              ;   in Loop: Header=BB88_7 Depth=1
	s_wait_xcnt 0x0
	s_or_b32 exec_lo, exec_lo, s8
	s_and_saveexec_b32 s8, s42
	s_cbranch_execz .LBB88_72
; %bb.69:                               ;   in Loop: Header=BB88_7 Depth=1
	s_wait_dscnt 0x0
	ds_load_b64 v[50:51], v63 offset:416
	s_and_not1_b32 vcc_lo, exec_lo, s19
	s_cbranch_vccnz .LBB88_110
; %bb.70:                               ;   in Loop: Header=BB88_7 Depth=1
	v_lshl_add_u64 v[52:53], v[38:39], 3, v[48:49]
	s_wait_dscnt 0x0
	global_store_b64 v[52:53], v[50:51], off
	s_cbranch_execnz .LBB88_72
.LBB88_71:                              ;   in Loop: Header=BB88_7 Depth=1
	s_wait_dscnt 0x0
	global_store_b64 v[46:47], v[50:51], off offset:416
.LBB88_72:                              ;   in Loop: Header=BB88_7 Depth=1
	s_wait_xcnt 0x0
	s_or_b32 exec_lo, exec_lo, s8
	s_and_saveexec_b32 s8, s43
	s_cbranch_execz .LBB88_76
; %bb.73:                               ;   in Loop: Header=BB88_7 Depth=1
	s_wait_dscnt 0x0
	ds_load_b64 v[50:51], v63 offset:448
	s_and_not1_b32 vcc_lo, exec_lo, s19
	s_cbranch_vccnz .LBB88_111
; %bb.74:                               ;   in Loop: Header=BB88_7 Depth=1
	v_lshl_add_u64 v[52:53], v[40:41], 3, v[48:49]
	s_wait_dscnt 0x0
	global_store_b64 v[52:53], v[50:51], off
	s_cbranch_execnz .LBB88_76
.LBB88_75:                              ;   in Loop: Header=BB88_7 Depth=1
	s_wait_dscnt 0x0
	global_store_b64 v[46:47], v[50:51], off offset:448
.LBB88_76:                              ;   in Loop: Header=BB88_7 Depth=1
	s_wait_xcnt 0x0
	s_or_b32 exec_lo, exec_lo, s8
	s_and_saveexec_b32 s8, s44
	s_cbranch_execz .LBB88_80
; %bb.77:                               ;   in Loop: Header=BB88_7 Depth=1
	s_wait_dscnt 0x0
	ds_load_b64 v[50:51], v63 offset:480
	s_and_not1_b32 vcc_lo, exec_lo, s19
	s_cbranch_vccnz .LBB88_112
; %bb.78:                               ;   in Loop: Header=BB88_7 Depth=1
	v_lshl_add_u64 v[48:49], v[42:43], 3, v[48:49]
	s_wait_dscnt 0x0
	global_store_b64 v[48:49], v[50:51], off
	s_cbranch_execnz .LBB88_80
.LBB88_79:                              ;   in Loop: Header=BB88_7 Depth=1
	s_wait_dscnt 0x0
	global_store_b64 v[46:47], v[50:51], off offset:480
.LBB88_80:                              ;   in Loop: Header=BB88_7 Depth=1
	s_wait_xcnt 0x0
	s_or_b32 exec_lo, exec_lo, s8
	s_mov_b64 s[8:9], 1
.LBB88_81:                              ;   in Loop: Header=BB88_7 Depth=1
	s_wait_storecnt_dscnt 0x0
	s_barrier_signal -1
	s_barrier_wait -1
	ds_store_b32 v59, v65
	s_wait_dscnt 0x0
	s_barrier_signal -1
	s_barrier_wait -1
	s_and_saveexec_b32 s46, s0
	s_cbranch_execz .LBB88_83
; %bb.82:                               ;   in Loop: Header=BB88_7 Depth=1
	ds_load_2addr_stride64_b32 v[46:47], v59 offset1:2
	s_wait_dscnt 0x0
	v_min_i32_e32 v6, v47, v46
	ds_store_b32 v59, v6
.LBB88_83:                              ;   in Loop: Header=BB88_7 Depth=1
	s_or_b32 exec_lo, exec_lo, s46
	s_wait_dscnt 0x0
	s_barrier_signal -1
	s_barrier_wait -1
	s_and_saveexec_b32 s46, s1
	s_cbranch_execz .LBB88_85
; %bb.84:                               ;   in Loop: Header=BB88_7 Depth=1
	ds_load_2addr_stride64_b32 v[46:47], v59 offset1:1
	s_wait_dscnt 0x0
	v_min_i32_e32 v6, v47, v46
	ds_store_b32 v59, v6
.LBB88_85:                              ;   in Loop: Header=BB88_7 Depth=1
	s_or_b32 exec_lo, exec_lo, s46
	s_wait_dscnt 0x0
	s_barrier_signal -1
	s_barrier_wait -1
	s_and_saveexec_b32 s46, s2
	s_cbranch_execz .LBB88_87
; %bb.86:                               ;   in Loop: Header=BB88_7 Depth=1
	ds_load_2addr_b32 v[46:47], v59 offset1:32
	s_wait_dscnt 0x0
	v_min_i32_e32 v6, v47, v46
	ds_store_b32 v59, v6
.LBB88_87:                              ;   in Loop: Header=BB88_7 Depth=1
	s_or_b32 exec_lo, exec_lo, s46
	s_wait_dscnt 0x0
	s_barrier_signal -1
	s_barrier_wait -1
	s_and_saveexec_b32 s46, s3
	s_cbranch_execz .LBB88_89
; %bb.88:                               ;   in Loop: Header=BB88_7 Depth=1
	ds_load_2addr_b32 v[46:47], v59 offset1:16
	s_wait_dscnt 0x0
	v_min_i32_e32 v6, v47, v46
	ds_store_b32 v59, v6
.LBB88_89:                              ;   in Loop: Header=BB88_7 Depth=1
	;; [unrolled: 12-line block ×5, first 2 shown]
	s_or_b32 exec_lo, exec_lo, s46
	s_wait_dscnt 0x0
	s_barrier_signal -1
	s_barrier_wait -1
	s_and_saveexec_b32 s46, s7
	s_cbranch_execz .LBB88_6
; %bb.96:                               ;   in Loop: Header=BB88_7 Depth=1
	ds_load_b64 v[46:47], v7
	s_wait_dscnt 0x0
	v_min_i32_e32 v6, v47, v46
	ds_store_b32 v7, v6
	s_branch .LBB88_6
.LBB88_97:                              ;   in Loop: Header=BB88_7 Depth=1
	s_branch .LBB88_19
.LBB88_98:                              ;   in Loop: Header=BB88_7 Depth=1
	s_branch .LBB88_23
.LBB88_99:                              ;   in Loop: Header=BB88_7 Depth=1
	s_branch .LBB88_27
.LBB88_100:                             ;   in Loop: Header=BB88_7 Depth=1
	s_branch .LBB88_31
.LBB88_101:                             ;   in Loop: Header=BB88_7 Depth=1
	s_branch .LBB88_35
.LBB88_102:                             ;   in Loop: Header=BB88_7 Depth=1
	s_branch .LBB88_39
.LBB88_103:                             ;   in Loop: Header=BB88_7 Depth=1
	s_branch .LBB88_43
.LBB88_104:                             ;   in Loop: Header=BB88_7 Depth=1
	s_branch .LBB88_47
.LBB88_105:                             ;   in Loop: Header=BB88_7 Depth=1
	s_branch .LBB88_51
.LBB88_106:                             ;   in Loop: Header=BB88_7 Depth=1
	s_branch .LBB88_55
.LBB88_107:                             ;   in Loop: Header=BB88_7 Depth=1
	s_branch .LBB88_59
.LBB88_108:                             ;   in Loop: Header=BB88_7 Depth=1
	s_branch .LBB88_63
.LBB88_109:                             ;   in Loop: Header=BB88_7 Depth=1
	s_branch .LBB88_67
.LBB88_110:                             ;   in Loop: Header=BB88_7 Depth=1
	s_branch .LBB88_71
.LBB88_111:                             ;   in Loop: Header=BB88_7 Depth=1
	s_branch .LBB88_75
.LBB88_112:                             ;   in Loop: Header=BB88_7 Depth=1
	s_branch .LBB88_79
.LBB88_113:
	s_endpgm
	.section	.rodata,"a",@progbits
	.p2align	6, 0x0
	.amdhsa_kernel _ZN9rocsparseL38csr2bsr_block_per_row_multipass_kernelILj256ELj64E21rocsparse_complex_numIfEliEEv20rocsparse_direction_T3_S4_S4_S4_S4_21rocsparse_index_base_PKT1_PKT2_PKS4_S5_PS6_PS9_PS4_
		.amdhsa_group_segment_fixed_size 32772
		.amdhsa_private_segment_fixed_size 0
		.amdhsa_kernarg_size 88
		.amdhsa_user_sgpr_count 2
		.amdhsa_user_sgpr_dispatch_ptr 0
		.amdhsa_user_sgpr_queue_ptr 0
		.amdhsa_user_sgpr_kernarg_segment_ptr 1
		.amdhsa_user_sgpr_dispatch_id 0
		.amdhsa_user_sgpr_kernarg_preload_length 0
		.amdhsa_user_sgpr_kernarg_preload_offset 0
		.amdhsa_user_sgpr_private_segment_size 0
		.amdhsa_wavefront_size32 1
		.amdhsa_uses_dynamic_stack 0
		.amdhsa_enable_private_segment 0
		.amdhsa_system_sgpr_workgroup_id_x 1
		.amdhsa_system_sgpr_workgroup_id_y 0
		.amdhsa_system_sgpr_workgroup_id_z 0
		.amdhsa_system_sgpr_workgroup_info 0
		.amdhsa_system_vgpr_workitem_id 0
		.amdhsa_next_free_vgpr 70
		.amdhsa_next_free_sgpr 48
		.amdhsa_named_barrier_count 0
		.amdhsa_reserve_vcc 1
		.amdhsa_float_round_mode_32 0
		.amdhsa_float_round_mode_16_64 0
		.amdhsa_float_denorm_mode_32 3
		.amdhsa_float_denorm_mode_16_64 3
		.amdhsa_fp16_overflow 0
		.amdhsa_memory_ordered 1
		.amdhsa_forward_progress 1
		.amdhsa_inst_pref_size 28
		.amdhsa_round_robin_scheduling 0
		.amdhsa_exception_fp_ieee_invalid_op 0
		.amdhsa_exception_fp_denorm_src 0
		.amdhsa_exception_fp_ieee_div_zero 0
		.amdhsa_exception_fp_ieee_overflow 0
		.amdhsa_exception_fp_ieee_underflow 0
		.amdhsa_exception_fp_ieee_inexact 0
		.amdhsa_exception_int_div_zero 0
	.end_amdhsa_kernel
	.section	.text._ZN9rocsparseL38csr2bsr_block_per_row_multipass_kernelILj256ELj64E21rocsparse_complex_numIfEliEEv20rocsparse_direction_T3_S4_S4_S4_S4_21rocsparse_index_base_PKT1_PKT2_PKS4_S5_PS6_PS9_PS4_,"axG",@progbits,_ZN9rocsparseL38csr2bsr_block_per_row_multipass_kernelILj256ELj64E21rocsparse_complex_numIfEliEEv20rocsparse_direction_T3_S4_S4_S4_S4_21rocsparse_index_base_PKT1_PKT2_PKS4_S5_PS6_PS9_PS4_,comdat
.Lfunc_end88:
	.size	_ZN9rocsparseL38csr2bsr_block_per_row_multipass_kernelILj256ELj64E21rocsparse_complex_numIfEliEEv20rocsparse_direction_T3_S4_S4_S4_S4_21rocsparse_index_base_PKT1_PKT2_PKS4_S5_PS6_PS9_PS4_, .Lfunc_end88-_ZN9rocsparseL38csr2bsr_block_per_row_multipass_kernelILj256ELj64E21rocsparse_complex_numIfEliEEv20rocsparse_direction_T3_S4_S4_S4_S4_21rocsparse_index_base_PKT1_PKT2_PKS4_S5_PS6_PS9_PS4_
                                        ; -- End function
	.set _ZN9rocsparseL38csr2bsr_block_per_row_multipass_kernelILj256ELj64E21rocsparse_complex_numIfEliEEv20rocsparse_direction_T3_S4_S4_S4_S4_21rocsparse_index_base_PKT1_PKT2_PKS4_S5_PS6_PS9_PS4_.num_vgpr, 70
	.set _ZN9rocsparseL38csr2bsr_block_per_row_multipass_kernelILj256ELj64E21rocsparse_complex_numIfEliEEv20rocsparse_direction_T3_S4_S4_S4_S4_21rocsparse_index_base_PKT1_PKT2_PKS4_S5_PS6_PS9_PS4_.num_agpr, 0
	.set _ZN9rocsparseL38csr2bsr_block_per_row_multipass_kernelILj256ELj64E21rocsparse_complex_numIfEliEEv20rocsparse_direction_T3_S4_S4_S4_S4_21rocsparse_index_base_PKT1_PKT2_PKS4_S5_PS6_PS9_PS4_.numbered_sgpr, 48
	.set _ZN9rocsparseL38csr2bsr_block_per_row_multipass_kernelILj256ELj64E21rocsparse_complex_numIfEliEEv20rocsparse_direction_T3_S4_S4_S4_S4_21rocsparse_index_base_PKT1_PKT2_PKS4_S5_PS6_PS9_PS4_.num_named_barrier, 0
	.set _ZN9rocsparseL38csr2bsr_block_per_row_multipass_kernelILj256ELj64E21rocsparse_complex_numIfEliEEv20rocsparse_direction_T3_S4_S4_S4_S4_21rocsparse_index_base_PKT1_PKT2_PKS4_S5_PS6_PS9_PS4_.private_seg_size, 0
	.set _ZN9rocsparseL38csr2bsr_block_per_row_multipass_kernelILj256ELj64E21rocsparse_complex_numIfEliEEv20rocsparse_direction_T3_S4_S4_S4_S4_21rocsparse_index_base_PKT1_PKT2_PKS4_S5_PS6_PS9_PS4_.uses_vcc, 1
	.set _ZN9rocsparseL38csr2bsr_block_per_row_multipass_kernelILj256ELj64E21rocsparse_complex_numIfEliEEv20rocsparse_direction_T3_S4_S4_S4_S4_21rocsparse_index_base_PKT1_PKT2_PKS4_S5_PS6_PS9_PS4_.uses_flat_scratch, 0
	.set _ZN9rocsparseL38csr2bsr_block_per_row_multipass_kernelILj256ELj64E21rocsparse_complex_numIfEliEEv20rocsparse_direction_T3_S4_S4_S4_S4_21rocsparse_index_base_PKT1_PKT2_PKS4_S5_PS6_PS9_PS4_.has_dyn_sized_stack, 0
	.set _ZN9rocsparseL38csr2bsr_block_per_row_multipass_kernelILj256ELj64E21rocsparse_complex_numIfEliEEv20rocsparse_direction_T3_S4_S4_S4_S4_21rocsparse_index_base_PKT1_PKT2_PKS4_S5_PS6_PS9_PS4_.has_recursion, 0
	.set _ZN9rocsparseL38csr2bsr_block_per_row_multipass_kernelILj256ELj64E21rocsparse_complex_numIfEliEEv20rocsparse_direction_T3_S4_S4_S4_S4_21rocsparse_index_base_PKT1_PKT2_PKS4_S5_PS6_PS9_PS4_.has_indirect_call, 0
	.section	.AMDGPU.csdata,"",@progbits
; Kernel info:
; codeLenInByte = 3504
; TotalNumSgprs: 50
; NumVgprs: 70
; ScratchSize: 0
; MemoryBound: 0
; FloatMode: 240
; IeeeMode: 1
; LDSByteSize: 32772 bytes/workgroup (compile time only)
; SGPRBlocks: 0
; VGPRBlocks: 4
; NumSGPRsForWavesPerEU: 50
; NumVGPRsForWavesPerEU: 70
; NamedBarCnt: 0
; Occupancy: 12
; WaveLimiterHint : 0
; COMPUTE_PGM_RSRC2:SCRATCH_EN: 0
; COMPUTE_PGM_RSRC2:USER_SGPR: 2
; COMPUTE_PGM_RSRC2:TRAP_HANDLER: 0
; COMPUTE_PGM_RSRC2:TGID_X_EN: 1
; COMPUTE_PGM_RSRC2:TGID_Y_EN: 0
; COMPUTE_PGM_RSRC2:TGID_Z_EN: 0
; COMPUTE_PGM_RSRC2:TIDIG_COMP_CNT: 0
	.section	.text._ZN9rocsparseL21csr2bsr_65_inf_kernelILj32E21rocsparse_complex_numIfEliEEv20rocsparse_direction_T2_S4_S4_S4_S4_S4_21rocsparse_index_base_PKT0_PKT1_PKS4_S5_PS6_PS9_PS4_SF_SG_SE_,"axG",@progbits,_ZN9rocsparseL21csr2bsr_65_inf_kernelILj32E21rocsparse_complex_numIfEliEEv20rocsparse_direction_T2_S4_S4_S4_S4_S4_21rocsparse_index_base_PKT0_PKT1_PKS4_S5_PS6_PS9_PS4_SF_SG_SE_,comdat
	.globl	_ZN9rocsparseL21csr2bsr_65_inf_kernelILj32E21rocsparse_complex_numIfEliEEv20rocsparse_direction_T2_S4_S4_S4_S4_S4_21rocsparse_index_base_PKT0_PKT1_PKS4_S5_PS6_PS9_PS4_SF_SG_SE_ ; -- Begin function _ZN9rocsparseL21csr2bsr_65_inf_kernelILj32E21rocsparse_complex_numIfEliEEv20rocsparse_direction_T2_S4_S4_S4_S4_S4_21rocsparse_index_base_PKT0_PKT1_PKS4_S5_PS6_PS9_PS4_SF_SG_SE_
	.p2align	8
	.type	_ZN9rocsparseL21csr2bsr_65_inf_kernelILj32E21rocsparse_complex_numIfEliEEv20rocsparse_direction_T2_S4_S4_S4_S4_S4_21rocsparse_index_base_PKT0_PKT1_PKS4_S5_PS6_PS9_PS4_SF_SG_SE_,@function
_ZN9rocsparseL21csr2bsr_65_inf_kernelILj32E21rocsparse_complex_numIfEliEEv20rocsparse_direction_T2_S4_S4_S4_S4_S4_21rocsparse_index_base_PKT0_PKT1_PKS4_S5_PS6_PS9_PS4_SF_SG_SE_: ; @_ZN9rocsparseL21csr2bsr_65_inf_kernelILj32E21rocsparse_complex_numIfEliEEv20rocsparse_direction_T2_S4_S4_S4_S4_S4_21rocsparse_index_base_PKT0_PKT1_PKS4_S5_PS6_PS9_PS4_SF_SG_SE_
; %bb.0:
	s_clause 0x2
	s_load_b128 s[4:7], s[0:1], 0x0
	s_load_b64 s[2:3], s[0:1], 0x58
	s_load_b32 s15, s[0:1], 0x38
	s_bfe_u32 s8, ttmp6, 0x4000c
	s_and_b32 s9, ttmp6, 15
	s_add_co_i32 s8, s8, 1
	s_getreg_b32 s10, hwreg(HW_REG_IB_STS2, 6, 4)
	s_mul_i32 s8, ttmp9, s8
	s_mov_b32 s27, 0
	s_add_co_i32 s9, s9, s8
	s_cmp_eq_u32 s10, 0
	s_cselect_b32 s22, ttmp9, s9
	s_wait_kmcnt 0x0
	s_cmp_ge_i32 s22, s7
	s_mov_b32 s7, 0
	s_cbranch_scc1 .LBB89_2
; %bb.1:
	s_load_b64 s[8:9], s[0:1], 0x48
	s_ashr_i32 s23, s22, 31
	s_delay_alu instid0(SALU_CYCLE_1)
	s_lshl_b64 s[10:11], s[22:23], 3
	s_wait_kmcnt 0x0
	s_add_nc_u64 s[8:9], s[8:9], s[10:11]
	s_load_b32 s7, s[8:9], 0x0
	s_wait_kmcnt 0x0
	s_sub_co_i32 s7, s7, s15
.LBB89_2:
	s_load_b96 s[12:14], s[0:1], 0x14
	s_wait_kmcnt 0x0
	v_mul_lo_u32 v6, s13, v0
	s_mul_i32 s8, s22, s13
	s_delay_alu instid0(SALU_CYCLE_1) | instskip(NEXT) | instid1(SALU_CYCLE_1)
	s_lshl_b32 s26, s8, 6
	s_lshl_b64 s[8:9], s[26:27], 3
	s_lshl_b32 s26, s13, 5
	s_add_nc_u64 s[24:25], s[2:3], s[8:9]
	s_cmp_gt_i32 s13, 0
	s_cselect_b32 s28, -1, 0
	s_delay_alu instid0(VALU_DEP_1) | instskip(SKIP_1) | instid1(VALU_DEP_1)
	v_ashrrev_i32_e32 v7, 31, v6
	s_cmp_lt_i32 s13, 1
	v_lshl_add_u64 v[2:3], v[6:7], 3, s[24:25]
	s_cbranch_scc1 .LBB89_7
; %bb.3:
	s_load_b64 s[8:9], s[0:1], 0x28
	v_mov_b64_e32 v[4:5], 0
	s_delay_alu instid0(VALU_DEP_2)
	v_mov_b64_e32 v[8:9], v[2:3]
	v_mov_b32_e32 v1, v0
	s_mul_i32 s3, s12, s22
	s_mov_b32 s11, 0
	s_mov_b32 s10, s14
	s_lshl_b64 s[16:17], s[26:27], 3
	s_mov_b32 s18, s13
	s_branch .LBB89_5
.LBB89_4:                               ;   in Loop: Header=BB89_5 Depth=1
	s_wait_xcnt 0x0
	s_or_b32 exec_lo, exec_lo, s2
	v_add_nc_u64_e32 v[8:9], 8, v[8:9]
	v_add_nc_u32_e32 v1, 32, v1
	s_add_co_i32 s18, s18, -1
	s_delay_alu instid0(SALU_CYCLE_1)
	s_cmp_eq_u32 s18, 0
	s_cbranch_scc1 .LBB89_7
.LBB89_5:                               ; =>This Inner Loop Header: Depth=1
	s_delay_alu instid0(VALU_DEP_1) | instskip(NEXT) | instid1(VALU_DEP_3)
	v_add_nc_u32_e32 v12, s3, v1
	v_add_nc_u64_e32 v[10:11], s[16:17], v[8:9]
	v_cmp_gt_u32_e64 s2, s12, v1
	global_store_b64 v[8:9], v[4:5], off
	v_cmp_gt_i32_e32 vcc_lo, s5, v12
	global_store_b64 v[10:11], v[4:5], off
	s_and_b32 s19, s2, vcc_lo
	s_wait_xcnt 0x0
	s_and_saveexec_b32 s2, s19
	s_cbranch_execz .LBB89_4
; %bb.6:                                ;   in Loop: Header=BB89_5 Depth=1
	v_ashrrev_i32_e32 v13, 31, v12
	s_wait_kmcnt 0x0
	s_delay_alu instid0(VALU_DEP_1)
	v_lshl_add_u64 v[12:13], v[12:13], 3, s[8:9]
	global_load_b128 v[12:15], v[12:13], off
	s_wait_loadcnt 0x0
	v_sub_nc_u64_e64 v[12:13], v[12:13], s[10:11]
	v_sub_nc_u64_e64 v[14:15], v[14:15], s[10:11]
	s_clause 0x1
	global_store_b64 v[8:9], v[12:13], off
	global_store_b64 v[10:11], v[14:15], off
	s_branch .LBB89_4
.LBB89_7:
	s_cmp_lt_i32 s6, 1
	s_cbranch_scc1 .LBB89_37
; %bb.8:
	v_mbcnt_lo_u32_b32 v10, -1, 0
	s_mul_i32 s22, s26, s22
	s_mov_b32 s23, 0
	s_wait_kmcnt 0x0
	s_clause 0x4
	s_load_b128 s[8:11], s[0:1], 0x60
	s_load_b64 s[2:3], s[0:1], 0x50
	s_load_b64 s[16:17], s[0:1], 0x40
	;; [unrolled: 1-line block ×4, first 2 shown]
	s_wait_xcnt 0x0
	s_lshl_b64 s[0:1], s[26:27], 3
	v_xor_b32_e32 v11, 8, v10
	v_xor_b32_e32 v1, 16, v10
	s_lshl_b64 s[26:27], s[22:23], 2
	s_lshl_b64 s[30:31], s[22:23], 3
	s_cmp_lg_u32 s4, 0
	s_add_nc_u64 s[4:5], s[24:25], s[0:1]
	v_cmp_gt_i32_e32 vcc_lo, 32, v1
	s_cselect_b32 s1, -1, 0
	s_abs_i32 s24, s12
	v_lshlrev_b64_e32 v[8:9], 3, v[6:7]
	s_cvt_f32_u32 s0, s24
	v_dual_cndmask_b32 v1, v10, v1, vcc_lo :: v_dual_bitop2_b32 v12, 4, v10 bitop3:0x14
	v_mul_lo_u32 v35, v0, s12
	s_delay_alu instid0(SALU_CYCLE_1) | instskip(NEXT) | instid1(VALU_DEP_2)
	v_rcp_iflag_f32_e32 v14, s0
	v_dual_mov_b32 v37, 0 :: v_dual_lshlrev_b32 v1, 2, v1
	v_cmp_gt_i32_e32 vcc_lo, 32, v11
	v_add_nc_u64_e32 v[4:5], s[4:5], v[8:9]
	s_wait_kmcnt 0x0
	s_add_nc_u64 s[4:5], s[8:9], s[26:27]
	s_add_nc_u64 s[8:9], s[10:11], s[30:31]
	v_readfirstlane_b32 s0, v14
	v_cndmask_b32_e32 v11, v10, v11, vcc_lo
	v_cmp_gt_i32_e32 vcc_lo, 32, v12
	v_xor_b32_e32 v13, 2, v10
	v_lshl_add_u64 v[6:7], v[6:7], 2, s[4:5]
	s_mul_f32 s4, s0, 0x4f7ffffe
	v_add_nc_u64_e32 v[8:9], s[8:9], v[8:9]
	v_cndmask_b32_e32 v12, v10, v12, vcc_lo
	v_cmp_gt_i32_e32 vcc_lo, 32, v13
	v_xor_b32_e32 v15, 1, v10
	s_cvt_u32_f32 s10, s4
	s_sub_co_i32 s4, 0, s24
	v_cmp_eq_u32_e64 s0, 31, v0
	v_cndmask_b32_e32 v13, v10, v13, vcc_lo
	v_cmp_gt_i32_e32 vcc_lo, 32, v15
	v_dual_lshlrev_b32 v30, 2, v11 :: v_dual_lshlrev_b32 v31, 2, v12
	s_mul_i32 s8, s4, s10
	s_delay_alu instid0(VALU_DEP_3) | instskip(SKIP_2) | instid1(VALU_DEP_3)
	v_dual_lshlrev_b32 v32, 2, v13 :: v_dual_cndmask_b32 v10, v10, v15, vcc_lo
	v_mov_b64_e32 v[12:13], 0
	v_dual_mov_b32 v34, 0x7c :: v_dual_mov_b32 v11, 0
	v_dual_mov_b32 v36, 0 :: v_dual_lshlrev_b32 v33, 2, v10
	v_mov_b32_e32 v10, 0
	s_ashr_i32 s5, s12, 31
	s_mov_b32 s4, s12
	s_mul_hi_u32 s11, s10, s8
	s_add_co_i32 s25, s7, -1
	s_mul_u64 s[8:9], s[4:5], s[4:5]
	s_add_co_i32 s10, s10, s11
	s_mov_b32 s11, s23
	s_lshl_b32 s4, s12, 5
	s_mov_b32 s26, 0
	s_branch .LBB89_10
.LBB89_9:                               ;   in Loop: Header=BB89_10 Depth=1
	s_wait_dscnt 0x1
	v_add_nc_u32_e32 v10, 1, v38
	s_delay_alu instid0(VALU_DEP_1) | instskip(SKIP_1) | instid1(SALU_CYCLE_1)
	v_cmp_le_i32_e32 vcc_lo, s6, v10
	s_or_b32 s26, vcc_lo, s26
	s_and_not1_b32 exec_lo, exec_lo, s26
	s_cbranch_execz .LBB89_37
.LBB89_10:                              ; =>This Loop Header: Depth=1
                                        ;     Child Loop BB89_14 Depth 2
                                        ;       Child Loop BB89_17 Depth 3
                                        ;     Child Loop BB89_31 Depth 2
	v_mov_b32_e32 v28, s6
	s_and_not1_b32 vcc_lo, exec_lo, s28
	s_cbranch_vccnz .LBB89_23
; %bb.11:                               ;   in Loop: Header=BB89_10 Depth=1
	v_mov_b32_e32 v28, s6
	s_mov_b32 s22, 0
	s_branch .LBB89_14
.LBB89_12:                              ;   in Loop: Header=BB89_14 Depth=2
	s_wait_xcnt 0x0
	s_or_b32 exec_lo, exec_lo, s29
.LBB89_13:                              ;   in Loop: Header=BB89_14 Depth=2
	s_delay_alu instid0(SALU_CYCLE_1) | instskip(SKIP_1) | instid1(SALU_CYCLE_1)
	s_or_b32 exec_lo, exec_lo, s27
	s_add_co_i32 s22, s22, 1
	s_cmp_eq_u32 s22, s13
	s_cbranch_scc1 .LBB89_23
.LBB89_14:                              ;   Parent Loop BB89_10 Depth=1
                                        ; =>  This Loop Header: Depth=2
                                        ;       Child Loop BB89_17 Depth 3
	s_lshl_b64 s[30:31], s[22:23], 3
	v_lshl_add_u64 v[18:19], s[22:23], 2, v[6:7]
	v_add_nc_u64_e32 v[14:15], s[30:31], v[2:3]
	v_add_nc_u64_e32 v[16:17], s[30:31], v[4:5]
	v_mov_b32_e32 v20, s6
	s_mov_b32 s27, exec_lo
	s_clause 0x1
	global_load_b64 v[24:25], v[14:15], off
	global_load_b64 v[22:23], v[16:17], off
	s_wait_xcnt 0x0
	v_add_nc_u64_e32 v[16:17], s[30:31], v[8:9]
	global_store_b64 v[16:17], v[12:13], off
	global_store_b32 v[18:19], v20, off
	s_wait_loadcnt 0x0
	s_wait_xcnt 0x0
	v_cmpx_lt_i64_e64 v[24:25], v[22:23]
	s_cbranch_execz .LBB89_13
; %bb.15:                               ;   in Loop: Header=BB89_14 Depth=2
	v_lshl_add_u64 v[26:27], v[24:25], 2, s[20:21]
	s_mov_b32 s29, 0
                                        ; implicit-def: $sgpr30
                                        ; implicit-def: $sgpr33
                                        ; implicit-def: $sgpr31
	s_branch .LBB89_17
.LBB89_16:                              ;   in Loop: Header=BB89_17 Depth=3
	s_or_b32 exec_lo, exec_lo, s34
	s_delay_alu instid0(SALU_CYCLE_1) | instskip(NEXT) | instid1(SALU_CYCLE_1)
	s_and_b32 s34, exec_lo, s33
	s_or_b32 s29, s34, s29
	s_and_not1_b32 s30, s30, exec_lo
	s_and_b32 s34, s31, exec_lo
	s_delay_alu instid0(SALU_CYCLE_1)
	s_or_b32 s30, s30, s34
	s_and_not1_b32 exec_lo, exec_lo, s29
	s_cbranch_execz .LBB89_19
.LBB89_17:                              ;   Parent Loop BB89_10 Depth=1
                                        ;     Parent Loop BB89_14 Depth=2
                                        ; =>    This Inner Loop Header: Depth=3
	global_load_b32 v20, v[26:27], off
	s_or_b32 s31, s31, exec_lo
	s_or_b32 s33, s33, exec_lo
	s_mov_b32 s34, exec_lo
	s_wait_loadcnt 0x0
	v_subrev_nc_u32_e32 v29, s14, v20
	v_mov_b64_e32 v[20:21], v[24:25]
                                        ; implicit-def: $vgpr24_vgpr25
	s_wait_xcnt 0x0
	s_delay_alu instid0(VALU_DEP_2)
	v_cmpx_lt_i32_e64 v29, v10
	s_cbranch_execz .LBB89_16
; %bb.18:                               ;   in Loop: Header=BB89_17 Depth=3
	s_delay_alu instid0(VALU_DEP_2) | instskip(SKIP_3) | instid1(VALU_DEP_2)
	v_add_nc_u64_e32 v[24:25], 1, v[20:21]
	v_add_nc_u64_e32 v[26:27], 4, v[26:27]
	s_and_not1_b32 s33, s33, exec_lo
	s_and_not1_b32 s31, s31, exec_lo
	v_cmp_ge_i64_e32 vcc_lo, v[24:25], v[22:23]
	s_and_b32 s35, vcc_lo, exec_lo
	s_delay_alu instid0(SALU_CYCLE_1)
	s_or_b32 s33, s33, s35
	s_branch .LBB89_16
.LBB89_19:                              ;   in Loop: Header=BB89_14 Depth=2
	s_or_b32 exec_lo, exec_lo, s29
	v_lshl_add_u64 v[22:23], v[20:21], 3, s[18:19]
	s_xor_b32 s29, s30, -1
	s_delay_alu instid0(SALU_CYCLE_1) | instskip(NEXT) | instid1(SALU_CYCLE_1)
	s_and_saveexec_b32 s30, s29
	s_xor_b32 s29, exec_lo, s30
	s_cbranch_execz .LBB89_21
; %bb.20:                               ;   in Loop: Header=BB89_14 Depth=2
	global_load_b64 v[14:15], v[22:23], off
                                        ; implicit-def: $vgpr22_vgpr23
	s_wait_loadcnt 0x0
	global_store_b64 v[16:17], v[14:15], off
	global_store_b32 v[18:19], v29, off
                                        ; implicit-def: $vgpr16_vgpr17
                                        ; implicit-def: $vgpr18_vgpr19
                                        ; implicit-def: $vgpr14_vgpr15
.LBB89_21:                              ;   in Loop: Header=BB89_14 Depth=2
	s_wait_xcnt 0x0
	s_and_not1_saveexec_b32 s29, s29
	s_cbranch_execz .LBB89_12
; %bb.22:                               ;   in Loop: Header=BB89_14 Depth=2
	global_load_b64 v[22:23], v[22:23], off
	v_min_i32_e32 v28, v29, v28
	global_store_b32 v[18:19], v29, off
	s_wait_loadcnt 0x0
	global_store_b64 v[16:17], v[22:23], off
	global_store_b64 v[14:15], v[20:21], off
	s_branch .LBB89_12
.LBB89_23:                              ;   in Loop: Header=BB89_10 Depth=1
	ds_bpermute_b32 v10, v1, v28
	s_wait_dscnt 0x0
	v_min_i32_e32 v10, v10, v28
	ds_bpermute_b32 v14, v30, v10
	s_wait_dscnt 0x0
	v_min_i32_e32 v10, v14, v10
	;; [unrolled: 3-line block ×5, first 2 shown]
	s_delay_alu instid0(VALU_DEP_1) | instskip(SKIP_1) | instid1(SALU_CYCLE_1)
	v_cmp_gt_i32_e32 vcc_lo, s6, v14
	s_and_b32 s27, s0, vcc_lo
	s_and_saveexec_b32 s22, s27
	s_cbranch_execz .LBB89_27
; %bb.24:                               ;   in Loop: Header=BB89_10 Depth=1
	v_sub_nc_u32_e32 v10, 0, v14
	s_mov_b32 s27, exec_lo
	s_delay_alu instid0(VALU_DEP_1) | instskip(NEXT) | instid1(VALU_DEP_1)
	v_max_i32_e32 v10, v14, v10
	v_mul_u64_e32 v[16:17], s[10:11], v[10:11]
	s_delay_alu instid0(VALU_DEP_1) | instskip(NEXT) | instid1(VALU_DEP_1)
	v_mul_lo_u32 v15, v17, s24
	v_dual_sub_nc_u32 v10, v10, v15 :: v_dual_add_nc_u32 v15, 1, v17
	s_delay_alu instid0(VALU_DEP_1) | instskip(NEXT) | instid1(VALU_DEP_2)
	v_cmp_le_u32_e32 vcc_lo, s24, v10
	v_dual_cndmask_b32 v15, v17, v15, vcc_lo :: v_dual_ashrrev_i32 v17, 31, v14
	v_subrev_nc_u32_e32 v16, s24, v10
	s_delay_alu instid0(VALU_DEP_1) | instskip(NEXT) | instid1(VALU_DEP_1)
	v_dual_cndmask_b32 v10, v10, v16, vcc_lo :: v_dual_add_nc_u32 v16, 1, v15
	v_cmp_le_u32_e32 vcc_lo, s24, v10
	s_delay_alu instid0(VALU_DEP_2) | instskip(NEXT) | instid1(VALU_DEP_1)
	v_dual_cndmask_b32 v10, v15, v16, vcc_lo :: v_dual_bitop2_b32 v17, s5, v17 bitop3:0x14
	v_xor_b32_e32 v10, v10, v17
	s_delay_alu instid0(VALU_DEP_1) | instskip(NEXT) | instid1(VALU_DEP_1)
	v_sub_nc_u32_e32 v10, v10, v17
	v_cmpx_ge_i32_e64 v10, v36
	s_cbranch_execz .LBB89_26
; %bb.25:                               ;   in Loop: Header=BB89_10 Depth=1
	v_dual_add_nc_u32 v15, 1, v37 :: v_dual_add_nc_u32 v36, 1, v10
	v_dual_add_nc_u32 v16, s7, v37 :: v_dual_add_nc_u32 v10, s15, v10
	s_delay_alu instid0(VALU_DEP_2)
	v_mov_b32_e32 v37, v15
	global_store_b32 v16, v10, s[2:3] scale_offset
.LBB89_26:                              ;   in Loop: Header=BB89_10 Depth=1
	s_wait_xcnt 0x0
	s_or_b32 exec_lo, exec_lo, s27
.LBB89_27:                              ;   in Loop: Header=BB89_10 Depth=1
	s_delay_alu instid0(SALU_CYCLE_1)
	s_or_b32 exec_lo, exec_lo, s22
	ds_bpermute_b32 v38, v34, v14
	ds_bpermute_b32 v37, v34, v37
	s_and_not1_b32 vcc_lo, exec_lo, s28
	s_cbranch_vccnz .LBB89_9
; %bb.28:                               ;   in Loop: Header=BB89_10 Depth=1
	s_wait_dscnt 0x0
	v_dual_sub_nc_u32 v10, 0, v38 :: v_dual_add_nc_u32 v16, s25, v37
	s_mov_b32 s22, s13
	v_dual_mov_b32 v18, v0 :: v_dual_mov_b32 v22, v35
	s_delay_alu instid0(VALU_DEP_2) | instskip(NEXT) | instid1(VALU_DEP_1)
	v_dual_ashrrev_i32 v17, 31, v16 :: v_dual_max_i32 v10, v38, v10
	v_mul_u64_e32 v[14:15], s[10:11], v[10:11]
	s_delay_alu instid0(VALU_DEP_2) | instskip(NEXT) | instid1(VALU_DEP_2)
	v_mul_u64_e32 v[20:21], s[8:9], v[16:17]
	v_mul_lo_u32 v14, v15, s24
	s_delay_alu instid0(VALU_DEP_2) | instskip(NEXT) | instid1(VALU_DEP_2)
	v_lshl_add_u64 v[20:21], v[20:21], 3, s[16:17]
	v_dual_sub_nc_u32 v10, v10, v14 :: v_dual_add_nc_u32 v14, 1, v15
	s_delay_alu instid0(VALU_DEP_1) | instskip(SKIP_1) | instid1(VALU_DEP_2)
	v_subrev_nc_u32_e32 v16, s24, v10
	v_cmp_le_u32_e32 vcc_lo, s24, v10
	v_dual_cndmask_b32 v14, v15, v14, vcc_lo :: v_dual_cndmask_b32 v10, v10, v16, vcc_lo
	s_delay_alu instid0(VALU_DEP_1) | instskip(NEXT) | instid1(VALU_DEP_2)
	v_add_nc_u32_e32 v16, 1, v14
	v_cmp_le_u32_e32 vcc_lo, s24, v10
	s_delay_alu instid0(VALU_DEP_2) | instskip(NEXT) | instid1(VALU_DEP_1)
	v_dual_cndmask_b32 v10, v14, v16 :: v_dual_ashrrev_i32 v15, 31, v38
	v_xor_b32_e32 v19, s5, v15
	v_mov_b64_e32 v[14:15], v[8:9]
	v_mov_b64_e32 v[16:17], v[6:7]
	s_delay_alu instid0(VALU_DEP_3) | instskip(NEXT) | instid1(VALU_DEP_1)
	v_xor_b32_e32 v10, v10, v19
	v_sub_nc_u32_e32 v39, v10, v19
	s_branch .LBB89_31
.LBB89_29:                              ;   in Loop: Header=BB89_31 Depth=2
	s_delay_alu instid0(VALU_DEP_1) | instskip(NEXT) | instid1(VALU_DEP_1)
	v_lshl_add_u64 v[26:27], v[26:27], 3, v[20:21]
	v_lshl_add_u64 v[26:27], v[28:29], 3, v[26:27]
	s_wait_loadcnt 0x0
	global_store_b64 v[26:27], v[24:25], off
.LBB89_30:                              ;   in Loop: Header=BB89_31 Depth=2
	s_wait_xcnt 0x0
	s_or_b32 exec_lo, exec_lo, s27
	v_add_nc_u64_e32 v[16:17], 4, v[16:17]
	v_add_nc_u64_e32 v[14:15], 8, v[14:15]
	v_add_nc_u32_e32 v22, s4, v22
	v_add_nc_u32_e32 v18, 32, v18
	s_add_co_i32 s22, s22, -1
	s_delay_alu instid0(SALU_CYCLE_1)
	s_cmp_eq_u32 s22, 0
	s_cbranch_scc1 .LBB89_9
.LBB89_31:                              ;   Parent Loop BB89_10 Depth=1
                                        ; =>  This Inner Loop Header: Depth=2
	global_load_b32 v19, v[16:17], off
	s_mov_b32 s27, exec_lo
	s_wait_loadcnt 0x0
	v_cmpx_gt_i32_e64 s6, v19
	s_cbranch_execz .LBB89_30
; %bb.32:                               ;   in Loop: Header=BB89_31 Depth=2
	v_sub_nc_u32_e32 v10, 0, v19
	s_delay_alu instid0(VALU_DEP_1) | instskip(NEXT) | instid1(VALU_DEP_1)
	v_max_i32_e32 v10, v19, v10
	v_mul_u64_e32 v[24:25], s[10:11], v[10:11]
	s_delay_alu instid0(VALU_DEP_1) | instskip(NEXT) | instid1(VALU_DEP_1)
	v_mul_lo_u32 v23, v25, s24
	v_dual_add_nc_u32 v24, 1, v25 :: v_dual_sub_nc_u32 v23, v10, v23
	s_delay_alu instid0(VALU_DEP_1) | instskip(NEXT) | instid1(VALU_DEP_2)
	v_cmp_le_u32_e32 vcc_lo, s24, v23
	v_cndmask_b32_e32 v24, v25, v24, vcc_lo
	s_delay_alu instid0(VALU_DEP_1) | instskip(SKIP_1) | instid1(VALU_DEP_1)
	v_add_nc_u32_e32 v25, 1, v24
	v_subrev_nc_u32_e32 v26, s24, v23
	v_dual_cndmask_b32 v23, v23, v26 :: v_dual_ashrrev_i32 v40, 31, v19
	s_delay_alu instid0(VALU_DEP_1) | instskip(NEXT) | instid1(VALU_DEP_2)
	v_cmp_le_u32_e32 vcc_lo, s24, v23
	v_dual_cndmask_b32 v23, v24, v25, vcc_lo :: v_dual_bitop2_b32 v26, s5, v40 bitop3:0x14
	s_delay_alu instid0(VALU_DEP_1) | instskip(NEXT) | instid1(VALU_DEP_1)
	v_xor_b32_e32 v23, v23, v26
	v_sub_nc_u32_e32 v23, v23, v26
	s_delay_alu instid0(VALU_DEP_1)
	v_cmp_eq_u32_e32 vcc_lo, v23, v39
	s_and_b32 exec_lo, exec_lo, vcc_lo
	s_cbranch_execz .LBB89_30
; %bb.33:                               ;   in Loop: Header=BB89_31 Depth=2
	global_load_b64 v[24:25], v[14:15], off
	s_and_b32 vcc_lo, exec_lo, s1
	s_cbranch_vccz .LBB89_35
; %bb.34:                               ;   in Loop: Header=BB89_31 Depth=2
	v_mul_lo_u32 v23, v39, s12
	s_delay_alu instid0(VALU_DEP_1) | instskip(NEXT) | instid1(VALU_DEP_1)
	v_sub_nc_u32_e32 v19, v19, v23
	v_mul_lo_u32 v26, v19, s12
	v_mov_b32_e32 v19, v11
	s_delay_alu instid0(VALU_DEP_1) | instskip(NEXT) | instid1(VALU_DEP_3)
	v_mov_b64_e32 v[28:29], v[18:19]
	v_ashrrev_i32_e32 v27, 31, v26
	s_cbranch_execnz .LBB89_29
	s_branch .LBB89_36
.LBB89_35:                              ;   in Loop: Header=BB89_31 Depth=2
	v_mov_b32_e32 v23, v11
                                        ; implicit-def: $vgpr28_vgpr29
	s_delay_alu instid0(VALU_DEP_1)
	v_mov_b64_e32 v[26:27], v[22:23]
.LBB89_36:                              ;   in Loop: Header=BB89_31 Depth=2
	v_mul_u64_e32 v[28:29], s[10:11], v[10:11]
	s_delay_alu instid0(VALU_DEP_1) | instskip(NEXT) | instid1(VALU_DEP_1)
	v_mul_lo_u32 v19, v29, s24
	v_sub_nc_u32_e32 v10, v10, v19
	s_delay_alu instid0(VALU_DEP_1) | instskip(SKIP_1) | instid1(VALU_DEP_2)
	v_subrev_nc_u32_e32 v19, s24, v10
	v_cmp_le_u32_e32 vcc_lo, s24, v10
	v_cndmask_b32_e32 v10, v10, v19, vcc_lo
	s_delay_alu instid0(VALU_DEP_1) | instskip(SKIP_1) | instid1(VALU_DEP_2)
	v_subrev_nc_u32_e32 v19, s24, v10
	v_cmp_le_u32_e32 vcc_lo, s24, v10
	v_cndmask_b32_e32 v10, v10, v19, vcc_lo
	s_delay_alu instid0(VALU_DEP_1) | instskip(NEXT) | instid1(VALU_DEP_1)
	v_xor_b32_e32 v10, v10, v40
	v_sub_nc_u32_e32 v28, v10, v40
	s_delay_alu instid0(VALU_DEP_1)
	v_ashrrev_i32_e32 v29, 31, v28
	s_branch .LBB89_29
.LBB89_37:
	s_endpgm
	.section	.rodata,"a",@progbits
	.p2align	6, 0x0
	.amdhsa_kernel _ZN9rocsparseL21csr2bsr_65_inf_kernelILj32E21rocsparse_complex_numIfEliEEv20rocsparse_direction_T2_S4_S4_S4_S4_S4_21rocsparse_index_base_PKT0_PKT1_PKS4_S5_PS6_PS9_PS4_SF_SG_SE_
		.amdhsa_group_segment_fixed_size 0
		.amdhsa_private_segment_fixed_size 0
		.amdhsa_kernarg_size 112
		.amdhsa_user_sgpr_count 2
		.amdhsa_user_sgpr_dispatch_ptr 0
		.amdhsa_user_sgpr_queue_ptr 0
		.amdhsa_user_sgpr_kernarg_segment_ptr 1
		.amdhsa_user_sgpr_dispatch_id 0
		.amdhsa_user_sgpr_kernarg_preload_length 0
		.amdhsa_user_sgpr_kernarg_preload_offset 0
		.amdhsa_user_sgpr_private_segment_size 0
		.amdhsa_wavefront_size32 1
		.amdhsa_uses_dynamic_stack 0
		.amdhsa_enable_private_segment 0
		.amdhsa_system_sgpr_workgroup_id_x 1
		.amdhsa_system_sgpr_workgroup_id_y 0
		.amdhsa_system_sgpr_workgroup_id_z 0
		.amdhsa_system_sgpr_workgroup_info 0
		.amdhsa_system_vgpr_workitem_id 0
		.amdhsa_next_free_vgpr 41
		.amdhsa_next_free_sgpr 36
		.amdhsa_named_barrier_count 0
		.amdhsa_reserve_vcc 1
		.amdhsa_float_round_mode_32 0
		.amdhsa_float_round_mode_16_64 0
		.amdhsa_float_denorm_mode_32 3
		.amdhsa_float_denorm_mode_16_64 3
		.amdhsa_fp16_overflow 0
		.amdhsa_memory_ordered 1
		.amdhsa_forward_progress 1
		.amdhsa_inst_pref_size 17
		.amdhsa_round_robin_scheduling 0
		.amdhsa_exception_fp_ieee_invalid_op 0
		.amdhsa_exception_fp_denorm_src 0
		.amdhsa_exception_fp_ieee_div_zero 0
		.amdhsa_exception_fp_ieee_overflow 0
		.amdhsa_exception_fp_ieee_underflow 0
		.amdhsa_exception_fp_ieee_inexact 0
		.amdhsa_exception_int_div_zero 0
	.end_amdhsa_kernel
	.section	.text._ZN9rocsparseL21csr2bsr_65_inf_kernelILj32E21rocsparse_complex_numIfEliEEv20rocsparse_direction_T2_S4_S4_S4_S4_S4_21rocsparse_index_base_PKT0_PKT1_PKS4_S5_PS6_PS9_PS4_SF_SG_SE_,"axG",@progbits,_ZN9rocsparseL21csr2bsr_65_inf_kernelILj32E21rocsparse_complex_numIfEliEEv20rocsparse_direction_T2_S4_S4_S4_S4_S4_21rocsparse_index_base_PKT0_PKT1_PKS4_S5_PS6_PS9_PS4_SF_SG_SE_,comdat
.Lfunc_end89:
	.size	_ZN9rocsparseL21csr2bsr_65_inf_kernelILj32E21rocsparse_complex_numIfEliEEv20rocsparse_direction_T2_S4_S4_S4_S4_S4_21rocsparse_index_base_PKT0_PKT1_PKS4_S5_PS6_PS9_PS4_SF_SG_SE_, .Lfunc_end89-_ZN9rocsparseL21csr2bsr_65_inf_kernelILj32E21rocsparse_complex_numIfEliEEv20rocsparse_direction_T2_S4_S4_S4_S4_S4_21rocsparse_index_base_PKT0_PKT1_PKS4_S5_PS6_PS9_PS4_SF_SG_SE_
                                        ; -- End function
	.set _ZN9rocsparseL21csr2bsr_65_inf_kernelILj32E21rocsparse_complex_numIfEliEEv20rocsparse_direction_T2_S4_S4_S4_S4_S4_21rocsparse_index_base_PKT0_PKT1_PKS4_S5_PS6_PS9_PS4_SF_SG_SE_.num_vgpr, 41
	.set _ZN9rocsparseL21csr2bsr_65_inf_kernelILj32E21rocsparse_complex_numIfEliEEv20rocsparse_direction_T2_S4_S4_S4_S4_S4_21rocsparse_index_base_PKT0_PKT1_PKS4_S5_PS6_PS9_PS4_SF_SG_SE_.num_agpr, 0
	.set _ZN9rocsparseL21csr2bsr_65_inf_kernelILj32E21rocsparse_complex_numIfEliEEv20rocsparse_direction_T2_S4_S4_S4_S4_S4_21rocsparse_index_base_PKT0_PKT1_PKS4_S5_PS6_PS9_PS4_SF_SG_SE_.numbered_sgpr, 36
	.set _ZN9rocsparseL21csr2bsr_65_inf_kernelILj32E21rocsparse_complex_numIfEliEEv20rocsparse_direction_T2_S4_S4_S4_S4_S4_21rocsparse_index_base_PKT0_PKT1_PKS4_S5_PS6_PS9_PS4_SF_SG_SE_.num_named_barrier, 0
	.set _ZN9rocsparseL21csr2bsr_65_inf_kernelILj32E21rocsparse_complex_numIfEliEEv20rocsparse_direction_T2_S4_S4_S4_S4_S4_21rocsparse_index_base_PKT0_PKT1_PKS4_S5_PS6_PS9_PS4_SF_SG_SE_.private_seg_size, 0
	.set _ZN9rocsparseL21csr2bsr_65_inf_kernelILj32E21rocsparse_complex_numIfEliEEv20rocsparse_direction_T2_S4_S4_S4_S4_S4_21rocsparse_index_base_PKT0_PKT1_PKS4_S5_PS6_PS9_PS4_SF_SG_SE_.uses_vcc, 1
	.set _ZN9rocsparseL21csr2bsr_65_inf_kernelILj32E21rocsparse_complex_numIfEliEEv20rocsparse_direction_T2_S4_S4_S4_S4_S4_21rocsparse_index_base_PKT0_PKT1_PKS4_S5_PS6_PS9_PS4_SF_SG_SE_.uses_flat_scratch, 0
	.set _ZN9rocsparseL21csr2bsr_65_inf_kernelILj32E21rocsparse_complex_numIfEliEEv20rocsparse_direction_T2_S4_S4_S4_S4_S4_21rocsparse_index_base_PKT0_PKT1_PKS4_S5_PS6_PS9_PS4_SF_SG_SE_.has_dyn_sized_stack, 0
	.set _ZN9rocsparseL21csr2bsr_65_inf_kernelILj32E21rocsparse_complex_numIfEliEEv20rocsparse_direction_T2_S4_S4_S4_S4_S4_21rocsparse_index_base_PKT0_PKT1_PKS4_S5_PS6_PS9_PS4_SF_SG_SE_.has_recursion, 0
	.set _ZN9rocsparseL21csr2bsr_65_inf_kernelILj32E21rocsparse_complex_numIfEliEEv20rocsparse_direction_T2_S4_S4_S4_S4_S4_21rocsparse_index_base_PKT0_PKT1_PKS4_S5_PS6_PS9_PS4_SF_SG_SE_.has_indirect_call, 0
	.section	.AMDGPU.csdata,"",@progbits
; Kernel info:
; codeLenInByte = 2140
; TotalNumSgprs: 38
; NumVgprs: 41
; ScratchSize: 0
; MemoryBound: 0
; FloatMode: 240
; IeeeMode: 1
; LDSByteSize: 0 bytes/workgroup (compile time only)
; SGPRBlocks: 0
; VGPRBlocks: 2
; NumSGPRsForWavesPerEU: 38
; NumVGPRsForWavesPerEU: 41
; NamedBarCnt: 0
; Occupancy: 16
; WaveLimiterHint : 0
; COMPUTE_PGM_RSRC2:SCRATCH_EN: 0
; COMPUTE_PGM_RSRC2:USER_SGPR: 2
; COMPUTE_PGM_RSRC2:TRAP_HANDLER: 0
; COMPUTE_PGM_RSRC2:TGID_X_EN: 1
; COMPUTE_PGM_RSRC2:TGID_Y_EN: 0
; COMPUTE_PGM_RSRC2:TGID_Z_EN: 0
; COMPUTE_PGM_RSRC2:TIDIG_COMP_CNT: 0
	.section	.text._ZN9rocsparseL35csr2bsr_block_dim_equals_one_kernelILj256E21rocsparse_complex_numIfEilEEvT2_S3_S3_S3_21rocsparse_index_base_PKT0_PKT1_PKS3_S4_PS5_PS8_PS3_,"axG",@progbits,_ZN9rocsparseL35csr2bsr_block_dim_equals_one_kernelILj256E21rocsparse_complex_numIfEilEEvT2_S3_S3_S3_21rocsparse_index_base_PKT0_PKT1_PKS3_S4_PS5_PS8_PS3_,comdat
	.globl	_ZN9rocsparseL35csr2bsr_block_dim_equals_one_kernelILj256E21rocsparse_complex_numIfEilEEvT2_S3_S3_S3_21rocsparse_index_base_PKT0_PKT1_PKS3_S4_PS5_PS8_PS3_ ; -- Begin function _ZN9rocsparseL35csr2bsr_block_dim_equals_one_kernelILj256E21rocsparse_complex_numIfEilEEvT2_S3_S3_S3_21rocsparse_index_base_PKT0_PKT1_PKS3_S4_PS5_PS8_PS3_
	.p2align	8
	.type	_ZN9rocsparseL35csr2bsr_block_dim_equals_one_kernelILj256E21rocsparse_complex_numIfEilEEvT2_S3_S3_S3_21rocsparse_index_base_PKT0_PKT1_PKS3_S4_PS5_PS8_PS3_,@function
_ZN9rocsparseL35csr2bsr_block_dim_equals_one_kernelILj256E21rocsparse_complex_numIfEilEEvT2_S3_S3_S3_21rocsparse_index_base_PKT0_PKT1_PKS3_S4_PS5_PS8_PS3_: ; @_ZN9rocsparseL35csr2bsr_block_dim_equals_one_kernelILj256E21rocsparse_complex_numIfEilEEvT2_S3_S3_S3_21rocsparse_index_base_PKT0_PKT1_PKS3_S4_PS5_PS8_PS3_
; %bb.0:
	s_clause 0x1
	s_load_b64 s[2:3], s[0:1], 0x0
	s_load_b128 s[4:7], s[0:1], 0x28
	s_bfe_u32 s8, ttmp6, 0x4000c
	s_and_b32 s9, ttmp6, 15
	s_add_co_i32 s8, s8, 1
	s_getreg_b32 s10, hwreg(HW_REG_IB_STS2, 6, 4)
	s_mul_i32 s8, ttmp9, s8
	s_delay_alu instid0(SALU_CYCLE_1) | instskip(SKIP_2) | instid1(SALU_CYCLE_1)
	s_add_co_i32 s9, s9, s8
	s_cmp_eq_u32 s10, 0
	s_cselect_b32 s8, ttmp9, s9
	v_lshl_or_b32 v0, s8, 8, v0
	s_wait_kmcnt 0x0
	s_lshl_b64 s[2:3], s[2:3], 2
	s_delay_alu instid0(SALU_CYCLE_1)
	s_add_nc_u64 s[2:3], s[6:7], s[2:3]
	s_clause 0x1
	s_load_b32 s9, s[2:3], 0x0
	s_load_b32 s10, s[6:7], 0x0
	s_wait_xcnt 0x0
	s_mov_b32 s3, 0
	s_mov_b32 s2, exec_lo
	s_wait_kmcnt 0x0
	s_sub_co_i32 s11, s9, s10
	s_delay_alu instid0(SALU_CYCLE_1)
	v_cmpx_gt_i32_e64 s11, v0
	s_cbranch_execz .LBB90_3
; %bb.1:
	s_clause 0x3
	s_load_b96 s[8:10], s[0:1], 0x38
	s_load_b64 s[6:7], s[0:1], 0x48
	s_load_b32 s2, s[0:1], 0x20
	s_load_b96 s[12:14], s[0:1], 0x58
	s_wait_xcnt 0x0
	s_mov_b32 s1, s3
	s_wait_kmcnt 0x0
	s_mov_b32 s0, s10
	s_delay_alu instid0(SALU_CYCLE_1)
	s_sub_nc_u64 s[0:1], s[0:1], s[2:3]
	s_lshl_b32 s2, s14, 8
.LBB90_2:                               ; =>This Inner Loop Header: Depth=1
	global_load_b64 v[2:3], v0, s[8:9] scale_offset
	s_wait_loadcnt 0x0
	v_add_nc_u64_e32 v[2:3], s[0:1], v[2:3]
	s_clause 0x1
	global_store_b64 v0, v[2:3], s[12:13] scale_offset
	global_load_b64 v[2:3], v0, s[4:5] scale_offset
	s_wait_loadcnt 0x0
	global_store_b64 v0, v[2:3], s[6:7] scale_offset
	s_wait_xcnt 0x0
	v_add_nc_u32_e32 v0, s2, v0
	s_delay_alu instid0(VALU_DEP_1) | instskip(SKIP_1) | instid1(SALU_CYCLE_1)
	v_cmp_le_i32_e32 vcc_lo, s11, v0
	s_or_b32 s3, vcc_lo, s3
	s_and_not1_b32 exec_lo, exec_lo, s3
	s_cbranch_execnz .LBB90_2
.LBB90_3:
	s_endpgm
	.section	.rodata,"a",@progbits
	.p2align	6, 0x0
	.amdhsa_kernel _ZN9rocsparseL35csr2bsr_block_dim_equals_one_kernelILj256E21rocsparse_complex_numIfEilEEvT2_S3_S3_S3_21rocsparse_index_base_PKT0_PKT1_PKS3_S4_PS5_PS8_PS3_
		.amdhsa_group_segment_fixed_size 0
		.amdhsa_private_segment_fixed_size 0
		.amdhsa_kernarg_size 352
		.amdhsa_user_sgpr_count 2
		.amdhsa_user_sgpr_dispatch_ptr 0
		.amdhsa_user_sgpr_queue_ptr 0
		.amdhsa_user_sgpr_kernarg_segment_ptr 1
		.amdhsa_user_sgpr_dispatch_id 0
		.amdhsa_user_sgpr_kernarg_preload_length 0
		.amdhsa_user_sgpr_kernarg_preload_offset 0
		.amdhsa_user_sgpr_private_segment_size 0
		.amdhsa_wavefront_size32 1
		.amdhsa_uses_dynamic_stack 0
		.amdhsa_enable_private_segment 0
		.amdhsa_system_sgpr_workgroup_id_x 1
		.amdhsa_system_sgpr_workgroup_id_y 0
		.amdhsa_system_sgpr_workgroup_id_z 0
		.amdhsa_system_sgpr_workgroup_info 0
		.amdhsa_system_vgpr_workitem_id 0
		.amdhsa_next_free_vgpr 4
		.amdhsa_next_free_sgpr 15
		.amdhsa_named_barrier_count 0
		.amdhsa_reserve_vcc 1
		.amdhsa_float_round_mode_32 0
		.amdhsa_float_round_mode_16_64 0
		.amdhsa_float_denorm_mode_32 3
		.amdhsa_float_denorm_mode_16_64 3
		.amdhsa_fp16_overflow 0
		.amdhsa_memory_ordered 1
		.amdhsa_forward_progress 1
		.amdhsa_inst_pref_size 3
		.amdhsa_round_robin_scheduling 0
		.amdhsa_exception_fp_ieee_invalid_op 0
		.amdhsa_exception_fp_denorm_src 0
		.amdhsa_exception_fp_ieee_div_zero 0
		.amdhsa_exception_fp_ieee_overflow 0
		.amdhsa_exception_fp_ieee_underflow 0
		.amdhsa_exception_fp_ieee_inexact 0
		.amdhsa_exception_int_div_zero 0
	.end_amdhsa_kernel
	.section	.text._ZN9rocsparseL35csr2bsr_block_dim_equals_one_kernelILj256E21rocsparse_complex_numIfEilEEvT2_S3_S3_S3_21rocsparse_index_base_PKT0_PKT1_PKS3_S4_PS5_PS8_PS3_,"axG",@progbits,_ZN9rocsparseL35csr2bsr_block_dim_equals_one_kernelILj256E21rocsparse_complex_numIfEilEEvT2_S3_S3_S3_21rocsparse_index_base_PKT0_PKT1_PKS3_S4_PS5_PS8_PS3_,comdat
.Lfunc_end90:
	.size	_ZN9rocsparseL35csr2bsr_block_dim_equals_one_kernelILj256E21rocsparse_complex_numIfEilEEvT2_S3_S3_S3_21rocsparse_index_base_PKT0_PKT1_PKS3_S4_PS5_PS8_PS3_, .Lfunc_end90-_ZN9rocsparseL35csr2bsr_block_dim_equals_one_kernelILj256E21rocsparse_complex_numIfEilEEvT2_S3_S3_S3_21rocsparse_index_base_PKT0_PKT1_PKS3_S4_PS5_PS8_PS3_
                                        ; -- End function
	.set _ZN9rocsparseL35csr2bsr_block_dim_equals_one_kernelILj256E21rocsparse_complex_numIfEilEEvT2_S3_S3_S3_21rocsparse_index_base_PKT0_PKT1_PKS3_S4_PS5_PS8_PS3_.num_vgpr, 4
	.set _ZN9rocsparseL35csr2bsr_block_dim_equals_one_kernelILj256E21rocsparse_complex_numIfEilEEvT2_S3_S3_S3_21rocsparse_index_base_PKT0_PKT1_PKS3_S4_PS5_PS8_PS3_.num_agpr, 0
	.set _ZN9rocsparseL35csr2bsr_block_dim_equals_one_kernelILj256E21rocsparse_complex_numIfEilEEvT2_S3_S3_S3_21rocsparse_index_base_PKT0_PKT1_PKS3_S4_PS5_PS8_PS3_.numbered_sgpr, 15
	.set _ZN9rocsparseL35csr2bsr_block_dim_equals_one_kernelILj256E21rocsparse_complex_numIfEilEEvT2_S3_S3_S3_21rocsparse_index_base_PKT0_PKT1_PKS3_S4_PS5_PS8_PS3_.num_named_barrier, 0
	.set _ZN9rocsparseL35csr2bsr_block_dim_equals_one_kernelILj256E21rocsparse_complex_numIfEilEEvT2_S3_S3_S3_21rocsparse_index_base_PKT0_PKT1_PKS3_S4_PS5_PS8_PS3_.private_seg_size, 0
	.set _ZN9rocsparseL35csr2bsr_block_dim_equals_one_kernelILj256E21rocsparse_complex_numIfEilEEvT2_S3_S3_S3_21rocsparse_index_base_PKT0_PKT1_PKS3_S4_PS5_PS8_PS3_.uses_vcc, 1
	.set _ZN9rocsparseL35csr2bsr_block_dim_equals_one_kernelILj256E21rocsparse_complex_numIfEilEEvT2_S3_S3_S3_21rocsparse_index_base_PKT0_PKT1_PKS3_S4_PS5_PS8_PS3_.uses_flat_scratch, 0
	.set _ZN9rocsparseL35csr2bsr_block_dim_equals_one_kernelILj256E21rocsparse_complex_numIfEilEEvT2_S3_S3_S3_21rocsparse_index_base_PKT0_PKT1_PKS3_S4_PS5_PS8_PS3_.has_dyn_sized_stack, 0
	.set _ZN9rocsparseL35csr2bsr_block_dim_equals_one_kernelILj256E21rocsparse_complex_numIfEilEEvT2_S3_S3_S3_21rocsparse_index_base_PKT0_PKT1_PKS3_S4_PS5_PS8_PS3_.has_recursion, 0
	.set _ZN9rocsparseL35csr2bsr_block_dim_equals_one_kernelILj256E21rocsparse_complex_numIfEilEEvT2_S3_S3_S3_21rocsparse_index_base_PKT0_PKT1_PKS3_S4_PS5_PS8_PS3_.has_indirect_call, 0
	.section	.AMDGPU.csdata,"",@progbits
; Kernel info:
; codeLenInByte = 300
; TotalNumSgprs: 17
; NumVgprs: 4
; ScratchSize: 0
; MemoryBound: 0
; FloatMode: 240
; IeeeMode: 1
; LDSByteSize: 0 bytes/workgroup (compile time only)
; SGPRBlocks: 0
; VGPRBlocks: 0
; NumSGPRsForWavesPerEU: 17
; NumVGPRsForWavesPerEU: 4
; NamedBarCnt: 0
; Occupancy: 16
; WaveLimiterHint : 0
; COMPUTE_PGM_RSRC2:SCRATCH_EN: 0
; COMPUTE_PGM_RSRC2:USER_SGPR: 2
; COMPUTE_PGM_RSRC2:TRAP_HANDLER: 0
; COMPUTE_PGM_RSRC2:TGID_X_EN: 1
; COMPUTE_PGM_RSRC2:TGID_Y_EN: 0
; COMPUTE_PGM_RSRC2:TGID_Z_EN: 0
; COMPUTE_PGM_RSRC2:TIDIG_COMP_CNT: 0
	.section	.text._ZN9rocsparseL42csr2bsr_wavefront_per_row_multipass_kernelILj256ELj16ELj4E21rocsparse_complex_numIfEilEEv20rocsparse_direction_T4_S4_S4_S4_S4_21rocsparse_index_base_PKT2_PKT3_PKS4_S5_PS6_PS9_PS4_,"axG",@progbits,_ZN9rocsparseL42csr2bsr_wavefront_per_row_multipass_kernelILj256ELj16ELj4E21rocsparse_complex_numIfEilEEv20rocsparse_direction_T4_S4_S4_S4_S4_21rocsparse_index_base_PKT2_PKT3_PKS4_S5_PS6_PS9_PS4_,comdat
	.globl	_ZN9rocsparseL42csr2bsr_wavefront_per_row_multipass_kernelILj256ELj16ELj4E21rocsparse_complex_numIfEilEEv20rocsparse_direction_T4_S4_S4_S4_S4_21rocsparse_index_base_PKT2_PKT3_PKS4_S5_PS6_PS9_PS4_ ; -- Begin function _ZN9rocsparseL42csr2bsr_wavefront_per_row_multipass_kernelILj256ELj16ELj4E21rocsparse_complex_numIfEilEEv20rocsparse_direction_T4_S4_S4_S4_S4_21rocsparse_index_base_PKT2_PKT3_PKS4_S5_PS6_PS9_PS4_
	.p2align	8
	.type	_ZN9rocsparseL42csr2bsr_wavefront_per_row_multipass_kernelILj256ELj16ELj4E21rocsparse_complex_numIfEilEEv20rocsparse_direction_T4_S4_S4_S4_S4_21rocsparse_index_base_PKT2_PKT3_PKS4_S5_PS6_PS9_PS4_,@function
_ZN9rocsparseL42csr2bsr_wavefront_per_row_multipass_kernelILj256ELj16ELj4E21rocsparse_complex_numIfEilEEv20rocsparse_direction_T4_S4_S4_S4_S4_21rocsparse_index_base_PKT2_PKT3_PKS4_S5_PS6_PS9_PS4_: ; @_ZN9rocsparseL42csr2bsr_wavefront_per_row_multipass_kernelILj256ELj16ELj4E21rocsparse_complex_numIfEilEEv20rocsparse_direction_T4_S4_S4_S4_S4_21rocsparse_index_base_PKT2_PKT3_PKS4_S5_PS6_PS9_PS4_
; %bb.0:
	s_bfe_u32 s2, ttmp6, 0x4000c
	s_clause 0x1
	s_load_b96 s[8:10], s[0:1], 0x28
	s_load_b64 s[14:15], s[0:1], 0x40
	s_add_co_i32 s2, s2, 1
	s_and_b32 s3, ttmp6, 15
	s_mul_i32 s2, ttmp9, s2
	s_getreg_b32 s4, hwreg(HW_REG_IB_STS2, 6, 4)
	s_add_co_i32 s3, s3, s2
	s_cmp_eq_u32 s4, 0
	v_dual_mov_b32 v25, 0 :: v_dual_lshrrev_b32 v24, 4, v0
	s_cselect_b32 s12, ttmp9, s3
	v_bfe_u32 v8, v0, 2, 2
	s_ashr_i32 s13, s12, 31
	v_mov_b32_e32 v18, 0
	s_lshl_b64 s[2:3], s[12:13], 4
	s_delay_alu instid0(SALU_CYCLE_1) | instskip(SKIP_2) | instid1(VALU_DEP_1)
	v_dual_mov_b32 v9, v25 :: v_dual_bitop2_b32 v1, s2, v24 bitop3:0x54
	s_load_b128 s[4:7], s[0:1], 0x18
	s_wait_kmcnt 0x0
	v_mad_nc_u64_u32 v[2:3], v1, s8, v[8:9]
	s_delay_alu instid0(VALU_DEP_1) | instskip(SKIP_1) | instid1(VALU_DEP_1)
	v_mad_u32 v3, s3, s8, v3
	s_load_b64 s[2:3], s[0:1], 0x8
	v_mad_u32 v3, v1, s9, v3
	s_wait_kmcnt 0x0
	s_delay_alu instid0(VALU_DEP_1) | instskip(SKIP_2) | instid1(SALU_CYCLE_1)
	v_cmp_gt_i64_e32 vcc_lo, s[2:3], v[2:3]
	v_cmp_gt_i64_e64 s2, s[8:9], v[8:9]
	s_and_b32 s3, s2, vcc_lo
	s_and_saveexec_b32 s11, s3
	s_cbranch_execz .LBB91_2
; %bb.1:
	v_lshl_add_u64 v[4:5], v[2:3], 2, s[14:15]
	global_load_b32 v1, v[4:5], off
	s_wait_loadcnt 0x0
	v_subrev_nc_u32_e32 v18, s10, v1
.LBB91_2:
	s_or_b32 exec_lo, exec_lo, s11
	s_and_saveexec_b32 s11, s3
	s_cbranch_execz .LBB91_4
; %bb.3:
	v_lshl_add_u64 v[2:3], v[2:3], 2, s[14:15]
	global_load_b32 v1, v[2:3], off offset:4
	s_wait_loadcnt 0x0
	v_subrev_nc_u32_e32 v25, s10, v1
.LBB91_4:
	s_or_b32 exec_lo, exec_lo, s11
	s_load_b32 s22, s[0:1], 0x50
	v_mov_b32_e32 v5, 0
	v_lshl_or_b32 v4, s12, 4, v24
	s_mov_b32 s3, exec_lo
	s_delay_alu instid0(VALU_DEP_2) | instskip(NEXT) | instid1(VALU_DEP_2)
	v_mov_b32_e32 v2, v5
	v_cmpx_gt_i64_e64 s[4:5], v[4:5]
	s_cbranch_execz .LBB91_6
; %bb.5:
	s_load_b64 s[4:5], s[0:1], 0x60
	s_wait_kmcnt 0x0
	v_lshl_add_u64 v[2:3], v[4:5], 2, s[4:5]
	global_load_b32 v1, v[2:3], off
	s_wait_loadcnt 0x0
	v_subrev_nc_u32_e32 v2, s22, v1
.LBB91_6:
	s_or_b32 exec_lo, exec_lo, s3
	v_cmp_lt_i64_e64 s3, s[6:7], 1
	s_and_b32 vcc_lo, exec_lo, s3
	s_cbranch_vccnz .LBB91_28
; %bb.7:
	v_dual_mov_b32 v4, 0 :: v_dual_bitop2_b32 v6, 3, v0 bitop3:0x40
	v_mul_u64_e32 v[10:11], s[8:9], v[8:9]
	v_mbcnt_lo_u32_b32 v3, -1, 0
	s_clause 0x3
	s_load_b64 s[14:15], s[0:1], 0x48
	s_load_b64 s[18:19], s[0:1], 0x58
	;; [unrolled: 1-line block ×3, first 2 shown]
	s_load_b32 s3, s[0:1], 0x0
	v_dual_mov_b32 v7, v4 :: v_dual_lshlrev_b32 v1, 5, v8
	v_and_b32_e32 v0, 0x3f0, v0
	v_dual_lshlrev_b32 v15, 2, v3 :: v_dual_bitop2_b32 v5, 2, v3 bitop3:0x14
	s_delay_alu instid0(VALU_DEP_3) | instskip(SKIP_1) | instid1(VALU_DEP_4)
	v_mul_u64_e32 v[12:13], s[8:9], v[6:7]
	v_xor_b32_e32 v16, 8, v3
	v_lshl_or_b32 v26, v0, 3, v1
	v_dual_mov_b32 v1, v4 :: v_dual_bitop2_b32 v14, 1, v3 bitop3:0x14
	v_mov_b32_e32 v9, v4
	v_cmp_gt_i32_e32 vcc_lo, 32, v5
	s_load_b64 s[4:5], s[0:1], 0x68
	v_xor_b32_e32 v17, 4, v3
	s_wait_xcnt 0x0
	v_cmp_gt_i32_e64 s0, 32, v16
	v_dual_lshlrev_b32 v8, 3, v8 :: v_dual_lshlrev_b32 v0, 3, v6
	v_cndmask_b32_e32 v5, v3, v5, vcc_lo
	v_cmp_gt_i32_e32 vcc_lo, 32, v14
	s_delay_alu instid0(VALU_DEP_4) | instskip(SKIP_3) | instid1(VALU_DEP_3)
	v_dual_cndmask_b32 v16, v3, v16, s0 :: v_dual_bitop2_b32 v28, 12, v15 bitop3:0x54
	v_cmp_gt_i32_e64 s0, 32, v17
	v_dual_cndmask_b32 v14, v3, v14, vcc_lo :: v_dual_bitop2_b32 v27, v26, v0 bitop3:0x54
	v_cmp_gt_u64_e32 vcc_lo, s[8:9], v[6:7]
	v_dual_cndmask_b32 v3, v3, v17, s0 :: v_dual_bitop2_b32 v32, 60, v15 bitop3:0x54
	v_dual_lshlrev_b32 v7, 2, v5 :: v_dual_lshlrev_b32 v30, 2, v16
	s_wait_kmcnt 0x0
	v_lshl_add_u64 v[10:11], v[10:11], 3, s[18:19]
	v_lshlrev_b32_e32 v29, 2, v14
	v_mov_b64_e32 v[14:15], 0
	v_dual_lshlrev_b32 v31, 2, v3 :: v_dual_mov_b32 v33, 1
	s_delay_alu instid0(VALU_DEP_4)
	v_add_nc_u64_e32 v[0:1], v[10:11], v[0:1]
	v_mov_b64_e32 v[10:11], 0
	v_mov_b32_e32 v3, 0
	v_lshl_add_u64 v[12:13], v[12:13], 3, s[18:19]
	s_mov_b32 s1, 0
	s_cmp_lg_u32 s3, 0
	s_mul_u64 s[12:13], s[8:9], s[8:9]
	s_mov_b32 s11, s1
	v_add_nc_u64_e32 v[8:9], v[12:13], v[8:9]
	s_cselect_b32 s23, -1, 0
	s_and_b32 s24, s2, vcc_lo
	s_mov_b64 s[2:3], 0xffffffff
	s_ashr_i32 s18, s9, 31
	s_sub_co_i32 s25, 0, s8
	s_mov_b32 s26, 0
	s_branch .LBB91_10
.LBB91_8:                               ;   in Loop: Header=BB91_10 Depth=1
	s_wait_xcnt 0x0
	s_or_b32 exec_lo, exec_lo, s19
	v_mov_b32_e32 v5, 1
.LBB91_9:                               ;   in Loop: Header=BB91_10 Depth=1
	s_or_b32 exec_lo, exec_lo, s0
	ds_bpermute_b32 v14, v30, v12
	ds_bpermute_b32 v15, v30, v13
	v_add_nc_u32_e32 v2, v5, v2
	s_wait_storecnt_dscnt 0x0
	v_min_i64 v[12:13], v[14:15], v[12:13]
	ds_bpermute_b32 v14, v31, v12
	ds_bpermute_b32 v15, v31, v13
	s_wait_dscnt 0x0
	v_min_i64 v[12:13], v[14:15], v[12:13]
	ds_bpermute_b32 v14, v7, v12
	ds_bpermute_b32 v15, v7, v13
	s_wait_dscnt 0x0
	;; [unrolled: 4-line block ×3, first 2 shown]
	v_min_i64 v[12:13], v[14:15], v[12:13]
	ds_bpermute_b32 v14, v32, v12
	s_wait_dscnt 0x0
	v_dual_ashrrev_i32 v15, 31, v14 :: v_dual_mov_b32 v3, v14
	s_delay_alu instid0(VALU_DEP_1) | instskip(SKIP_1) | instid1(SALU_CYCLE_1)
	v_cmp_le_i64_e32 vcc_lo, s[6:7], v[14:15]
	s_or_b32 s26, vcc_lo, s26
	s_and_not1_b32 exec_lo, exec_lo, s26
	s_cbranch_execz .LBB91_28
.LBB91_10:                              ; =>This Loop Header: Depth=1
                                        ;     Child Loop BB91_13 Depth 2
	v_mov_b64_e32 v[12:13], s[6:7]
	v_dual_mov_b32 v5, v25 :: v_dual_add_nc_u32 v16, v18, v6
	s_mov_b32 s27, exec_lo
	ds_store_b8 v24, v4 offset:2048
	ds_store_b64 v27, v[10:11]
	s_wait_dscnt 0x0
	v_cmpx_lt_i32_e64 v16, v25
	s_cbranch_execz .LBB91_22
; %bb.11:                               ;   in Loop: Header=BB91_10 Depth=1
	v_mul_u64_e32 v[18:19], s[8:9], v[14:15]
	v_mov_b64_e32 v[12:13], s[6:7]
	v_mov_b32_e32 v19, v25
	s_mov_b32 s28, 0
	s_branch .LBB91_13
.LBB91_12:                              ;   in Loop: Header=BB91_13 Depth=2
	s_wait_xcnt 0x0
	s_or_b32 exec_lo, exec_lo, s0
	v_dual_mov_b32 v19, v5 :: v_dual_add_nc_u32 v16, 4, v16
	s_xor_b32 s19, vcc_lo, -1
	s_delay_alu instid0(VALU_DEP_1) | instskip(SKIP_1) | instid1(SALU_CYCLE_1)
	v_cmp_ge_i32_e64 s0, v16, v25
	s_or_b32 s0, s19, s0
	s_and_b32 s0, exec_lo, s0
	s_delay_alu instid0(SALU_CYCLE_1) | instskip(NEXT) | instid1(SALU_CYCLE_1)
	s_or_b32 s28, s0, s28
	s_and_not1_b32 exec_lo, exec_lo, s28
	s_cbranch_execz .LBB91_21
.LBB91_13:                              ;   Parent Loop BB91_10 Depth=1
                                        ; =>  This Inner Loop Header: Depth=2
	global_load_b64 v[20:21], v16, s[14:15] scale_offset
                                        ; implicit-def: $vgpr22_vgpr23
	s_mov_b32 s0, exec_lo
	s_wait_loadcnt 0x0
	v_sub_nc_u64_e64 v[20:21], v[20:21], s[10:11]
	s_delay_alu instid0(VALU_DEP_1) | instskip(SKIP_1) | instid1(VALU_DEP_1)
	v_or_b32_e32 v5, s9, v21
	s_wait_xcnt 0x0
	v_cmpx_ne_u64_e32 0, v[4:5]
	s_xor_b32 s29, exec_lo, s0
	s_cbranch_execz .LBB91_15
; %bb.14:                               ;   in Loop: Header=BB91_13 Depth=2
	s_mov_b32 s19, s18
	v_dual_mov_b32 v37, v4 :: v_dual_ashrrev_i32 v22, 31, v21
	s_add_nc_u64 s[20:21], s[8:9], s[18:19]
	v_mov_b32_e32 v41, v4
	s_xor_b64 s[20:21], s[20:21], s[18:19]
	s_delay_alu instid0(VALU_DEP_2)
	v_mov_b32_e32 v23, v22
	s_cvt_f32_u32 s0, s20
	s_cvt_f32_u32 s19, s21
	s_sub_nc_u64 s[34:35], 0, s[20:21]
	v_mov_b32_e32 v45, v4
	v_add_nc_u64_e32 v[34:35], v[20:21], v[22:23]
	s_fmamk_f32 s0, s19, 0x4f800000, s0
	s_delay_alu instid0(SALU_CYCLE_3) | instskip(NEXT) | instid1(VALU_DEP_1)
	v_s_rcp_f32 s0, s0
	v_xor_b32_e32 v36, v34, v22
	s_delay_alu instid0(VALU_DEP_2) | instskip(NEXT) | instid1(TRANS32_DEP_1)
	v_xor_b32_e32 v40, v35, v22
	s_mul_f32 s0, s0, 0x5f7ffffc
	s_delay_alu instid0(SALU_CYCLE_3) | instskip(NEXT) | instid1(SALU_CYCLE_3)
	s_mul_f32 s19, s0, 0x2f800000
	s_trunc_f32 s19, s19
	s_delay_alu instid0(SALU_CYCLE_3) | instskip(SKIP_1) | instid1(SALU_CYCLE_2)
	s_fmamk_f32 s0, s19, 0xcf800000, s0
	s_cvt_u32_f32 s31, s19
	s_cvt_u32_f32 s30, s0
	s_delay_alu instid0(SALU_CYCLE_3) | instskip(NEXT) | instid1(SALU_CYCLE_1)
	s_mul_u64 s[36:37], s[34:35], s[30:31]
	s_mul_hi_u32 s39, s30, s37
	s_mul_i32 s38, s30, s37
	s_mul_hi_u32 s0, s30, s36
	s_mul_i32 s33, s31, s36
	s_add_nc_u64 s[38:39], s[0:1], s[38:39]
	s_mul_hi_u32 s19, s31, s36
	s_mul_hi_u32 s40, s31, s37
	s_add_co_u32 s0, s38, s33
	s_add_co_ci_u32 s0, s39, s19
	s_mul_i32 s36, s31, s37
	s_add_co_ci_u32 s37, s40, 0
	s_delay_alu instid0(SALU_CYCLE_1) | instskip(NEXT) | instid1(SALU_CYCLE_1)
	s_add_nc_u64 s[36:37], s[0:1], s[36:37]
	s_add_co_u32 s30, s30, s36
	s_cselect_b32 s0, -1, 0
	s_delay_alu instid0(SALU_CYCLE_1) | instskip(SKIP_1) | instid1(SALU_CYCLE_1)
	s_cmp_lg_u32 s0, 0
	s_add_co_ci_u32 s31, s31, s37
	s_mul_u64 s[34:35], s[34:35], s[30:31]
	s_delay_alu instid0(SALU_CYCLE_1)
	s_mul_hi_u32 s37, s30, s35
	s_mul_i32 s36, s30, s35
	s_mul_hi_u32 s0, s30, s34
	s_mul_i32 s33, s31, s34
	s_add_nc_u64 s[36:37], s[0:1], s[36:37]
	s_mul_hi_u32 s19, s31, s34
	s_mul_hi_u32 s38, s31, s35
	s_add_co_u32 s0, s36, s33
	s_add_co_ci_u32 s0, s37, s19
	s_mul_i32 s34, s31, s35
	s_add_co_ci_u32 s35, s38, 0
	s_delay_alu instid0(SALU_CYCLE_1) | instskip(NEXT) | instid1(SALU_CYCLE_1)
	s_add_nc_u64 s[34:35], s[0:1], s[34:35]
	s_add_co_u32 s30, s30, s34
	s_cselect_b32 s0, -1, 0
	v_mul_hi_u32 v44, v36, s30
	s_cmp_lg_u32 s0, 0
	s_add_co_ci_u32 s0, s31, s35
	s_and_b64 s[34:35], s[30:31], s[2:3]
	v_mul_u64_e32 v[38:39], s[0:1], v[36:37]
	v_mul_u64_e32 v[34:35], s[34:35], v[40:41]
	;; [unrolled: 1-line block ×3, first 2 shown]
	s_delay_alu instid0(VALU_DEP_3) | instskip(NEXT) | instid1(VALU_DEP_1)
	v_add_nc_u64_e32 v[38:39], v[44:45], v[38:39]
	v_add_co_u32 v5, vcc_lo, v38, v34
	s_delay_alu instid0(VALU_DEP_2) | instskip(NEXT) | instid1(VALU_DEP_4)
	v_add_co_ci_u32_e32 v44, vcc_lo, v39, v35, vcc_lo
	v_add_co_ci_u32_e32 v43, vcc_lo, 0, v43, vcc_lo
	s_delay_alu instid0(VALU_DEP_1) | instskip(NEXT) | instid1(VALU_DEP_1)
	v_add_nc_u64_e32 v[34:35], v[44:45], v[42:43]
	v_mul_u64_e32 v[38:39], s[20:21], v[34:35]
	s_delay_alu instid0(VALU_DEP_1) | instskip(NEXT) | instid1(VALU_DEP_2)
	v_sub_nc_u32_e32 v5, v40, v39
	v_sub_co_u32 v17, vcc_lo, v36, v38
	s_delay_alu instid0(VALU_DEP_1) | instskip(NEXT) | instid1(VALU_DEP_3)
	v_sub_co_ci_u32_e64 v23, null, v40, v39, vcc_lo
	v_subrev_co_ci_u32_e64 v5, null, s21, v5, vcc_lo
	s_delay_alu instid0(VALU_DEP_3) | instskip(SKIP_1) | instid1(VALU_DEP_3)
	v_sub_co_u32 v21, s0, v17, s20
	v_add_nc_u64_e32 v[38:39], 1, v[34:35]
	v_subrev_co_ci_u32_e64 v5, null, 0, v5, s0
	s_delay_alu instid0(VALU_DEP_3) | instskip(SKIP_1) | instid1(VALU_DEP_3)
	v_cmp_le_u32_e32 vcc_lo, s20, v21
	v_cndmask_b32_e64 v21, 0, -1, vcc_lo
	v_cmp_le_u32_e32 vcc_lo, s21, v5
	v_cndmask_b32_e64 v36, 0, -1, vcc_lo
	;; [unrolled: 2-line block ×4, first 2 shown]
	v_cmp_eq_u32_e32 vcc_lo, s21, v5
	v_cndmask_b32_e32 v5, v36, v21, vcc_lo
	v_cmp_eq_u32_e32 vcc_lo, s21, v23
	v_add_nc_u64_e32 v[36:37], 2, v[34:35]
	v_cndmask_b32_e32 v17, v40, v17, vcc_lo
	s_delay_alu instid0(VALU_DEP_4) | instskip(NEXT) | instid1(VALU_DEP_2)
	v_cmp_ne_u32_e32 vcc_lo, 0, v5
	v_cmp_ne_u32_e64 s0, 0, v17
	s_delay_alu instid0(VALU_DEP_4) | instskip(NEXT) | instid1(VALU_DEP_1)
	v_dual_cndmask_b32 v5, v39, v37, vcc_lo :: v_dual_cndmask_b32 v17, v38, v36, vcc_lo
	v_dual_cndmask_b32 v5, v35, v5, s0 :: v_dual_bitop2_b32 v22, s18, v22 bitop3:0x14
	s_delay_alu instid0(VALU_DEP_1) | instskip(NEXT) | instid1(VALU_DEP_1)
	v_dual_cndmask_b32 v17, v34, v17, s0 :: v_dual_bitop2_b32 v35, v5, v22 bitop3:0x14
	v_dual_mov_b32 v23, v22 :: v_dual_bitop2_b32 v34, v17, v22 bitop3:0x14
	s_delay_alu instid0(VALU_DEP_1)
	v_sub_nc_u64_e32 v[22:23], v[34:35], v[22:23]
.LBB91_15:                              ;   in Loop: Header=BB91_13 Depth=2
	s_and_not1_saveexec_b32 s0, s29
	s_cbranch_execz .LBB91_17
; %bb.16:                               ;   in Loop: Header=BB91_13 Depth=2
	v_cvt_f32_u32_e32 v5, s8
	v_mov_b32_e32 v23, v4
	s_delay_alu instid0(VALU_DEP_2) | instskip(SKIP_1) | instid1(TRANS32_DEP_1)
	v_rcp_iflag_f32_e32 v5, v5
	v_nop
	v_mul_f32_e32 v5, 0x4f7ffffe, v5
	s_delay_alu instid0(VALU_DEP_1) | instskip(NEXT) | instid1(VALU_DEP_1)
	v_cvt_u32_f32_e32 v5, v5
	v_mul_lo_u32 v17, s25, v5
	s_delay_alu instid0(VALU_DEP_1) | instskip(NEXT) | instid1(VALU_DEP_1)
	v_mul_hi_u32 v17, v5, v17
	v_add_nc_u32_e32 v5, v5, v17
	s_delay_alu instid0(VALU_DEP_1) | instskip(NEXT) | instid1(VALU_DEP_1)
	v_mul_hi_u32 v5, v20, v5
	v_mul_lo_u32 v17, v5, s8
	s_delay_alu instid0(VALU_DEP_1) | instskip(NEXT) | instid1(VALU_DEP_1)
	v_sub_nc_u32_e32 v17, v20, v17
	v_subrev_nc_u32_e32 v22, s8, v17
	v_cmp_le_u32_e32 vcc_lo, s8, v17
	s_delay_alu instid0(VALU_DEP_2) | instskip(NEXT) | instid1(VALU_DEP_1)
	v_dual_add_nc_u32 v21, 1, v5 :: v_dual_cndmask_b32 v17, v17, v22, vcc_lo
	v_cndmask_b32_e32 v5, v5, v21, vcc_lo
	s_delay_alu instid0(VALU_DEP_2) | instskip(NEXT) | instid1(VALU_DEP_2)
	v_cmp_le_u32_e32 vcc_lo, s8, v17
	v_add_nc_u32_e32 v21, 1, v5
	s_delay_alu instid0(VALU_DEP_1)
	v_cndmask_b32_e32 v22, v5, v21, vcc_lo
.LBB91_17:                              ;   in Loop: Header=BB91_13 Depth=2
	s_or_b32 exec_lo, exec_lo, s0
	s_delay_alu instid0(VALU_DEP_1) | instskip(SKIP_2) | instid1(SALU_CYCLE_1)
	v_cmp_ne_u64_e64 s0, v[22:23], v[14:15]
	v_cmp_eq_u64_e32 vcc_lo, v[22:23], v[14:15]
	s_and_saveexec_b32 s19, s0
	s_xor_b32 s0, exec_lo, s19
; %bb.18:                               ;   in Loop: Header=BB91_13 Depth=2
	v_min_i64 v[12:13], v[22:23], v[12:13]
                                        ; implicit-def: $vgpr20_vgpr21
                                        ; implicit-def: $vgpr19
; %bb.19:                               ;   in Loop: Header=BB91_13 Depth=2
	s_or_saveexec_b32 s0, s0
	v_mov_b32_e32 v5, v16
	s_xor_b32 exec_lo, exec_lo, s0
	s_cbranch_execz .LBB91_12
; %bb.20:                               ;   in Loop: Header=BB91_13 Depth=2
	v_dual_ashrrev_i32 v17, 31, v16 :: v_dual_sub_nc_u32 v5, v20, v18
	s_delay_alu instid0(VALU_DEP_1) | instskip(NEXT) | instid1(VALU_DEP_2)
	v_lshl_add_u64 v[22:23], v[16:17], 3, s[16:17]
	v_lshl_add_u32 v17, v5, 3, v26
	v_mov_b32_e32 v5, v19
	global_load_b64 v[22:23], v[22:23], off
	ds_store_b8 v24, v33 offset:2048
	s_wait_loadcnt 0x0
	ds_store_b64 v17, v[22:23]
	s_branch .LBB91_12
.LBB91_21:                              ;   in Loop: Header=BB91_10 Depth=1
	s_or_b32 exec_lo, exec_lo, s28
.LBB91_22:                              ;   in Loop: Header=BB91_10 Depth=1
	s_delay_alu instid0(SALU_CYCLE_1)
	s_or_b32 exec_lo, exec_lo, s27
	ds_bpermute_b32 v14, v7, v5
	s_wait_dscnt 0x0
	ds_load_u8 v15, v24 offset:2048
	v_min_i32_e32 v5, v14, v5
	ds_bpermute_b32 v14, v29, v5
	s_wait_dscnt 0x0
	v_min_i32_e32 v5, v14, v5
	ds_bpermute_b32 v18, v28, v5
	v_and_b32_e32 v5, 1, v15
	s_delay_alu instid0(VALU_DEP_1)
	v_cmp_eq_u32_e32 vcc_lo, 1, v5
	v_mov_b32_e32 v5, 0
	s_and_saveexec_b32 s0, vcc_lo
	s_cbranch_execz .LBB91_9
; %bb.23:                               ;   in Loop: Header=BB91_10 Depth=1
	v_add_nc_u32_e32 v14, s22, v3
	s_delay_alu instid0(VALU_DEP_1)
	v_ashrrev_i32_e32 v15, 31, v14
	global_store_b64 v2, v[14:15], s[4:5] scale_offset
	s_wait_xcnt 0x0
	s_and_saveexec_b32 s19, s24
	s_cbranch_execz .LBB91_8
; %bb.24:                               ;   in Loop: Header=BB91_10 Depth=1
	v_ashrrev_i32_e32 v3, 31, v2
	ds_load_b64 v[16:17], v27
	s_and_b32 vcc_lo, exec_lo, s23
	v_mul_u64_e32 v[14:15], s[12:13], v[2:3]
	s_cbranch_vccz .LBB91_26
; %bb.25:                               ;   in Loop: Header=BB91_10 Depth=1
	s_delay_alu instid0(VALU_DEP_1)
	v_lshl_add_u64 v[20:21], v[14:15], 3, v[8:9]
	s_wait_dscnt 0x0
	global_store_b64 v[20:21], v[16:17], off
	s_cbranch_execnz .LBB91_8
	s_branch .LBB91_27
.LBB91_26:                              ;   in Loop: Header=BB91_10 Depth=1
.LBB91_27:                              ;   in Loop: Header=BB91_10 Depth=1
	s_delay_alu instid0(VALU_DEP_1)
	v_lshl_add_u64 v[14:15], v[14:15], 3, v[0:1]
	s_wait_dscnt 0x0
	global_store_b64 v[14:15], v[16:17], off
	s_branch .LBB91_8
.LBB91_28:
	s_endpgm
	.section	.rodata,"a",@progbits
	.p2align	6, 0x0
	.amdhsa_kernel _ZN9rocsparseL42csr2bsr_wavefront_per_row_multipass_kernelILj256ELj16ELj4E21rocsparse_complex_numIfEilEEv20rocsparse_direction_T4_S4_S4_S4_S4_21rocsparse_index_base_PKT2_PKT3_PKS4_S5_PS6_PS9_PS4_
		.amdhsa_group_segment_fixed_size 2064
		.amdhsa_private_segment_fixed_size 0
		.amdhsa_kernarg_size 112
		.amdhsa_user_sgpr_count 2
		.amdhsa_user_sgpr_dispatch_ptr 0
		.amdhsa_user_sgpr_queue_ptr 0
		.amdhsa_user_sgpr_kernarg_segment_ptr 1
		.amdhsa_user_sgpr_dispatch_id 0
		.amdhsa_user_sgpr_kernarg_preload_length 0
		.amdhsa_user_sgpr_kernarg_preload_offset 0
		.amdhsa_user_sgpr_private_segment_size 0
		.amdhsa_wavefront_size32 1
		.amdhsa_uses_dynamic_stack 0
		.amdhsa_enable_private_segment 0
		.amdhsa_system_sgpr_workgroup_id_x 1
		.amdhsa_system_sgpr_workgroup_id_y 0
		.amdhsa_system_sgpr_workgroup_id_z 0
		.amdhsa_system_sgpr_workgroup_info 0
		.amdhsa_system_vgpr_workitem_id 0
		.amdhsa_next_free_vgpr 46
		.amdhsa_next_free_sgpr 41
		.amdhsa_named_barrier_count 0
		.amdhsa_reserve_vcc 1
		.amdhsa_float_round_mode_32 0
		.amdhsa_float_round_mode_16_64 0
		.amdhsa_float_denorm_mode_32 3
		.amdhsa_float_denorm_mode_16_64 3
		.amdhsa_fp16_overflow 0
		.amdhsa_memory_ordered 1
		.amdhsa_forward_progress 1
		.amdhsa_inst_pref_size 17
		.amdhsa_round_robin_scheduling 0
		.amdhsa_exception_fp_ieee_invalid_op 0
		.amdhsa_exception_fp_denorm_src 0
		.amdhsa_exception_fp_ieee_div_zero 0
		.amdhsa_exception_fp_ieee_overflow 0
		.amdhsa_exception_fp_ieee_underflow 0
		.amdhsa_exception_fp_ieee_inexact 0
		.amdhsa_exception_int_div_zero 0
	.end_amdhsa_kernel
	.section	.text._ZN9rocsparseL42csr2bsr_wavefront_per_row_multipass_kernelILj256ELj16ELj4E21rocsparse_complex_numIfEilEEv20rocsparse_direction_T4_S4_S4_S4_S4_21rocsparse_index_base_PKT2_PKT3_PKS4_S5_PS6_PS9_PS4_,"axG",@progbits,_ZN9rocsparseL42csr2bsr_wavefront_per_row_multipass_kernelILj256ELj16ELj4E21rocsparse_complex_numIfEilEEv20rocsparse_direction_T4_S4_S4_S4_S4_21rocsparse_index_base_PKT2_PKT3_PKS4_S5_PS6_PS9_PS4_,comdat
.Lfunc_end91:
	.size	_ZN9rocsparseL42csr2bsr_wavefront_per_row_multipass_kernelILj256ELj16ELj4E21rocsparse_complex_numIfEilEEv20rocsparse_direction_T4_S4_S4_S4_S4_21rocsparse_index_base_PKT2_PKT3_PKS4_S5_PS6_PS9_PS4_, .Lfunc_end91-_ZN9rocsparseL42csr2bsr_wavefront_per_row_multipass_kernelILj256ELj16ELj4E21rocsparse_complex_numIfEilEEv20rocsparse_direction_T4_S4_S4_S4_S4_21rocsparse_index_base_PKT2_PKT3_PKS4_S5_PS6_PS9_PS4_
                                        ; -- End function
	.set _ZN9rocsparseL42csr2bsr_wavefront_per_row_multipass_kernelILj256ELj16ELj4E21rocsparse_complex_numIfEilEEv20rocsparse_direction_T4_S4_S4_S4_S4_21rocsparse_index_base_PKT2_PKT3_PKS4_S5_PS6_PS9_PS4_.num_vgpr, 46
	.set _ZN9rocsparseL42csr2bsr_wavefront_per_row_multipass_kernelILj256ELj16ELj4E21rocsparse_complex_numIfEilEEv20rocsparse_direction_T4_S4_S4_S4_S4_21rocsparse_index_base_PKT2_PKT3_PKS4_S5_PS6_PS9_PS4_.num_agpr, 0
	.set _ZN9rocsparseL42csr2bsr_wavefront_per_row_multipass_kernelILj256ELj16ELj4E21rocsparse_complex_numIfEilEEv20rocsparse_direction_T4_S4_S4_S4_S4_21rocsparse_index_base_PKT2_PKT3_PKS4_S5_PS6_PS9_PS4_.numbered_sgpr, 41
	.set _ZN9rocsparseL42csr2bsr_wavefront_per_row_multipass_kernelILj256ELj16ELj4E21rocsparse_complex_numIfEilEEv20rocsparse_direction_T4_S4_S4_S4_S4_21rocsparse_index_base_PKT2_PKT3_PKS4_S5_PS6_PS9_PS4_.num_named_barrier, 0
	.set _ZN9rocsparseL42csr2bsr_wavefront_per_row_multipass_kernelILj256ELj16ELj4E21rocsparse_complex_numIfEilEEv20rocsparse_direction_T4_S4_S4_S4_S4_21rocsparse_index_base_PKT2_PKT3_PKS4_S5_PS6_PS9_PS4_.private_seg_size, 0
	.set _ZN9rocsparseL42csr2bsr_wavefront_per_row_multipass_kernelILj256ELj16ELj4E21rocsparse_complex_numIfEilEEv20rocsparse_direction_T4_S4_S4_S4_S4_21rocsparse_index_base_PKT2_PKT3_PKS4_S5_PS6_PS9_PS4_.uses_vcc, 1
	.set _ZN9rocsparseL42csr2bsr_wavefront_per_row_multipass_kernelILj256ELj16ELj4E21rocsparse_complex_numIfEilEEv20rocsparse_direction_T4_S4_S4_S4_S4_21rocsparse_index_base_PKT2_PKT3_PKS4_S5_PS6_PS9_PS4_.uses_flat_scratch, 0
	.set _ZN9rocsparseL42csr2bsr_wavefront_per_row_multipass_kernelILj256ELj16ELj4E21rocsparse_complex_numIfEilEEv20rocsparse_direction_T4_S4_S4_S4_S4_21rocsparse_index_base_PKT2_PKT3_PKS4_S5_PS6_PS9_PS4_.has_dyn_sized_stack, 0
	.set _ZN9rocsparseL42csr2bsr_wavefront_per_row_multipass_kernelILj256ELj16ELj4E21rocsparse_complex_numIfEilEEv20rocsparse_direction_T4_S4_S4_S4_S4_21rocsparse_index_base_PKT2_PKT3_PKS4_S5_PS6_PS9_PS4_.has_recursion, 0
	.set _ZN9rocsparseL42csr2bsr_wavefront_per_row_multipass_kernelILj256ELj16ELj4E21rocsparse_complex_numIfEilEEv20rocsparse_direction_T4_S4_S4_S4_S4_21rocsparse_index_base_PKT2_PKT3_PKS4_S5_PS6_PS9_PS4_.has_indirect_call, 0
	.section	.AMDGPU.csdata,"",@progbits
; Kernel info:
; codeLenInByte = 2100
; TotalNumSgprs: 43
; NumVgprs: 46
; ScratchSize: 0
; MemoryBound: 0
; FloatMode: 240
; IeeeMode: 1
; LDSByteSize: 2064 bytes/workgroup (compile time only)
; SGPRBlocks: 0
; VGPRBlocks: 2
; NumSGPRsForWavesPerEU: 43
; NumVGPRsForWavesPerEU: 46
; NamedBarCnt: 0
; Occupancy: 16
; WaveLimiterHint : 0
; COMPUTE_PGM_RSRC2:SCRATCH_EN: 0
; COMPUTE_PGM_RSRC2:USER_SGPR: 2
; COMPUTE_PGM_RSRC2:TRAP_HANDLER: 0
; COMPUTE_PGM_RSRC2:TGID_X_EN: 1
; COMPUTE_PGM_RSRC2:TGID_Y_EN: 0
; COMPUTE_PGM_RSRC2:TGID_Z_EN: 0
; COMPUTE_PGM_RSRC2:TIDIG_COMP_CNT: 0
	.section	.text._ZN9rocsparseL42csr2bsr_wavefront_per_row_multipass_kernelILj256ELj64ELj8E21rocsparse_complex_numIfEilEEv20rocsparse_direction_T4_S4_S4_S4_S4_21rocsparse_index_base_PKT2_PKT3_PKS4_S5_PS6_PS9_PS4_,"axG",@progbits,_ZN9rocsparseL42csr2bsr_wavefront_per_row_multipass_kernelILj256ELj64ELj8E21rocsparse_complex_numIfEilEEv20rocsparse_direction_T4_S4_S4_S4_S4_21rocsparse_index_base_PKT2_PKT3_PKS4_S5_PS6_PS9_PS4_,comdat
	.globl	_ZN9rocsparseL42csr2bsr_wavefront_per_row_multipass_kernelILj256ELj64ELj8E21rocsparse_complex_numIfEilEEv20rocsparse_direction_T4_S4_S4_S4_S4_21rocsparse_index_base_PKT2_PKT3_PKS4_S5_PS6_PS9_PS4_ ; -- Begin function _ZN9rocsparseL42csr2bsr_wavefront_per_row_multipass_kernelILj256ELj64ELj8E21rocsparse_complex_numIfEilEEv20rocsparse_direction_T4_S4_S4_S4_S4_21rocsparse_index_base_PKT2_PKT3_PKS4_S5_PS6_PS9_PS4_
	.p2align	8
	.type	_ZN9rocsparseL42csr2bsr_wavefront_per_row_multipass_kernelILj256ELj64ELj8E21rocsparse_complex_numIfEilEEv20rocsparse_direction_T4_S4_S4_S4_S4_21rocsparse_index_base_PKT2_PKT3_PKS4_S5_PS6_PS9_PS4_,@function
_ZN9rocsparseL42csr2bsr_wavefront_per_row_multipass_kernelILj256ELj64ELj8E21rocsparse_complex_numIfEilEEv20rocsparse_direction_T4_S4_S4_S4_S4_21rocsparse_index_base_PKT2_PKT3_PKS4_S5_PS6_PS9_PS4_: ; @_ZN9rocsparseL42csr2bsr_wavefront_per_row_multipass_kernelILj256ELj64ELj8E21rocsparse_complex_numIfEilEEv20rocsparse_direction_T4_S4_S4_S4_S4_21rocsparse_index_base_PKT2_PKT3_PKS4_S5_PS6_PS9_PS4_
; %bb.0:
	s_bfe_u32 s2, ttmp6, 0x4000c
	s_clause 0x1
	s_load_b96 s[8:10], s[0:1], 0x28
	s_load_b64 s[14:15], s[0:1], 0x40
	s_add_co_i32 s2, s2, 1
	s_and_b32 s3, ttmp6, 15
	s_mul_i32 s2, ttmp9, s2
	s_getreg_b32 s4, hwreg(HW_REG_IB_STS2, 6, 4)
	s_add_co_i32 s3, s3, s2
	s_cmp_eq_u32 s4, 0
	v_dual_mov_b32 v25, 0 :: v_dual_lshrrev_b32 v24, 6, v0
	s_cselect_b32 s12, ttmp9, s3
	v_bfe_u32 v8, v0, 3, 3
	s_ashr_i32 s13, s12, 31
	v_mov_b32_e32 v18, 0
	s_lshl_b64 s[2:3], s[12:13], 2
	s_delay_alu instid0(SALU_CYCLE_1) | instskip(SKIP_2) | instid1(VALU_DEP_1)
	v_dual_mov_b32 v9, v25 :: v_dual_bitop2_b32 v1, s2, v24 bitop3:0x54
	s_load_b128 s[4:7], s[0:1], 0x18
	s_wait_kmcnt 0x0
	v_mad_nc_u64_u32 v[2:3], v1, s8, v[8:9]
	s_delay_alu instid0(VALU_DEP_1) | instskip(SKIP_1) | instid1(VALU_DEP_1)
	v_mad_u32 v3, s3, s8, v3
	s_load_b64 s[2:3], s[0:1], 0x8
	v_mad_u32 v3, v1, s9, v3
	s_wait_kmcnt 0x0
	s_delay_alu instid0(VALU_DEP_1) | instskip(SKIP_2) | instid1(SALU_CYCLE_1)
	v_cmp_gt_i64_e32 vcc_lo, s[2:3], v[2:3]
	v_cmp_gt_i64_e64 s2, s[8:9], v[8:9]
	s_and_b32 s3, s2, vcc_lo
	s_and_saveexec_b32 s11, s3
	s_cbranch_execz .LBB92_2
; %bb.1:
	v_lshl_add_u64 v[4:5], v[2:3], 2, s[14:15]
	global_load_b32 v1, v[4:5], off
	s_wait_loadcnt 0x0
	v_subrev_nc_u32_e32 v18, s10, v1
.LBB92_2:
	s_or_b32 exec_lo, exec_lo, s11
	s_and_saveexec_b32 s11, s3
	s_cbranch_execz .LBB92_4
; %bb.3:
	v_lshl_add_u64 v[2:3], v[2:3], 2, s[14:15]
	global_load_b32 v1, v[2:3], off offset:4
	s_wait_loadcnt 0x0
	v_subrev_nc_u32_e32 v25, s10, v1
.LBB92_4:
	s_or_b32 exec_lo, exec_lo, s11
	s_load_b32 s22, s[0:1], 0x50
	v_mov_b32_e32 v5, 0
	v_lshl_or_b32 v4, s12, 2, v24
	s_mov_b32 s3, exec_lo
	s_delay_alu instid0(VALU_DEP_2) | instskip(NEXT) | instid1(VALU_DEP_2)
	v_mov_b32_e32 v2, v5
	v_cmpx_gt_i64_e64 s[4:5], v[4:5]
	s_cbranch_execz .LBB92_6
; %bb.5:
	s_load_b64 s[4:5], s[0:1], 0x60
	s_wait_kmcnt 0x0
	v_lshl_add_u64 v[2:3], v[4:5], 2, s[4:5]
	global_load_b32 v1, v[2:3], off
	s_wait_loadcnt 0x0
	v_subrev_nc_u32_e32 v2, s22, v1
.LBB92_6:
	s_or_b32 exec_lo, exec_lo, s3
	v_cmp_lt_i64_e64 s3, s[6:7], 1
	s_and_b32 vcc_lo, exec_lo, s3
	s_cbranch_vccnz .LBB92_28
; %bb.7:
	v_dual_mov_b32 v4, 0 :: v_dual_bitop2_b32 v6, 7, v0 bitop3:0x40
	v_and_b32_e32 v1, 0x3c0, v0
	v_mbcnt_lo_u32_b32 v5, -1, 0
	v_mul_u64_e32 v[10:11], s[8:9], v[8:9]
	s_delay_alu instid0(VALU_DEP_4)
	v_dual_mov_b32 v7, v4 :: v_dual_lshlrev_b32 v3, 6, v8
	s_clause 0x3
	s_load_b64 s[14:15], s[0:1], 0x48
	s_load_b64 s[18:19], s[0:1], 0x58
	;; [unrolled: 1-line block ×3, first 2 shown]
	s_load_b32 s3, s[0:1], 0x0
	v_dual_mov_b32 v9, v4 :: v_dual_bitop2_b32 v14, 2, v5 bitop3:0x14
	v_mul_u64_e32 v[12:13], s[8:9], v[6:7]
	v_lshl_or_b32 v26, v1, 3, v3
	v_dual_mov_b32 v1, v4 :: v_dual_bitop2_b32 v3, 4, v5 bitop3:0x14
	s_load_b64 s[4:5], s[0:1], 0x68
	v_dual_lshlrev_b32 v0, 3, v8 :: v_dual_lshlrev_b32 v8, 3, v6
	s_delay_alu instid0(VALU_DEP_2)
	v_cmp_gt_i32_e32 vcc_lo, 32, v3
	v_xor_b32_e32 v15, 1, v5
	v_lshl_or_b32 v27, v5, 2, 28
	v_bfrev_b32_e32 v34, 0.5
	s_wait_xcnt 0x0
	s_mov_b32 s1, 0
	v_cndmask_b32_e32 v3, v5, v3, vcc_lo
	v_cmp_gt_i32_e32 vcc_lo, 32, v14
	v_or_b32_e32 v16, 32, v5
	v_or_b32_e32 v28, v26, v8
	s_mul_u64 s[12:13], s[8:9], s[8:9]
	s_wait_kmcnt 0x0
	s_cmp_lg_u32 s3, 0
	v_cndmask_b32_e32 v14, v5, v14, vcc_lo
	v_cmp_gt_i32_e32 vcc_lo, 32, v15
	v_xor_b32_e32 v17, 16, v5
	v_cmp_gt_i32_e64 s0, 32, v16
	s_mov_b32 s11, s1
	s_cselect_b32 s23, -1, 0
	v_cndmask_b32_e32 v15, v5, v15, vcc_lo
	v_cmp_gt_u64_e32 vcc_lo, s[8:9], v[6:7]
	v_dual_lshlrev_b32 v7, 2, v3 :: v_dual_lshlrev_b32 v29, 2, v14
	v_dual_cndmask_b32 v14, v5, v16, s0 :: v_dual_bitop2_b32 v3, 8, v5 bitop3:0x14
	v_cmp_gt_i32_e64 s0, 32, v17
	v_lshlrev_b32_e32 v30, 2, v15
	v_lshl_add_u64 v[10:11], v[10:11], 3, s[18:19]
	v_lshl_add_u64 v[12:13], v[12:13], 3, s[18:19]
	s_and_b32 s24, s2, vcc_lo
	v_cndmask_b32_e64 v15, v5, v17, s0
	v_cmp_gt_i32_e64 s0, 32, v3
	v_add_nc_u64_e32 v[8:9], v[10:11], v[8:9]
	v_add_nc_u64_e32 v[0:1], v[12:13], v[0:1]
	v_mov_b64_e32 v[10:11], 0
	s_delay_alu instid0(VALU_DEP_4) | instskip(SKIP_3) | instid1(VALU_DEP_3)
	v_dual_mov_b32 v35, 1 :: v_dual_cndmask_b32 v3, v5, v3, s0
	v_dual_lshlrev_b32 v31, 2, v14 :: v_dual_lshlrev_b32 v32, 2, v15
	v_mov_b64_e32 v[14:15], 0
	s_mov_b64 s[2:3], 0xffffffff
	v_dual_lshlrev_b32 v33, 2, v3 :: v_dual_mov_b32 v3, 0
	s_ashr_i32 s18, s9, 31
	s_sub_co_i32 s25, 0, s8
	s_mov_b32 s26, 0
	s_branch .LBB92_10
.LBB92_8:                               ;   in Loop: Header=BB92_10 Depth=1
	s_wait_xcnt 0x0
	s_or_b32 exec_lo, exec_lo, s19
	v_mov_b32_e32 v5, 1
.LBB92_9:                               ;   in Loop: Header=BB92_10 Depth=1
	s_or_b32 exec_lo, exec_lo, s0
	ds_bpermute_b32 v14, v31, v12
	ds_bpermute_b32 v15, v31, v13
	v_add_nc_u32_e32 v2, v5, v2
	s_wait_storecnt_dscnt 0x0
	v_min_i64 v[12:13], v[14:15], v[12:13]
	ds_bpermute_b32 v14, v32, v12
	ds_bpermute_b32 v15, v32, v13
	s_wait_dscnt 0x0
	v_min_i64 v[12:13], v[14:15], v[12:13]
	ds_bpermute_b32 v14, v33, v12
	ds_bpermute_b32 v15, v33, v13
	s_wait_dscnt 0x0
	;; [unrolled: 4-line block ×5, first 2 shown]
	v_min_i64 v[12:13], v[14:15], v[12:13]
	ds_bpermute_b32 v14, v34, v12
	s_wait_dscnt 0x0
	v_dual_ashrrev_i32 v15, 31, v14 :: v_dual_mov_b32 v3, v14
	s_delay_alu instid0(VALU_DEP_1) | instskip(SKIP_1) | instid1(SALU_CYCLE_1)
	v_cmp_le_i64_e32 vcc_lo, s[6:7], v[14:15]
	s_or_b32 s26, vcc_lo, s26
	s_and_not1_b32 exec_lo, exec_lo, s26
	s_cbranch_execz .LBB92_28
.LBB92_10:                              ; =>This Loop Header: Depth=1
                                        ;     Child Loop BB92_13 Depth 2
	v_mov_b64_e32 v[12:13], s[6:7]
	v_dual_mov_b32 v5, v25 :: v_dual_add_nc_u32 v16, v18, v6
	s_mov_b32 s27, exec_lo
	ds_store_b8 v24, v4 offset:2048
	ds_store_b64 v28, v[10:11]
	s_wait_dscnt 0x0
	v_cmpx_lt_i32_e64 v16, v25
	s_cbranch_execz .LBB92_22
; %bb.11:                               ;   in Loop: Header=BB92_10 Depth=1
	v_mul_u64_e32 v[18:19], s[8:9], v[14:15]
	v_mov_b64_e32 v[12:13], s[6:7]
	v_mov_b32_e32 v19, v25
	s_mov_b32 s28, 0
	s_branch .LBB92_13
.LBB92_12:                              ;   in Loop: Header=BB92_13 Depth=2
	s_wait_xcnt 0x0
	s_or_b32 exec_lo, exec_lo, s0
	v_dual_mov_b32 v19, v5 :: v_dual_add_nc_u32 v16, 8, v16
	s_xor_b32 s19, vcc_lo, -1
	s_delay_alu instid0(VALU_DEP_1) | instskip(SKIP_1) | instid1(SALU_CYCLE_1)
	v_cmp_ge_i32_e64 s0, v16, v25
	s_or_b32 s0, s19, s0
	s_and_b32 s0, exec_lo, s0
	s_delay_alu instid0(SALU_CYCLE_1) | instskip(NEXT) | instid1(SALU_CYCLE_1)
	s_or_b32 s28, s0, s28
	s_and_not1_b32 exec_lo, exec_lo, s28
	s_cbranch_execz .LBB92_21
.LBB92_13:                              ;   Parent Loop BB92_10 Depth=1
                                        ; =>  This Inner Loop Header: Depth=2
	global_load_b64 v[20:21], v16, s[14:15] scale_offset
                                        ; implicit-def: $vgpr22_vgpr23
	s_mov_b32 s0, exec_lo
	s_wait_loadcnt 0x0
	v_sub_nc_u64_e64 v[20:21], v[20:21], s[10:11]
	s_delay_alu instid0(VALU_DEP_1) | instskip(SKIP_1) | instid1(VALU_DEP_1)
	v_or_b32_e32 v5, s9, v21
	s_wait_xcnt 0x0
	v_cmpx_ne_u64_e32 0, v[4:5]
	s_xor_b32 s29, exec_lo, s0
	s_cbranch_execz .LBB92_15
; %bb.14:                               ;   in Loop: Header=BB92_13 Depth=2
	s_mov_b32 s19, s18
	v_dual_mov_b32 v39, v4 :: v_dual_ashrrev_i32 v22, 31, v21
	s_add_nc_u64 s[20:21], s[8:9], s[18:19]
	s_delay_alu instid0(SALU_CYCLE_1) | instskip(NEXT) | instid1(VALU_DEP_1)
	s_xor_b64 s[20:21], s[20:21], s[18:19]
	v_mov_b32_e32 v23, v22
	s_cvt_f32_u32 s0, s20
	s_cvt_f32_u32 s19, s21
	s_sub_nc_u64 s[34:35], 0, s[20:21]
	s_delay_alu instid0(VALU_DEP_1) | instskip(NEXT) | instid1(SALU_CYCLE_1)
	v_add_nc_u64_e32 v[36:37], v[20:21], v[22:23]
	s_fmamk_f32 s0, s19, 0x4f800000, s0
	v_mov_b32_e32 v43, v4
	s_delay_alu instid0(SALU_CYCLE_2) | instskip(NEXT) | instid1(VALU_DEP_2)
	v_s_rcp_f32 s0, s0
	v_xor_b32_e32 v38, v36, v22
	s_delay_alu instid0(VALU_DEP_3) | instskip(NEXT) | instid1(TRANS32_DEP_1)
	v_dual_mov_b32 v47, v4 :: v_dual_bitop2_b32 v42, v37, v22 bitop3:0x14
	s_mul_f32 s0, s0, 0x5f7ffffc
	s_delay_alu instid0(SALU_CYCLE_3) | instskip(NEXT) | instid1(SALU_CYCLE_3)
	s_mul_f32 s19, s0, 0x2f800000
	s_trunc_f32 s19, s19
	s_delay_alu instid0(SALU_CYCLE_3) | instskip(SKIP_1) | instid1(SALU_CYCLE_2)
	s_fmamk_f32 s0, s19, 0xcf800000, s0
	s_cvt_u32_f32 s31, s19
	s_cvt_u32_f32 s30, s0
	s_delay_alu instid0(SALU_CYCLE_3) | instskip(NEXT) | instid1(SALU_CYCLE_1)
	s_mul_u64 s[36:37], s[34:35], s[30:31]
	s_mul_hi_u32 s39, s30, s37
	s_mul_i32 s38, s30, s37
	s_mul_hi_u32 s0, s30, s36
	s_mul_i32 s33, s31, s36
	s_add_nc_u64 s[38:39], s[0:1], s[38:39]
	s_mul_hi_u32 s19, s31, s36
	s_mul_hi_u32 s40, s31, s37
	s_add_co_u32 s0, s38, s33
	s_add_co_ci_u32 s0, s39, s19
	s_mul_i32 s36, s31, s37
	s_add_co_ci_u32 s37, s40, 0
	s_delay_alu instid0(SALU_CYCLE_1) | instskip(NEXT) | instid1(SALU_CYCLE_1)
	s_add_nc_u64 s[36:37], s[0:1], s[36:37]
	s_add_co_u32 s30, s30, s36
	s_cselect_b32 s0, -1, 0
	s_delay_alu instid0(SALU_CYCLE_1) | instskip(SKIP_1) | instid1(SALU_CYCLE_1)
	s_cmp_lg_u32 s0, 0
	s_add_co_ci_u32 s31, s31, s37
	s_mul_u64 s[34:35], s[34:35], s[30:31]
	s_delay_alu instid0(SALU_CYCLE_1)
	s_mul_hi_u32 s37, s30, s35
	s_mul_i32 s36, s30, s35
	s_mul_hi_u32 s0, s30, s34
	s_mul_i32 s33, s31, s34
	s_add_nc_u64 s[36:37], s[0:1], s[36:37]
	s_mul_hi_u32 s19, s31, s34
	s_mul_hi_u32 s38, s31, s35
	s_add_co_u32 s0, s36, s33
	s_add_co_ci_u32 s0, s37, s19
	s_mul_i32 s34, s31, s35
	s_add_co_ci_u32 s35, s38, 0
	s_delay_alu instid0(SALU_CYCLE_1) | instskip(NEXT) | instid1(SALU_CYCLE_1)
	s_add_nc_u64 s[34:35], s[0:1], s[34:35]
	s_add_co_u32 s30, s30, s34
	s_cselect_b32 s0, -1, 0
	v_mul_hi_u32 v46, v38, s30
	s_cmp_lg_u32 s0, 0
	s_add_co_ci_u32 s0, s31, s35
	s_and_b64 s[34:35], s[30:31], s[2:3]
	v_mul_u64_e32 v[40:41], s[0:1], v[38:39]
	v_mul_u64_e32 v[36:37], s[34:35], v[42:43]
	;; [unrolled: 1-line block ×3, first 2 shown]
	s_delay_alu instid0(VALU_DEP_3) | instskip(NEXT) | instid1(VALU_DEP_1)
	v_add_nc_u64_e32 v[40:41], v[46:47], v[40:41]
	v_add_co_u32 v5, vcc_lo, v40, v36
	s_delay_alu instid0(VALU_DEP_2) | instskip(NEXT) | instid1(VALU_DEP_4)
	v_add_co_ci_u32_e32 v46, vcc_lo, v41, v37, vcc_lo
	v_add_co_ci_u32_e32 v45, vcc_lo, 0, v45, vcc_lo
	s_delay_alu instid0(VALU_DEP_1) | instskip(NEXT) | instid1(VALU_DEP_1)
	v_add_nc_u64_e32 v[36:37], v[46:47], v[44:45]
	v_mul_u64_e32 v[40:41], s[20:21], v[36:37]
	s_delay_alu instid0(VALU_DEP_1) | instskip(NEXT) | instid1(VALU_DEP_2)
	v_sub_nc_u32_e32 v5, v42, v41
	v_sub_co_u32 v17, vcc_lo, v38, v40
	s_delay_alu instid0(VALU_DEP_1) | instskip(NEXT) | instid1(VALU_DEP_3)
	v_sub_co_ci_u32_e64 v23, null, v42, v41, vcc_lo
	v_subrev_co_ci_u32_e64 v5, null, s21, v5, vcc_lo
	s_delay_alu instid0(VALU_DEP_3) | instskip(SKIP_1) | instid1(VALU_DEP_3)
	v_sub_co_u32 v21, s0, v17, s20
	v_add_nc_u64_e32 v[40:41], 1, v[36:37]
	v_subrev_co_ci_u32_e64 v5, null, 0, v5, s0
	s_delay_alu instid0(VALU_DEP_3) | instskip(SKIP_1) | instid1(VALU_DEP_3)
	v_cmp_le_u32_e32 vcc_lo, s20, v21
	v_cndmask_b32_e64 v21, 0, -1, vcc_lo
	v_cmp_le_u32_e32 vcc_lo, s21, v5
	v_cndmask_b32_e64 v38, 0, -1, vcc_lo
	;; [unrolled: 2-line block ×4, first 2 shown]
	v_cmp_eq_u32_e32 vcc_lo, s21, v5
	v_cndmask_b32_e32 v5, v38, v21, vcc_lo
	v_cmp_eq_u32_e32 vcc_lo, s21, v23
	v_add_nc_u64_e32 v[38:39], 2, v[36:37]
	v_cndmask_b32_e32 v17, v42, v17, vcc_lo
	s_delay_alu instid0(VALU_DEP_4) | instskip(NEXT) | instid1(VALU_DEP_3)
	v_cmp_ne_u32_e32 vcc_lo, 0, v5
	v_cndmask_b32_e32 v5, v41, v39, vcc_lo
	s_delay_alu instid0(VALU_DEP_3) | instskip(SKIP_1) | instid1(VALU_DEP_2)
	v_cmp_ne_u32_e64 s0, 0, v17
	v_cndmask_b32_e32 v17, v40, v38, vcc_lo
	v_dual_cndmask_b32 v5, v37, v5, s0 :: v_dual_bitop2_b32 v22, s18, v22 bitop3:0x14
	s_delay_alu instid0(VALU_DEP_1) | instskip(NEXT) | instid1(VALU_DEP_2)
	v_dual_cndmask_b32 v17, v36, v17, s0 :: v_dual_mov_b32 v23, v22
	v_xor_b32_e32 v37, v5, v22
	s_delay_alu instid0(VALU_DEP_2) | instskip(NEXT) | instid1(VALU_DEP_1)
	v_xor_b32_e32 v36, v17, v22
	v_sub_nc_u64_e32 v[22:23], v[36:37], v[22:23]
.LBB92_15:                              ;   in Loop: Header=BB92_13 Depth=2
	s_and_not1_saveexec_b32 s0, s29
	s_cbranch_execz .LBB92_17
; %bb.16:                               ;   in Loop: Header=BB92_13 Depth=2
	v_cvt_f32_u32_e32 v5, s8
	v_mov_b32_e32 v23, v4
	s_delay_alu instid0(VALU_DEP_2) | instskip(SKIP_1) | instid1(TRANS32_DEP_1)
	v_rcp_iflag_f32_e32 v5, v5
	v_nop
	v_mul_f32_e32 v5, 0x4f7ffffe, v5
	s_delay_alu instid0(VALU_DEP_1) | instskip(NEXT) | instid1(VALU_DEP_1)
	v_cvt_u32_f32_e32 v5, v5
	v_mul_lo_u32 v17, s25, v5
	s_delay_alu instid0(VALU_DEP_1) | instskip(NEXT) | instid1(VALU_DEP_1)
	v_mul_hi_u32 v17, v5, v17
	v_add_nc_u32_e32 v5, v5, v17
	s_delay_alu instid0(VALU_DEP_1) | instskip(NEXT) | instid1(VALU_DEP_1)
	v_mul_hi_u32 v5, v20, v5
	v_mul_lo_u32 v17, v5, s8
	s_delay_alu instid0(VALU_DEP_1) | instskip(NEXT) | instid1(VALU_DEP_1)
	v_sub_nc_u32_e32 v17, v20, v17
	v_subrev_nc_u32_e32 v22, s8, v17
	v_cmp_le_u32_e32 vcc_lo, s8, v17
	s_delay_alu instid0(VALU_DEP_2) | instskip(NEXT) | instid1(VALU_DEP_1)
	v_dual_add_nc_u32 v21, 1, v5 :: v_dual_cndmask_b32 v17, v17, v22, vcc_lo
	v_cndmask_b32_e32 v5, v5, v21, vcc_lo
	s_delay_alu instid0(VALU_DEP_2) | instskip(NEXT) | instid1(VALU_DEP_2)
	v_cmp_le_u32_e32 vcc_lo, s8, v17
	v_add_nc_u32_e32 v21, 1, v5
	s_delay_alu instid0(VALU_DEP_1)
	v_cndmask_b32_e32 v22, v5, v21, vcc_lo
.LBB92_17:                              ;   in Loop: Header=BB92_13 Depth=2
	s_or_b32 exec_lo, exec_lo, s0
	s_delay_alu instid0(VALU_DEP_1) | instskip(SKIP_2) | instid1(SALU_CYCLE_1)
	v_cmp_ne_u64_e64 s0, v[22:23], v[14:15]
	v_cmp_eq_u64_e32 vcc_lo, v[22:23], v[14:15]
	s_and_saveexec_b32 s19, s0
	s_xor_b32 s0, exec_lo, s19
; %bb.18:                               ;   in Loop: Header=BB92_13 Depth=2
	v_min_i64 v[12:13], v[22:23], v[12:13]
                                        ; implicit-def: $vgpr20_vgpr21
                                        ; implicit-def: $vgpr19
; %bb.19:                               ;   in Loop: Header=BB92_13 Depth=2
	s_or_saveexec_b32 s0, s0
	v_mov_b32_e32 v5, v16
	s_xor_b32 exec_lo, exec_lo, s0
	s_cbranch_execz .LBB92_12
; %bb.20:                               ;   in Loop: Header=BB92_13 Depth=2
	v_dual_ashrrev_i32 v17, 31, v16 :: v_dual_sub_nc_u32 v5, v20, v18
	s_delay_alu instid0(VALU_DEP_1) | instskip(NEXT) | instid1(VALU_DEP_2)
	v_lshl_add_u64 v[22:23], v[16:17], 3, s[16:17]
	v_lshl_add_u32 v17, v5, 3, v26
	v_mov_b32_e32 v5, v19
	global_load_b64 v[22:23], v[22:23], off
	ds_store_b8 v24, v35 offset:2048
	s_wait_loadcnt 0x0
	ds_store_b64 v17, v[22:23]
	s_branch .LBB92_12
.LBB92_21:                              ;   in Loop: Header=BB92_10 Depth=1
	s_or_b32 exec_lo, exec_lo, s28
.LBB92_22:                              ;   in Loop: Header=BB92_10 Depth=1
	s_delay_alu instid0(SALU_CYCLE_1)
	s_or_b32 exec_lo, exec_lo, s27
	ds_bpermute_b32 v14, v7, v5
	s_wait_dscnt 0x0
	ds_load_u8 v15, v24 offset:2048
	v_min_i32_e32 v5, v14, v5
	ds_bpermute_b32 v14, v29, v5
	s_wait_dscnt 0x0
	v_min_i32_e32 v5, v14, v5
	ds_bpermute_b32 v14, v30, v5
	s_wait_dscnt 0x0
	v_min_i32_e32 v5, v14, v5
	ds_bpermute_b32 v18, v27, v5
	v_and_b32_e32 v5, 1, v15
	s_delay_alu instid0(VALU_DEP_1)
	v_cmp_eq_u32_e32 vcc_lo, 1, v5
	v_mov_b32_e32 v5, 0
	s_and_saveexec_b32 s0, vcc_lo
	s_cbranch_execz .LBB92_9
; %bb.23:                               ;   in Loop: Header=BB92_10 Depth=1
	v_add_nc_u32_e32 v14, s22, v3
	s_delay_alu instid0(VALU_DEP_1)
	v_ashrrev_i32_e32 v15, 31, v14
	global_store_b64 v2, v[14:15], s[4:5] scale_offset
	s_wait_xcnt 0x0
	s_and_saveexec_b32 s19, s24
	s_cbranch_execz .LBB92_8
; %bb.24:                               ;   in Loop: Header=BB92_10 Depth=1
	v_ashrrev_i32_e32 v3, 31, v2
	ds_load_b64 v[16:17], v28
	s_and_b32 vcc_lo, exec_lo, s23
	v_mul_u64_e32 v[14:15], s[12:13], v[2:3]
	s_cbranch_vccz .LBB92_26
; %bb.25:                               ;   in Loop: Header=BB92_10 Depth=1
	s_delay_alu instid0(VALU_DEP_1)
	v_lshl_add_u64 v[20:21], v[14:15], 3, v[0:1]
	s_wait_dscnt 0x0
	global_store_b64 v[20:21], v[16:17], off
	s_cbranch_execnz .LBB92_8
	s_branch .LBB92_27
.LBB92_26:                              ;   in Loop: Header=BB92_10 Depth=1
.LBB92_27:                              ;   in Loop: Header=BB92_10 Depth=1
	s_delay_alu instid0(VALU_DEP_1)
	v_lshl_add_u64 v[14:15], v[14:15], 3, v[8:9]
	s_wait_dscnt 0x0
	global_store_b64 v[14:15], v[16:17], off
	s_branch .LBB92_8
.LBB92_28:
	s_endpgm
	.section	.rodata,"a",@progbits
	.p2align	6, 0x0
	.amdhsa_kernel _ZN9rocsparseL42csr2bsr_wavefront_per_row_multipass_kernelILj256ELj64ELj8E21rocsparse_complex_numIfEilEEv20rocsparse_direction_T4_S4_S4_S4_S4_21rocsparse_index_base_PKT2_PKT3_PKS4_S5_PS6_PS9_PS4_
		.amdhsa_group_segment_fixed_size 2052
		.amdhsa_private_segment_fixed_size 0
		.amdhsa_kernarg_size 112
		.amdhsa_user_sgpr_count 2
		.amdhsa_user_sgpr_dispatch_ptr 0
		.amdhsa_user_sgpr_queue_ptr 0
		.amdhsa_user_sgpr_kernarg_segment_ptr 1
		.amdhsa_user_sgpr_dispatch_id 0
		.amdhsa_user_sgpr_kernarg_preload_length 0
		.amdhsa_user_sgpr_kernarg_preload_offset 0
		.amdhsa_user_sgpr_private_segment_size 0
		.amdhsa_wavefront_size32 1
		.amdhsa_uses_dynamic_stack 0
		.amdhsa_enable_private_segment 0
		.amdhsa_system_sgpr_workgroup_id_x 1
		.amdhsa_system_sgpr_workgroup_id_y 0
		.amdhsa_system_sgpr_workgroup_id_z 0
		.amdhsa_system_sgpr_workgroup_info 0
		.amdhsa_system_vgpr_workitem_id 0
		.amdhsa_next_free_vgpr 48
		.amdhsa_next_free_sgpr 41
		.amdhsa_named_barrier_count 0
		.amdhsa_reserve_vcc 1
		.amdhsa_float_round_mode_32 0
		.amdhsa_float_round_mode_16_64 0
		.amdhsa_float_denorm_mode_32 3
		.amdhsa_float_denorm_mode_16_64 3
		.amdhsa_fp16_overflow 0
		.amdhsa_memory_ordered 1
		.amdhsa_forward_progress 1
		.amdhsa_inst_pref_size 18
		.amdhsa_round_robin_scheduling 0
		.amdhsa_exception_fp_ieee_invalid_op 0
		.amdhsa_exception_fp_denorm_src 0
		.amdhsa_exception_fp_ieee_div_zero 0
		.amdhsa_exception_fp_ieee_overflow 0
		.amdhsa_exception_fp_ieee_underflow 0
		.amdhsa_exception_fp_ieee_inexact 0
		.amdhsa_exception_int_div_zero 0
	.end_amdhsa_kernel
	.section	.text._ZN9rocsparseL42csr2bsr_wavefront_per_row_multipass_kernelILj256ELj64ELj8E21rocsparse_complex_numIfEilEEv20rocsparse_direction_T4_S4_S4_S4_S4_21rocsparse_index_base_PKT2_PKT3_PKS4_S5_PS6_PS9_PS4_,"axG",@progbits,_ZN9rocsparseL42csr2bsr_wavefront_per_row_multipass_kernelILj256ELj64ELj8E21rocsparse_complex_numIfEilEEv20rocsparse_direction_T4_S4_S4_S4_S4_21rocsparse_index_base_PKT2_PKT3_PKS4_S5_PS6_PS9_PS4_,comdat
.Lfunc_end92:
	.size	_ZN9rocsparseL42csr2bsr_wavefront_per_row_multipass_kernelILj256ELj64ELj8E21rocsparse_complex_numIfEilEEv20rocsparse_direction_T4_S4_S4_S4_S4_21rocsparse_index_base_PKT2_PKT3_PKS4_S5_PS6_PS9_PS4_, .Lfunc_end92-_ZN9rocsparseL42csr2bsr_wavefront_per_row_multipass_kernelILj256ELj64ELj8E21rocsparse_complex_numIfEilEEv20rocsparse_direction_T4_S4_S4_S4_S4_21rocsparse_index_base_PKT2_PKT3_PKS4_S5_PS6_PS9_PS4_
                                        ; -- End function
	.set _ZN9rocsparseL42csr2bsr_wavefront_per_row_multipass_kernelILj256ELj64ELj8E21rocsparse_complex_numIfEilEEv20rocsparse_direction_T4_S4_S4_S4_S4_21rocsparse_index_base_PKT2_PKT3_PKS4_S5_PS6_PS9_PS4_.num_vgpr, 48
	.set _ZN9rocsparseL42csr2bsr_wavefront_per_row_multipass_kernelILj256ELj64ELj8E21rocsparse_complex_numIfEilEEv20rocsparse_direction_T4_S4_S4_S4_S4_21rocsparse_index_base_PKT2_PKT3_PKS4_S5_PS6_PS9_PS4_.num_agpr, 0
	.set _ZN9rocsparseL42csr2bsr_wavefront_per_row_multipass_kernelILj256ELj64ELj8E21rocsparse_complex_numIfEilEEv20rocsparse_direction_T4_S4_S4_S4_S4_21rocsparse_index_base_PKT2_PKT3_PKS4_S5_PS6_PS9_PS4_.numbered_sgpr, 41
	.set _ZN9rocsparseL42csr2bsr_wavefront_per_row_multipass_kernelILj256ELj64ELj8E21rocsparse_complex_numIfEilEEv20rocsparse_direction_T4_S4_S4_S4_S4_21rocsparse_index_base_PKT2_PKT3_PKS4_S5_PS6_PS9_PS4_.num_named_barrier, 0
	.set _ZN9rocsparseL42csr2bsr_wavefront_per_row_multipass_kernelILj256ELj64ELj8E21rocsparse_complex_numIfEilEEv20rocsparse_direction_T4_S4_S4_S4_S4_21rocsparse_index_base_PKT2_PKT3_PKS4_S5_PS6_PS9_PS4_.private_seg_size, 0
	.set _ZN9rocsparseL42csr2bsr_wavefront_per_row_multipass_kernelILj256ELj64ELj8E21rocsparse_complex_numIfEilEEv20rocsparse_direction_T4_S4_S4_S4_S4_21rocsparse_index_base_PKT2_PKT3_PKS4_S5_PS6_PS9_PS4_.uses_vcc, 1
	.set _ZN9rocsparseL42csr2bsr_wavefront_per_row_multipass_kernelILj256ELj64ELj8E21rocsparse_complex_numIfEilEEv20rocsparse_direction_T4_S4_S4_S4_S4_21rocsparse_index_base_PKT2_PKT3_PKS4_S5_PS6_PS9_PS4_.uses_flat_scratch, 0
	.set _ZN9rocsparseL42csr2bsr_wavefront_per_row_multipass_kernelILj256ELj64ELj8E21rocsparse_complex_numIfEilEEv20rocsparse_direction_T4_S4_S4_S4_S4_21rocsparse_index_base_PKT2_PKT3_PKS4_S5_PS6_PS9_PS4_.has_dyn_sized_stack, 0
	.set _ZN9rocsparseL42csr2bsr_wavefront_per_row_multipass_kernelILj256ELj64ELj8E21rocsparse_complex_numIfEilEEv20rocsparse_direction_T4_S4_S4_S4_S4_21rocsparse_index_base_PKT2_PKT3_PKS4_S5_PS6_PS9_PS4_.has_recursion, 0
	.set _ZN9rocsparseL42csr2bsr_wavefront_per_row_multipass_kernelILj256ELj64ELj8E21rocsparse_complex_numIfEilEEv20rocsparse_direction_T4_S4_S4_S4_S4_21rocsparse_index_base_PKT2_PKT3_PKS4_S5_PS6_PS9_PS4_.has_indirect_call, 0
	.section	.AMDGPU.csdata,"",@progbits
; Kernel info:
; codeLenInByte = 2212
; TotalNumSgprs: 43
; NumVgprs: 48
; ScratchSize: 0
; MemoryBound: 0
; FloatMode: 240
; IeeeMode: 1
; LDSByteSize: 2052 bytes/workgroup (compile time only)
; SGPRBlocks: 0
; VGPRBlocks: 2
; NumSGPRsForWavesPerEU: 43
; NumVGPRsForWavesPerEU: 48
; NamedBarCnt: 0
; Occupancy: 16
; WaveLimiterHint : 0
; COMPUTE_PGM_RSRC2:SCRATCH_EN: 0
; COMPUTE_PGM_RSRC2:USER_SGPR: 2
; COMPUTE_PGM_RSRC2:TRAP_HANDLER: 0
; COMPUTE_PGM_RSRC2:TGID_X_EN: 1
; COMPUTE_PGM_RSRC2:TGID_Y_EN: 0
; COMPUTE_PGM_RSRC2:TGID_Z_EN: 0
; COMPUTE_PGM_RSRC2:TIDIG_COMP_CNT: 0
	.section	.text._ZN9rocsparseL42csr2bsr_wavefront_per_row_multipass_kernelILj256ELj32ELj8E21rocsparse_complex_numIfEilEEv20rocsparse_direction_T4_S4_S4_S4_S4_21rocsparse_index_base_PKT2_PKT3_PKS4_S5_PS6_PS9_PS4_,"axG",@progbits,_ZN9rocsparseL42csr2bsr_wavefront_per_row_multipass_kernelILj256ELj32ELj8E21rocsparse_complex_numIfEilEEv20rocsparse_direction_T4_S4_S4_S4_S4_21rocsparse_index_base_PKT2_PKT3_PKS4_S5_PS6_PS9_PS4_,comdat
	.globl	_ZN9rocsparseL42csr2bsr_wavefront_per_row_multipass_kernelILj256ELj32ELj8E21rocsparse_complex_numIfEilEEv20rocsparse_direction_T4_S4_S4_S4_S4_21rocsparse_index_base_PKT2_PKT3_PKS4_S5_PS6_PS9_PS4_ ; -- Begin function _ZN9rocsparseL42csr2bsr_wavefront_per_row_multipass_kernelILj256ELj32ELj8E21rocsparse_complex_numIfEilEEv20rocsparse_direction_T4_S4_S4_S4_S4_21rocsparse_index_base_PKT2_PKT3_PKS4_S5_PS6_PS9_PS4_
	.p2align	8
	.type	_ZN9rocsparseL42csr2bsr_wavefront_per_row_multipass_kernelILj256ELj32ELj8E21rocsparse_complex_numIfEilEEv20rocsparse_direction_T4_S4_S4_S4_S4_21rocsparse_index_base_PKT2_PKT3_PKS4_S5_PS6_PS9_PS4_,@function
_ZN9rocsparseL42csr2bsr_wavefront_per_row_multipass_kernelILj256ELj32ELj8E21rocsparse_complex_numIfEilEEv20rocsparse_direction_T4_S4_S4_S4_S4_21rocsparse_index_base_PKT2_PKT3_PKS4_S5_PS6_PS9_PS4_: ; @_ZN9rocsparseL42csr2bsr_wavefront_per_row_multipass_kernelILj256ELj32ELj8E21rocsparse_complex_numIfEilEEv20rocsparse_direction_T4_S4_S4_S4_S4_21rocsparse_index_base_PKT2_PKT3_PKS4_S5_PS6_PS9_PS4_
; %bb.0:
	s_bfe_u32 s2, ttmp6, 0x4000c
	s_clause 0x1
	s_load_b96 s[8:10], s[0:1], 0x28
	s_load_b64 s[14:15], s[0:1], 0x40
	s_add_co_i32 s2, s2, 1
	s_and_b32 s3, ttmp6, 15
	s_mul_i32 s2, ttmp9, s2
	s_getreg_b32 s4, hwreg(HW_REG_IB_STS2, 6, 4)
	s_add_co_i32 s3, s3, s2
	s_cmp_eq_u32 s4, 0
	v_dual_mov_b32 v29, 0 :: v_dual_lshrrev_b32 v28, 5, v0
	s_cselect_b32 s12, ttmp9, s3
	v_bfe_u32 v6, v0, 2, 3
	s_ashr_i32 s13, s12, 31
	v_mov_b32_e32 v24, 0
	s_lshl_b64 s[2:3], s[12:13], 3
	s_delay_alu instid0(SALU_CYCLE_1) | instskip(SKIP_2) | instid1(VALU_DEP_1)
	v_dual_mov_b32 v7, v29 :: v_dual_bitop2_b32 v1, s2, v28 bitop3:0x54
	s_load_b128 s[4:7], s[0:1], 0x18
	s_wait_kmcnt 0x0
	v_mad_nc_u64_u32 v[2:3], v1, s8, v[6:7]
	s_delay_alu instid0(VALU_DEP_1) | instskip(SKIP_1) | instid1(VALU_DEP_1)
	v_mad_u32 v3, s3, s8, v3
	s_load_b64 s[2:3], s[0:1], 0x8
	v_mad_u32 v3, v1, s9, v3
	s_wait_kmcnt 0x0
	s_delay_alu instid0(VALU_DEP_1) | instskip(SKIP_2) | instid1(SALU_CYCLE_1)
	v_cmp_gt_i64_e32 vcc_lo, s[2:3], v[2:3]
	v_cmp_gt_i64_e64 s2, s[8:9], v[6:7]
	s_and_b32 s3, s2, vcc_lo
	s_and_saveexec_b32 s11, s3
	s_cbranch_execz .LBB93_2
; %bb.1:
	v_lshl_add_u64 v[4:5], v[2:3], 2, s[14:15]
	global_load_b32 v1, v[4:5], off
	s_wait_loadcnt 0x0
	v_subrev_nc_u32_e32 v24, s10, v1
.LBB93_2:
	s_or_b32 exec_lo, exec_lo, s11
	s_and_saveexec_b32 s11, s3
	s_cbranch_execz .LBB93_4
; %bb.3:
	v_lshl_add_u64 v[2:3], v[2:3], 2, s[14:15]
	global_load_b32 v1, v[2:3], off offset:4
	s_wait_loadcnt 0x0
	v_subrev_nc_u32_e32 v29, s10, v1
.LBB93_4:
	s_or_b32 exec_lo, exec_lo, s11
	s_load_b32 s24, s[0:1], 0x50
	v_mov_b32_e32 v5, 0
	v_lshl_or_b32 v4, s12, 3, v28
	s_mov_b32 s3, exec_lo
	s_delay_alu instid0(VALU_DEP_2) | instskip(NEXT) | instid1(VALU_DEP_2)
	v_mov_b32_e32 v2, v5
	v_cmpx_gt_i64_e64 s[4:5], v[4:5]
	s_cbranch_execz .LBB93_6
; %bb.5:
	s_load_b64 s[4:5], s[0:1], 0x60
	s_wait_kmcnt 0x0
	v_lshl_add_u64 v[2:3], v[4:5], 2, s[4:5]
	global_load_b32 v1, v[2:3], off
	s_wait_loadcnt 0x0
	v_subrev_nc_u32_e32 v2, s24, v1
.LBB93_6:
	s_or_b32 exec_lo, exec_lo, s3
	v_cmp_lt_i64_e64 s3, s[6:7], 1
	s_and_b32 vcc_lo, exec_lo, s3
	s_cbranch_vccnz .LBB93_33
; %bb.7:
	s_clause 0x1
	s_load_b64 s[18:19], s[0:1], 0x58
	s_load_b64 s[4:5], s[0:1], 0x68
	v_dual_lshlrev_b32 v8, 3, v6 :: v_dual_mov_b32 v4, 0
	v_dual_lshlrev_b32 v1, 6, v6 :: v_dual_bitop2_b32 v0, 3, v0 bitop3:0x40
	v_mbcnt_lo_u32_b32 v3, -1, 0
	v_mul_u64_e32 v[12:13], s[8:9], v[6:7]
	s_delay_alu instid0(VALU_DEP_4) | instskip(NEXT) | instid1(VALU_DEP_4)
	v_mov_b32_e32 v9, v4
	v_lshl_or_b32 v30, v28, 9, v1
	v_dual_mov_b32 v15, v4 :: v_dual_bitop2_b32 v14, 4, v0 bitop3:0x54
	v_xor_b32_e32 v1, 2, v3
	v_xor_b32_e32 v16, 8, v3
	s_clause 0x2
	s_load_b64 s[14:15], s[0:1], 0x48
	s_load_b64 s[16:17], s[0:1], 0x38
	s_load_b32 s20, s[0:1], 0x0
	v_lshl_or_b32 v34, v3, 2, 12
	v_mul_u64_e32 v[10:11], s[8:9], v[14:15]
	v_cmp_gt_i32_e32 vcc_lo, 32, v1
	v_xor_b32_e32 v5, 1, v3
	s_wait_xcnt 0x0
	v_cmp_gt_u64_e64 s0, s[8:9], v[14:15]
	s_wait_kmcnt 0x0
	v_add_nc_u64_e32 v[6:7], s[18:19], v[8:9]
	v_mov_b64_e32 v[18:19], 0
	v_cndmask_b32_e32 v8, v3, v1, vcc_lo
	v_cmp_gt_i32_e32 vcc_lo, 32, v5
	v_mov_b64_e32 v[14:15], 0
	v_mov_b32_e32 v1, v4
	v_lshl_or_b32 v31, v0, 3, v30
	v_dual_mov_b32 v38, 1 :: v_dual_mov_b32 v39, 0
	v_dual_cndmask_b32 v5, v3, v5 :: v_dual_lshlrev_b32 v32, 2, v8
	s_delay_alu instid0(VALU_DEP_4) | instskip(SKIP_2) | instid1(VALU_DEP_2)
	v_mul_u64_e32 v[8:9], s[8:9], v[0:1]
	s_mov_b32 s3, 0
	s_mul_u64 s[12:13], s[8:9], s[8:9]
	v_dual_lshlrev_b32 v33, 2, v5 :: v_dual_bitop2_b32 v5, 16, v3 bitop3:0x14
	s_cmp_lg_u32 s20, 0
	s_mov_b32 s11, s3
	s_cselect_b32 s1, -1, 0
	v_lshl_add_u64 v[12:13], v[12:13], 3, s[18:19]
	v_cmp_gt_i32_e32 vcc_lo, 32, v5
	s_and_b32 s26, s2, s0
	s_mov_b64 s[18:19], 0xffffffff
	s_ashr_i32 s20, s9, 31
	s_sub_co_i32 s27, 0, s8
	v_dual_cndmask_b32 v5, v3, v5, vcc_lo :: v_dual_bitop2_b32 v17, 4, v3 bitop3:0x14
	v_cmp_gt_i32_e32 vcc_lo, 32, v16
	s_mov_b32 s28, 0
	v_dual_mov_b32 v37, 0x7c :: v_dual_cndmask_b32 v16, v3, v16
	s_delay_alu instid0(VALU_DEP_3) | instskip(NEXT) | instid1(VALU_DEP_2)
	v_cmp_gt_i32_e32 vcc_lo, 32, v17
	v_dual_lshlrev_b32 v35, 2, v16 :: v_dual_cndmask_b32 v3, v3, v17, vcc_lo
	v_cmp_gt_u64_e32 vcc_lo, s[8:9], v[0:1]
	s_delay_alu instid0(VALU_DEP_2)
	v_dual_lshlrev_b32 v1, 2, v5 :: v_dual_lshlrev_b32 v36, 2, v3
	s_and_b32 s25, s2, vcc_lo
	s_branch .LBB93_10
.LBB93_8:                               ;   in Loop: Header=BB93_10 Depth=1
	s_wait_xcnt 0x0
	s_or_b32 exec_lo, exec_lo, s2
	v_mov_b32_e32 v3, 1
.LBB93_9:                               ;   in Loop: Header=BB93_10 Depth=1
	s_or_b32 exec_lo, exec_lo, s0
	ds_bpermute_b32 v18, v1, v16
	ds_bpermute_b32 v19, v1, v17
	v_add_nc_u32_e32 v2, v3, v2
	s_wait_storecnt_dscnt 0x0
	v_min_i64 v[16:17], v[18:19], v[16:17]
	ds_bpermute_b32 v18, v35, v16
	ds_bpermute_b32 v19, v35, v17
	s_wait_dscnt 0x0
	v_min_i64 v[16:17], v[18:19], v[16:17]
	ds_bpermute_b32 v18, v36, v16
	ds_bpermute_b32 v19, v36, v17
	s_wait_dscnt 0x0
	;; [unrolled: 4-line block ×4, first 2 shown]
	v_min_i64 v[16:17], v[18:19], v[16:17]
	ds_bpermute_b32 v18, v37, v16
	s_wait_dscnt 0x0
	v_dual_ashrrev_i32 v19, 31, v18 :: v_dual_mov_b32 v39, v18
	s_delay_alu instid0(VALU_DEP_1) | instskip(SKIP_1) | instid1(SALU_CYCLE_1)
	v_cmp_le_i64_e32 vcc_lo, s[6:7], v[18:19]
	s_or_b32 s28, vcc_lo, s28
	s_and_not1_b32 exec_lo, exec_lo, s28
	s_cbranch_execz .LBB93_33
.LBB93_10:                              ; =>This Loop Header: Depth=1
                                        ;     Child Loop BB93_13 Depth 2
	v_mov_b64_e32 v[16:17], s[6:7]
	v_dual_mov_b32 v5, v29 :: v_dual_add_nc_u32 v20, v24, v0
	s_mov_b32 s29, exec_lo
	ds_store_b8 v28, v4 offset:4096
	ds_store_2addr_b64 v31, v[14:15], v[14:15] offset1:4
	s_wait_dscnt 0x0
	v_cmpx_lt_i32_e64 v20, v29
	s_cbranch_execz .LBB93_22
; %bb.11:                               ;   in Loop: Header=BB93_10 Depth=1
	v_mul_u64_e32 v[22:23], s[8:9], v[18:19]
	v_mov_b64_e32 v[16:17], s[6:7]
	v_mov_b32_e32 v3, v29
	s_mov_b32 s30, 0
	s_branch .LBB93_13
.LBB93_12:                              ;   in Loop: Header=BB93_13 Depth=2
	s_wait_xcnt 0x0
	s_or_b32 exec_lo, exec_lo, s0
	v_dual_mov_b32 v3, v5 :: v_dual_add_nc_u32 v20, 4, v20
	s_xor_b32 s2, vcc_lo, -1
	s_delay_alu instid0(VALU_DEP_1) | instskip(SKIP_1) | instid1(SALU_CYCLE_1)
	v_cmp_ge_i32_e64 s0, v20, v29
	s_or_b32 s0, s2, s0
	s_and_b32 s0, exec_lo, s0
	s_delay_alu instid0(SALU_CYCLE_1) | instskip(NEXT) | instid1(SALU_CYCLE_1)
	s_or_b32 s30, s0, s30
	s_and_not1_b32 exec_lo, exec_lo, s30
	s_cbranch_execz .LBB93_21
.LBB93_13:                              ;   Parent Loop BB93_10 Depth=1
                                        ; =>  This Inner Loop Header: Depth=2
	global_load_b64 v[24:25], v20, s[14:15] scale_offset
                                        ; implicit-def: $vgpr26_vgpr27
	s_mov_b32 s0, exec_lo
	s_wait_loadcnt 0x0
	v_sub_nc_u64_e64 v[24:25], v[24:25], s[10:11]
	s_delay_alu instid0(VALU_DEP_1) | instskip(SKIP_1) | instid1(VALU_DEP_1)
	v_or_b32_e32 v5, s9, v25
	s_wait_xcnt 0x0
	v_cmpx_ne_u64_e32 0, v[4:5]
	s_xor_b32 s31, exec_lo, s0
	s_cbranch_execz .LBB93_15
; %bb.14:                               ;   in Loop: Header=BB93_13 Depth=2
	s_mov_b32 s21, s20
	v_dual_mov_b32 v43, v4 :: v_dual_ashrrev_i32 v26, 31, v25
	s_add_nc_u64 s[22:23], s[8:9], s[20:21]
	s_delay_alu instid0(SALU_CYCLE_1) | instskip(NEXT) | instid1(VALU_DEP_1)
	s_xor_b64 s[22:23], s[22:23], s[20:21]
	v_mov_b32_e32 v27, v26
	s_cvt_f32_u32 s0, s22
	s_cvt_f32_u32 s2, s23
	s_sub_nc_u64 s[36:37], 0, s[22:23]
	s_delay_alu instid0(VALU_DEP_1) | instskip(NEXT) | instid1(SALU_CYCLE_1)
	v_add_nc_u64_e32 v[40:41], v[24:25], v[26:27]
	s_fmamk_f32 s0, s2, 0x4f800000, s0
	v_mov_b32_e32 v47, v4
	s_delay_alu instid0(SALU_CYCLE_2) | instskip(NEXT) | instid1(VALU_DEP_2)
	v_s_rcp_f32 s0, s0
	v_xor_b32_e32 v42, v40, v26
	s_delay_alu instid0(VALU_DEP_3) | instskip(NEXT) | instid1(TRANS32_DEP_1)
	v_dual_mov_b32 v51, v4 :: v_dual_bitop2_b32 v46, v41, v26 bitop3:0x14
	s_mul_f32 s0, s0, 0x5f7ffffc
	s_delay_alu instid0(SALU_CYCLE_3) | instskip(NEXT) | instid1(SALU_CYCLE_3)
	s_mul_f32 s2, s0, 0x2f800000
	s_trunc_f32 s2, s2
	s_delay_alu instid0(SALU_CYCLE_3) | instskip(SKIP_1) | instid1(SALU_CYCLE_2)
	s_fmamk_f32 s0, s2, 0xcf800000, s0
	s_cvt_u32_f32 s35, s2
	s_cvt_u32_f32 s34, s0
	s_delay_alu instid0(SALU_CYCLE_3) | instskip(NEXT) | instid1(SALU_CYCLE_1)
	s_mul_u64 s[38:39], s[36:37], s[34:35]
	s_mul_hi_u32 s41, s34, s39
	s_mul_i32 s40, s34, s39
	s_mul_hi_u32 s2, s34, s38
	s_mul_i32 s21, s35, s38
	s_add_nc_u64 s[40:41], s[2:3], s[40:41]
	s_mul_hi_u32 s0, s35, s38
	s_mul_hi_u32 s33, s35, s39
	s_add_co_u32 s2, s40, s21
	s_add_co_ci_u32 s2, s41, s0
	s_mul_i32 s38, s35, s39
	s_add_co_ci_u32 s39, s33, 0
	s_delay_alu instid0(SALU_CYCLE_1) | instskip(NEXT) | instid1(SALU_CYCLE_1)
	s_add_nc_u64 s[38:39], s[2:3], s[38:39]
	s_add_co_u32 s34, s34, s38
	s_cselect_b32 s0, -1, 0
	s_delay_alu instid0(SALU_CYCLE_1) | instskip(SKIP_1) | instid1(SALU_CYCLE_1)
	s_cmp_lg_u32 s0, 0
	s_add_co_ci_u32 s35, s35, s39
	s_mul_u64 s[36:37], s[36:37], s[34:35]
	s_delay_alu instid0(SALU_CYCLE_1)
	s_mul_hi_u32 s39, s34, s37
	s_mul_i32 s38, s34, s37
	s_mul_hi_u32 s2, s34, s36
	s_mul_i32 s21, s35, s36
	s_add_nc_u64 s[38:39], s[2:3], s[38:39]
	s_mul_hi_u32 s0, s35, s36
	s_mul_hi_u32 s33, s35, s37
	s_add_co_u32 s2, s38, s21
	s_add_co_ci_u32 s2, s39, s0
	s_mul_i32 s36, s35, s37
	s_add_co_ci_u32 s37, s33, 0
	s_delay_alu instid0(SALU_CYCLE_1) | instskip(NEXT) | instid1(SALU_CYCLE_1)
	s_add_nc_u64 s[36:37], s[2:3], s[36:37]
	s_add_co_u32 s0, s34, s36
	s_cselect_b32 s2, -1, 0
	v_mul_hi_u32 v50, v42, s0
	s_cmp_lg_u32 s2, 0
	s_add_co_ci_u32 s2, s35, s37
	s_and_b64 s[34:35], s[0:1], s[18:19]
	v_mul_u64_e32 v[44:45], s[2:3], v[42:43]
	v_mul_u64_e32 v[40:41], s[34:35], v[46:47]
	;; [unrolled: 1-line block ×3, first 2 shown]
	s_delay_alu instid0(VALU_DEP_3) | instskip(NEXT) | instid1(VALU_DEP_1)
	v_add_nc_u64_e32 v[44:45], v[50:51], v[44:45]
	v_add_co_u32 v5, vcc_lo, v44, v40
	s_delay_alu instid0(VALU_DEP_2) | instskip(NEXT) | instid1(VALU_DEP_4)
	v_add_co_ci_u32_e32 v50, vcc_lo, v45, v41, vcc_lo
	v_add_co_ci_u32_e32 v49, vcc_lo, 0, v49, vcc_lo
	s_delay_alu instid0(VALU_DEP_1) | instskip(NEXT) | instid1(VALU_DEP_1)
	v_add_nc_u64_e32 v[40:41], v[50:51], v[48:49]
	v_mul_u64_e32 v[44:45], s[22:23], v[40:41]
	s_delay_alu instid0(VALU_DEP_1) | instskip(NEXT) | instid1(VALU_DEP_2)
	v_sub_nc_u32_e32 v5, v46, v45
	v_sub_co_u32 v21, vcc_lo, v42, v44
	s_delay_alu instid0(VALU_DEP_1) | instskip(NEXT) | instid1(VALU_DEP_3)
	v_sub_co_ci_u32_e64 v25, null, v46, v45, vcc_lo
	v_subrev_co_ci_u32_e64 v5, null, s23, v5, vcc_lo
	s_delay_alu instid0(VALU_DEP_3) | instskip(SKIP_1) | instid1(VALU_DEP_3)
	v_sub_co_u32 v23, s0, v21, s22
	v_add_nc_u64_e32 v[42:43], 2, v[40:41]
	v_subrev_co_ci_u32_e64 v5, null, 0, v5, s0
	s_delay_alu instid0(VALU_DEP_3) | instskip(SKIP_2) | instid1(VALU_DEP_4)
	v_cmp_le_u32_e32 vcc_lo, s22, v23
	v_add_nc_u64_e32 v[44:45], 1, v[40:41]
	v_cndmask_b32_e64 v23, 0, -1, vcc_lo
	v_cmp_le_u32_e32 vcc_lo, s23, v5
	v_cndmask_b32_e64 v27, 0, -1, vcc_lo
	v_cmp_le_u32_e32 vcc_lo, s22, v21
	;; [unrolled: 2-line block ×3, first 2 shown]
	v_cndmask_b32_e64 v46, 0, -1, vcc_lo
	v_cmp_eq_u32_e32 vcc_lo, s23, v5
	v_cndmask_b32_e32 v5, v27, v23, vcc_lo
	v_cmp_eq_u32_e32 vcc_lo, s23, v25
	s_delay_alu instid0(VALU_DEP_4) | instskip(NEXT) | instid1(VALU_DEP_3)
	v_cndmask_b32_e32 v21, v46, v21, vcc_lo
	v_cmp_ne_u32_e32 vcc_lo, 0, v5
	s_delay_alu instid0(VALU_DEP_2) | instskip(SKIP_1) | instid1(VALU_DEP_1)
	v_cmp_ne_u32_e64 s0, 0, v21
	v_dual_cndmask_b32 v5, v45, v43, vcc_lo :: v_dual_cndmask_b32 v21, v44, v42, vcc_lo
	v_dual_cndmask_b32 v5, v41, v5, s0 :: v_dual_bitop2_b32 v26, s20, v26 bitop3:0x14
	s_delay_alu instid0(VALU_DEP_1) | instskip(NEXT) | instid1(VALU_DEP_2)
	v_dual_cndmask_b32 v21, v40, v21, s0 :: v_dual_mov_b32 v27, v26
	v_xor_b32_e32 v41, v5, v26
	s_delay_alu instid0(VALU_DEP_2) | instskip(NEXT) | instid1(VALU_DEP_1)
	v_xor_b32_e32 v40, v21, v26
	v_sub_nc_u64_e32 v[26:27], v[40:41], v[26:27]
.LBB93_15:                              ;   in Loop: Header=BB93_13 Depth=2
	s_and_not1_saveexec_b32 s0, s31
	s_cbranch_execz .LBB93_17
; %bb.16:                               ;   in Loop: Header=BB93_13 Depth=2
	v_cvt_f32_u32_e32 v5, s8
	v_mov_b32_e32 v27, v4
	s_delay_alu instid0(VALU_DEP_2) | instskip(SKIP_1) | instid1(TRANS32_DEP_1)
	v_rcp_iflag_f32_e32 v5, v5
	v_nop
	v_mul_f32_e32 v5, 0x4f7ffffe, v5
	s_delay_alu instid0(VALU_DEP_1) | instskip(NEXT) | instid1(VALU_DEP_1)
	v_cvt_u32_f32_e32 v5, v5
	v_mul_lo_u32 v21, s27, v5
	s_delay_alu instid0(VALU_DEP_1) | instskip(NEXT) | instid1(VALU_DEP_1)
	v_mul_hi_u32 v21, v5, v21
	v_add_nc_u32_e32 v5, v5, v21
	s_delay_alu instid0(VALU_DEP_1) | instskip(NEXT) | instid1(VALU_DEP_1)
	v_mul_hi_u32 v5, v24, v5
	v_mul_lo_u32 v21, v5, s8
	v_add_nc_u32_e32 v23, 1, v5
	s_delay_alu instid0(VALU_DEP_2) | instskip(NEXT) | instid1(VALU_DEP_1)
	v_sub_nc_u32_e32 v21, v24, v21
	v_subrev_nc_u32_e32 v25, s8, v21
	v_cmp_le_u32_e32 vcc_lo, s8, v21
	s_delay_alu instid0(VALU_DEP_2) | instskip(SKIP_1) | instid1(VALU_DEP_2)
	v_cndmask_b32_e32 v21, v21, v25, vcc_lo
	v_cndmask_b32_e32 v5, v5, v23, vcc_lo
	v_cmp_le_u32_e32 vcc_lo, s8, v21
	s_delay_alu instid0(VALU_DEP_2) | instskip(NEXT) | instid1(VALU_DEP_1)
	v_add_nc_u32_e32 v23, 1, v5
	v_cndmask_b32_e32 v26, v5, v23, vcc_lo
.LBB93_17:                              ;   in Loop: Header=BB93_13 Depth=2
	s_or_b32 exec_lo, exec_lo, s0
	s_delay_alu instid0(VALU_DEP_1) | instskip(SKIP_2) | instid1(SALU_CYCLE_1)
	v_cmp_ne_u64_e64 s0, v[26:27], v[18:19]
	v_cmp_eq_u64_e32 vcc_lo, v[26:27], v[18:19]
	s_and_saveexec_b32 s2, s0
	s_xor_b32 s0, exec_lo, s2
; %bb.18:                               ;   in Loop: Header=BB93_13 Depth=2
	v_min_i64 v[16:17], v[26:27], v[16:17]
                                        ; implicit-def: $vgpr24_vgpr25
                                        ; implicit-def: $vgpr3
; %bb.19:                               ;   in Loop: Header=BB93_13 Depth=2
	s_or_saveexec_b32 s0, s0
	v_mov_b32_e32 v5, v20
	s_xor_b32 exec_lo, exec_lo, s0
	s_cbranch_execz .LBB93_12
; %bb.20:                               ;   in Loop: Header=BB93_13 Depth=2
	v_dual_ashrrev_i32 v21, 31, v20 :: v_dual_sub_nc_u32 v5, v24, v22
	s_delay_alu instid0(VALU_DEP_1) | instskip(NEXT) | instid1(VALU_DEP_2)
	v_lshl_add_u64 v[26:27], v[20:21], 3, s[16:17]
	v_lshl_add_u32 v21, v5, 3, v30
	v_mov_b32_e32 v5, v3
	global_load_b64 v[26:27], v[26:27], off
	ds_store_b8 v28, v38 offset:4096
	s_wait_loadcnt 0x0
	ds_store_b64 v21, v[26:27]
	s_branch .LBB93_12
.LBB93_21:                              ;   in Loop: Header=BB93_10 Depth=1
	s_or_b32 exec_lo, exec_lo, s30
.LBB93_22:                              ;   in Loop: Header=BB93_10 Depth=1
	s_delay_alu instid0(SALU_CYCLE_1)
	s_or_b32 exec_lo, exec_lo, s29
	ds_bpermute_b32 v3, v32, v5
	s_wait_dscnt 0x0
	ds_load_u8 v18, v28 offset:4096
	v_min_i32_e32 v3, v3, v5
	ds_bpermute_b32 v5, v33, v3
	s_wait_dscnt 0x0
	v_min_i32_e32 v3, v5, v3
	ds_bpermute_b32 v24, v34, v3
	v_and_b32_e32 v3, 1, v18
	s_delay_alu instid0(VALU_DEP_1)
	v_cmp_eq_u32_e32 vcc_lo, 1, v3
	v_mov_b32_e32 v3, 0
	s_and_saveexec_b32 s0, vcc_lo
	s_cbranch_execz .LBB93_9
; %bb.23:                               ;   in Loop: Header=BB93_10 Depth=1
	v_dual_ashrrev_i32 v3, 31, v2 :: v_dual_add_nc_u32 v22, s24, v39
	s_delay_alu instid0(VALU_DEP_1) | instskip(NEXT) | instid1(VALU_DEP_2)
	v_mul_u64_e32 v[18:19], s[12:13], v[2:3]
	v_ashrrev_i32_e32 v23, 31, v22
	global_store_b64 v2, v[22:23], s[4:5] scale_offset
	v_lshlrev_b64_e32 v[18:19], 3, v[18:19]
	s_delay_alu instid0(VALU_DEP_1)
	v_add_nc_u64_e32 v[20:21], v[6:7], v[18:19]
	v_add_nc_u64_e32 v[18:19], v[12:13], v[18:19]
	s_wait_xcnt 0x0
	s_and_saveexec_b32 s2, s25
	s_cbranch_execz .LBB93_27
; %bb.24:                               ;   in Loop: Header=BB93_10 Depth=1
	ds_load_b64 v[22:23], v31
	s_and_b32 vcc_lo, exec_lo, s1
	s_cbranch_vccz .LBB93_30
; %bb.25:                               ;   in Loop: Header=BB93_10 Depth=1
	v_lshl_add_u64 v[26:27], v[8:9], 3, v[20:21]
	s_wait_dscnt 0x0
	global_store_b64 v[26:27], v[22:23], off
	s_cbranch_execnz .LBB93_27
.LBB93_26:                              ;   in Loop: Header=BB93_10 Depth=1
	s_wait_xcnt 0x0
	v_dual_mov_b32 v27, v4 :: v_dual_lshlrev_b32 v26, 3, v0
	s_delay_alu instid0(VALU_DEP_1)
	v_add_nc_u64_e32 v[26:27], v[18:19], v[26:27]
	s_wait_dscnt 0x0
	global_store_b64 v[26:27], v[22:23], off
.LBB93_27:                              ;   in Loop: Header=BB93_10 Depth=1
	s_wait_xcnt 0x0
	s_or_b32 exec_lo, exec_lo, s2
	s_and_saveexec_b32 s2, s26
	s_cbranch_execz .LBB93_8
; %bb.28:                               ;   in Loop: Header=BB93_10 Depth=1
	s_and_not1_b32 vcc_lo, exec_lo, s1
	s_cbranch_vccnz .LBB93_31
; %bb.29:                               ;   in Loop: Header=BB93_10 Depth=1
	s_wait_dscnt 0x0
	ds_load_b64 v[22:23], v31 offset:32
	v_lshl_add_u64 v[20:21], v[10:11], 3, v[20:21]
	s_wait_dscnt 0x0
	global_store_b64 v[20:21], v[22:23], off
	s_cbranch_execnz .LBB93_8
	s_branch .LBB93_32
.LBB93_30:                              ;   in Loop: Header=BB93_10 Depth=1
	s_branch .LBB93_26
.LBB93_31:                              ;   in Loop: Header=BB93_10 Depth=1
.LBB93_32:                              ;   in Loop: Header=BB93_10 Depth=1
	s_wait_xcnt 0x0
	ds_load_b64 v[20:21], v31 offset:32
	s_wait_dscnt 0x1
	v_dual_mov_b32 v23, v4 :: v_dual_lshlrev_b32 v22, 3, v0
	s_delay_alu instid0(VALU_DEP_1)
	v_add_nc_u64_e32 v[18:19], v[18:19], v[22:23]
	s_wait_dscnt 0x0
	global_store_b64 v[18:19], v[20:21], off offset:32
	s_branch .LBB93_8
.LBB93_33:
	s_endpgm
	.section	.rodata,"a",@progbits
	.p2align	6, 0x0
	.amdhsa_kernel _ZN9rocsparseL42csr2bsr_wavefront_per_row_multipass_kernelILj256ELj32ELj8E21rocsparse_complex_numIfEilEEv20rocsparse_direction_T4_S4_S4_S4_S4_21rocsparse_index_base_PKT2_PKT3_PKS4_S5_PS6_PS9_PS4_
		.amdhsa_group_segment_fixed_size 4104
		.amdhsa_private_segment_fixed_size 0
		.amdhsa_kernarg_size 112
		.amdhsa_user_sgpr_count 2
		.amdhsa_user_sgpr_dispatch_ptr 0
		.amdhsa_user_sgpr_queue_ptr 0
		.amdhsa_user_sgpr_kernarg_segment_ptr 1
		.amdhsa_user_sgpr_dispatch_id 0
		.amdhsa_user_sgpr_kernarg_preload_length 0
		.amdhsa_user_sgpr_kernarg_preload_offset 0
		.amdhsa_user_sgpr_private_segment_size 0
		.amdhsa_wavefront_size32 1
		.amdhsa_uses_dynamic_stack 0
		.amdhsa_enable_private_segment 0
		.amdhsa_system_sgpr_workgroup_id_x 1
		.amdhsa_system_sgpr_workgroup_id_y 0
		.amdhsa_system_sgpr_workgroup_id_z 0
		.amdhsa_system_sgpr_workgroup_info 0
		.amdhsa_system_vgpr_workitem_id 0
		.amdhsa_next_free_vgpr 52
		.amdhsa_next_free_sgpr 42
		.amdhsa_named_barrier_count 0
		.amdhsa_reserve_vcc 1
		.amdhsa_float_round_mode_32 0
		.amdhsa_float_round_mode_16_64 0
		.amdhsa_float_denorm_mode_32 3
		.amdhsa_float_denorm_mode_16_64 3
		.amdhsa_fp16_overflow 0
		.amdhsa_memory_ordered 1
		.amdhsa_forward_progress 1
		.amdhsa_inst_pref_size 18
		.amdhsa_round_robin_scheduling 0
		.amdhsa_exception_fp_ieee_invalid_op 0
		.amdhsa_exception_fp_denorm_src 0
		.amdhsa_exception_fp_ieee_div_zero 0
		.amdhsa_exception_fp_ieee_overflow 0
		.amdhsa_exception_fp_ieee_underflow 0
		.amdhsa_exception_fp_ieee_inexact 0
		.amdhsa_exception_int_div_zero 0
	.end_amdhsa_kernel
	.section	.text._ZN9rocsparseL42csr2bsr_wavefront_per_row_multipass_kernelILj256ELj32ELj8E21rocsparse_complex_numIfEilEEv20rocsparse_direction_T4_S4_S4_S4_S4_21rocsparse_index_base_PKT2_PKT3_PKS4_S5_PS6_PS9_PS4_,"axG",@progbits,_ZN9rocsparseL42csr2bsr_wavefront_per_row_multipass_kernelILj256ELj32ELj8E21rocsparse_complex_numIfEilEEv20rocsparse_direction_T4_S4_S4_S4_S4_21rocsparse_index_base_PKT2_PKT3_PKS4_S5_PS6_PS9_PS4_,comdat
.Lfunc_end93:
	.size	_ZN9rocsparseL42csr2bsr_wavefront_per_row_multipass_kernelILj256ELj32ELj8E21rocsparse_complex_numIfEilEEv20rocsparse_direction_T4_S4_S4_S4_S4_21rocsparse_index_base_PKT2_PKT3_PKS4_S5_PS6_PS9_PS4_, .Lfunc_end93-_ZN9rocsparseL42csr2bsr_wavefront_per_row_multipass_kernelILj256ELj32ELj8E21rocsparse_complex_numIfEilEEv20rocsparse_direction_T4_S4_S4_S4_S4_21rocsparse_index_base_PKT2_PKT3_PKS4_S5_PS6_PS9_PS4_
                                        ; -- End function
	.set _ZN9rocsparseL42csr2bsr_wavefront_per_row_multipass_kernelILj256ELj32ELj8E21rocsparse_complex_numIfEilEEv20rocsparse_direction_T4_S4_S4_S4_S4_21rocsparse_index_base_PKT2_PKT3_PKS4_S5_PS6_PS9_PS4_.num_vgpr, 52
	.set _ZN9rocsparseL42csr2bsr_wavefront_per_row_multipass_kernelILj256ELj32ELj8E21rocsparse_complex_numIfEilEEv20rocsparse_direction_T4_S4_S4_S4_S4_21rocsparse_index_base_PKT2_PKT3_PKS4_S5_PS6_PS9_PS4_.num_agpr, 0
	.set _ZN9rocsparseL42csr2bsr_wavefront_per_row_multipass_kernelILj256ELj32ELj8E21rocsparse_complex_numIfEilEEv20rocsparse_direction_T4_S4_S4_S4_S4_21rocsparse_index_base_PKT2_PKT3_PKS4_S5_PS6_PS9_PS4_.numbered_sgpr, 42
	.set _ZN9rocsparseL42csr2bsr_wavefront_per_row_multipass_kernelILj256ELj32ELj8E21rocsparse_complex_numIfEilEEv20rocsparse_direction_T4_S4_S4_S4_S4_21rocsparse_index_base_PKT2_PKT3_PKS4_S5_PS6_PS9_PS4_.num_named_barrier, 0
	.set _ZN9rocsparseL42csr2bsr_wavefront_per_row_multipass_kernelILj256ELj32ELj8E21rocsparse_complex_numIfEilEEv20rocsparse_direction_T4_S4_S4_S4_S4_21rocsparse_index_base_PKT2_PKT3_PKS4_S5_PS6_PS9_PS4_.private_seg_size, 0
	.set _ZN9rocsparseL42csr2bsr_wavefront_per_row_multipass_kernelILj256ELj32ELj8E21rocsparse_complex_numIfEilEEv20rocsparse_direction_T4_S4_S4_S4_S4_21rocsparse_index_base_PKT2_PKT3_PKS4_S5_PS6_PS9_PS4_.uses_vcc, 1
	.set _ZN9rocsparseL42csr2bsr_wavefront_per_row_multipass_kernelILj256ELj32ELj8E21rocsparse_complex_numIfEilEEv20rocsparse_direction_T4_S4_S4_S4_S4_21rocsparse_index_base_PKT2_PKT3_PKS4_S5_PS6_PS9_PS4_.uses_flat_scratch, 0
	.set _ZN9rocsparseL42csr2bsr_wavefront_per_row_multipass_kernelILj256ELj32ELj8E21rocsparse_complex_numIfEilEEv20rocsparse_direction_T4_S4_S4_S4_S4_21rocsparse_index_base_PKT2_PKT3_PKS4_S5_PS6_PS9_PS4_.has_dyn_sized_stack, 0
	.set _ZN9rocsparseL42csr2bsr_wavefront_per_row_multipass_kernelILj256ELj32ELj8E21rocsparse_complex_numIfEilEEv20rocsparse_direction_T4_S4_S4_S4_S4_21rocsparse_index_base_PKT2_PKT3_PKS4_S5_PS6_PS9_PS4_.has_recursion, 0
	.set _ZN9rocsparseL42csr2bsr_wavefront_per_row_multipass_kernelILj256ELj32ELj8E21rocsparse_complex_numIfEilEEv20rocsparse_direction_T4_S4_S4_S4_S4_21rocsparse_index_base_PKT2_PKT3_PKS4_S5_PS6_PS9_PS4_.has_indirect_call, 0
	.section	.AMDGPU.csdata,"",@progbits
; Kernel info:
; codeLenInByte = 2272
; TotalNumSgprs: 44
; NumVgprs: 52
; ScratchSize: 0
; MemoryBound: 0
; FloatMode: 240
; IeeeMode: 1
; LDSByteSize: 4104 bytes/workgroup (compile time only)
; SGPRBlocks: 0
; VGPRBlocks: 3
; NumSGPRsForWavesPerEU: 44
; NumVGPRsForWavesPerEU: 52
; NamedBarCnt: 0
; Occupancy: 16
; WaveLimiterHint : 0
; COMPUTE_PGM_RSRC2:SCRATCH_EN: 0
; COMPUTE_PGM_RSRC2:USER_SGPR: 2
; COMPUTE_PGM_RSRC2:TRAP_HANDLER: 0
; COMPUTE_PGM_RSRC2:TGID_X_EN: 1
; COMPUTE_PGM_RSRC2:TGID_Y_EN: 0
; COMPUTE_PGM_RSRC2:TGID_Z_EN: 0
; COMPUTE_PGM_RSRC2:TIDIG_COMP_CNT: 0
	.section	.text._ZN9rocsparseL42csr2bsr_wavefront_per_row_multipass_kernelILj256ELj64ELj16E21rocsparse_complex_numIfEilEEv20rocsparse_direction_T4_S4_S4_S4_S4_21rocsparse_index_base_PKT2_PKT3_PKS4_S5_PS6_PS9_PS4_,"axG",@progbits,_ZN9rocsparseL42csr2bsr_wavefront_per_row_multipass_kernelILj256ELj64ELj16E21rocsparse_complex_numIfEilEEv20rocsparse_direction_T4_S4_S4_S4_S4_21rocsparse_index_base_PKT2_PKT3_PKS4_S5_PS6_PS9_PS4_,comdat
	.globl	_ZN9rocsparseL42csr2bsr_wavefront_per_row_multipass_kernelILj256ELj64ELj16E21rocsparse_complex_numIfEilEEv20rocsparse_direction_T4_S4_S4_S4_S4_21rocsparse_index_base_PKT2_PKT3_PKS4_S5_PS6_PS9_PS4_ ; -- Begin function _ZN9rocsparseL42csr2bsr_wavefront_per_row_multipass_kernelILj256ELj64ELj16E21rocsparse_complex_numIfEilEEv20rocsparse_direction_T4_S4_S4_S4_S4_21rocsparse_index_base_PKT2_PKT3_PKS4_S5_PS6_PS9_PS4_
	.p2align	8
	.type	_ZN9rocsparseL42csr2bsr_wavefront_per_row_multipass_kernelILj256ELj64ELj16E21rocsparse_complex_numIfEilEEv20rocsparse_direction_T4_S4_S4_S4_S4_21rocsparse_index_base_PKT2_PKT3_PKS4_S5_PS6_PS9_PS4_,@function
_ZN9rocsparseL42csr2bsr_wavefront_per_row_multipass_kernelILj256ELj64ELj16E21rocsparse_complex_numIfEilEEv20rocsparse_direction_T4_S4_S4_S4_S4_21rocsparse_index_base_PKT2_PKT3_PKS4_S5_PS6_PS9_PS4_: ; @_ZN9rocsparseL42csr2bsr_wavefront_per_row_multipass_kernelILj256ELj64ELj16E21rocsparse_complex_numIfEilEEv20rocsparse_direction_T4_S4_S4_S4_S4_21rocsparse_index_base_PKT2_PKT3_PKS4_S5_PS6_PS9_PS4_
; %bb.0:
	s_bfe_u32 s2, ttmp6, 0x4000c
	s_clause 0x1
	s_load_b96 s[8:10], s[0:1], 0x28
	s_load_b64 s[14:15], s[0:1], 0x40
	s_add_co_i32 s2, s2, 1
	s_and_b32 s3, ttmp6, 15
	s_mul_i32 s2, ttmp9, s2
	s_getreg_b32 s4, hwreg(HW_REG_IB_STS2, 6, 4)
	s_add_co_i32 s3, s3, s2
	s_cmp_eq_u32 s4, 0
	v_dual_mov_b32 v33, 0 :: v_dual_lshrrev_b32 v32, 6, v0
	s_cselect_b32 s12, ttmp9, s3
	v_bfe_u32 v6, v0, 2, 4
	s_ashr_i32 s13, s12, 31
	v_mov_b32_e32 v28, 0
	s_lshl_b64 s[2:3], s[12:13], 2
	s_delay_alu instid0(SALU_CYCLE_1) | instskip(SKIP_2) | instid1(VALU_DEP_1)
	v_dual_mov_b32 v7, v33 :: v_dual_bitop2_b32 v1, s2, v32 bitop3:0x54
	s_load_b128 s[4:7], s[0:1], 0x18
	s_wait_kmcnt 0x0
	v_mad_nc_u64_u32 v[2:3], v1, s8, v[6:7]
	s_delay_alu instid0(VALU_DEP_1) | instskip(SKIP_1) | instid1(VALU_DEP_1)
	v_mad_u32 v3, s3, s8, v3
	s_load_b64 s[2:3], s[0:1], 0x8
	v_mad_u32 v3, v1, s9, v3
	s_wait_kmcnt 0x0
	s_delay_alu instid0(VALU_DEP_1) | instskip(SKIP_2) | instid1(SALU_CYCLE_1)
	v_cmp_gt_i64_e32 vcc_lo, s[2:3], v[2:3]
	v_cmp_gt_i64_e64 s2, s[8:9], v[6:7]
	s_and_b32 s3, s2, vcc_lo
	s_and_saveexec_b32 s11, s3
	s_cbranch_execz .LBB94_2
; %bb.1:
	v_lshl_add_u64 v[4:5], v[2:3], 2, s[14:15]
	global_load_b32 v1, v[4:5], off
	s_wait_loadcnt 0x0
	v_subrev_nc_u32_e32 v28, s10, v1
.LBB94_2:
	s_or_b32 exec_lo, exec_lo, s11
	s_and_saveexec_b32 s11, s3
	s_cbranch_execz .LBB94_4
; %bb.3:
	v_lshl_add_u64 v[2:3], v[2:3], 2, s[14:15]
	global_load_b32 v1, v[2:3], off offset:4
	s_wait_loadcnt 0x0
	v_subrev_nc_u32_e32 v33, s10, v1
.LBB94_4:
	s_or_b32 exec_lo, exec_lo, s11
	s_load_b32 s24, s[0:1], 0x50
	v_mov_b32_e32 v5, 0
	v_lshl_or_b32 v4, s12, 2, v32
	s_mov_b32 s3, exec_lo
	s_delay_alu instid0(VALU_DEP_2) | instskip(NEXT) | instid1(VALU_DEP_2)
	v_mov_b32_e32 v2, v5
	v_cmpx_gt_i64_e64 s[4:5], v[4:5]
	s_cbranch_execz .LBB94_6
; %bb.5:
	s_load_b64 s[4:5], s[0:1], 0x60
	s_wait_kmcnt 0x0
	v_lshl_add_u64 v[2:3], v[4:5], 2, s[4:5]
	global_load_b32 v1, v[2:3], off
	s_wait_loadcnt 0x0
	v_subrev_nc_u32_e32 v2, s24, v1
.LBB94_6:
	s_or_b32 exec_lo, exec_lo, s3
	v_cmp_lt_i64_e64 s3, s[6:7], 1
	s_and_b32 vcc_lo, exec_lo, s3
	s_cbranch_vccnz .LBB94_43
; %bb.7:
	v_mbcnt_lo_u32_b32 v3, -1, 0
	v_dual_lshlrev_b32 v10, 3, v6 :: v_dual_mov_b32 v4, 0
	s_clause 0x3
	s_load_b64 s[14:15], s[0:1], 0x48
	s_load_b64 s[20:21], s[0:1], 0x58
	;; [unrolled: 1-line block ×3, first 2 shown]
	s_load_b32 s3, s[0:1], 0x0
	v_mul_u64_e32 v[8:9], s[8:9], v[6:7]
	v_xor_b32_e32 v5, 2, v3
	v_dual_lshlrev_b32 v1, 7, v6 :: v_dual_bitop2_b32 v0, 3, v0 bitop3:0x40
	v_dual_mov_b32 v11, v4 :: v_dual_mov_b32 v19, v4
	s_delay_alu instid0(VALU_DEP_3) | instskip(SKIP_1) | instid1(VALU_DEP_4)
	v_cmp_gt_i32_e32 vcc_lo, 32, v5
	v_xor_b32_e32 v6, 1, v3
	v_lshl_or_b32 v34, v32, 11, v1
	v_or_b32_e32 v20, 8, v0
	v_dual_mov_b32 v23, v4 :: v_dual_bitop2_b32 v22, 12, v0 bitop3:0x54
	v_cndmask_b32_e32 v1, v3, v5, vcc_lo
	v_cmp_gt_i32_e32 vcc_lo, 32, v6
	v_xor_b32_e32 v13, 16, v3
	s_load_b64 s[4:5], s[0:1], 0x68
	s_delay_alu instid0(VALU_DEP_3)
	v_dual_lshlrev_b32 v37, 2, v1 :: v_dual_bitop2_b32 v12, 32, v3 bitop3:0x54
	v_cndmask_b32_e32 v5, v3, v6, vcc_lo
	v_cvt_f32_u32_e32 v1, s8
	s_wait_kmcnt 0x0
	v_add_nc_u64_e32 v[6:7], s[20:21], v[10:11]
	v_cmp_gt_i32_e32 vcc_lo, 32, v12
	v_dual_lshlrev_b32 v38, 2, v5 :: v_dual_bitop2_b32 v18, 4, v0 bitop3:0x54
	v_rcp_iflag_f32_e32 v10, v1
	v_dual_mov_b32 v1, v4 :: v_dual_cndmask_b32 v5, v3, v12, vcc_lo
	v_cmp_gt_i32_e32 vcc_lo, 32, v13
	v_mov_b32_e32 v21, v4
	v_mul_u64_e32 v[16:17], s[8:9], v[22:23]
	s_cmp_lg_u32 s3, 0
	s_delay_alu instid0(TRANS32_DEP_1) | instskip(SKIP_3) | instid1(VALU_DEP_4)
	v_mul_f32_e32 v14, 0x4f7ffffe, v10
	v_dual_cndmask_b32 v24, v3, v13, vcc_lo :: v_dual_bitop2_b32 v25, 8, v3 bitop3:0x14
	v_mul_u64_e32 v[10:11], s[8:9], v[0:1]
	v_mul_u64_e32 v[12:13], s[8:9], v[18:19]
	v_cvt_u32_f32_e32 v26, v14
	v_mul_u64_e32 v[14:15], s[8:9], v[20:21]
	v_cmp_gt_i32_e32 vcc_lo, 32, v25
	v_xor_b32_e32 v27, 4, v3
	s_cselect_b32 s25, -1, 0
	s_sub_co_i32 s0, 0, s8
	v_lshl_or_b32 v35, v3, 2, 12
	v_mul_lo_u32 v29, s0, v26
	v_cndmask_b32_e32 v25, v3, v25, vcc_lo
	v_cmp_gt_i32_e32 vcc_lo, 32, v27
	v_cmp_gt_u64_e64 s0, s[8:9], v[18:19]
	v_cmp_gt_u64_e64 s1, s[8:9], v[20:21]
	v_cmp_gt_u64_e64 s3, s[8:9], v[22:23]
	v_dual_lshlrev_b32 v41, 2, v25 :: v_dual_cndmask_b32 v3, v3, v27, vcc_lo
	v_cmp_gt_u64_e32 vcc_lo, s[8:9], v[0:1]
	v_mov_b64_e32 v[22:23], 0
	v_mov_b64_e32 v[18:19], 0
	v_lshl_or_b32 v36, v0, 3, v34
	v_dual_lshlrev_b32 v1, 2, v3 :: v_dual_mov_b32 v43, 1
	v_mul_hi_u32 v3, v26, v29
	v_lshl_add_u64 v[8:9], v[8:9], 3, s[20:21]
	v_dual_lshlrev_b32 v39, 2, v5 :: v_dual_lshlrev_b32 v40, 2, v24
	v_bfrev_b32_e32 v42, 0.5
	v_mov_b32_e32 v45, 0
	s_mov_b32 s11, 0
	s_mul_u64 s[12:13], s[8:9], s[8:9]
	s_mov_b32 s18, s10
	s_mov_b32 s19, s11
	s_and_b32 s26, s2, vcc_lo
	v_add_nc_u32_e32 v44, v26, v3
	s_and_b32 s27, s2, s0
	s_and_b32 s1, s2, s1
	s_mov_b64 s[20:21], 0xffffffff
	s_and_b32 s28, s2, s3
	s_ashr_i32 s2, s9, 31
	s_mov_b32 s29, 0
	s_branch .LBB94_10
.LBB94_8:                               ;   in Loop: Header=BB94_10 Depth=1
	s_wait_xcnt 0x0
	s_or_b32 exec_lo, exec_lo, s3
	v_mov_b32_e32 v3, 1
.LBB94_9:                               ;   in Loop: Header=BB94_10 Depth=1
	s_or_b32 exec_lo, exec_lo, s0
	ds_bpermute_b32 v22, v39, v20
	ds_bpermute_b32 v23, v39, v21
	v_add_nc_u32_e32 v2, v3, v2
	s_wait_storecnt_dscnt 0x0
	v_min_i64 v[20:21], v[22:23], v[20:21]
	ds_bpermute_b32 v22, v40, v20
	ds_bpermute_b32 v23, v40, v21
	s_wait_dscnt 0x0
	v_min_i64 v[20:21], v[22:23], v[20:21]
	ds_bpermute_b32 v22, v41, v20
	ds_bpermute_b32 v23, v41, v21
	s_wait_dscnt 0x0
	;; [unrolled: 4-line block ×5, first 2 shown]
	v_min_i64 v[20:21], v[22:23], v[20:21]
	ds_bpermute_b32 v22, v42, v20
	s_wait_dscnt 0x0
	v_dual_ashrrev_i32 v23, 31, v22 :: v_dual_mov_b32 v45, v22
	s_delay_alu instid0(VALU_DEP_1) | instskip(SKIP_1) | instid1(SALU_CYCLE_1)
	v_cmp_le_i64_e32 vcc_lo, s[6:7], v[22:23]
	s_or_b32 s29, vcc_lo, s29
	s_and_not1_b32 exec_lo, exec_lo, s29
	s_cbranch_execz .LBB94_43
.LBB94_10:                              ; =>This Loop Header: Depth=1
                                        ;     Child Loop BB94_13 Depth 2
	v_mov_b64_e32 v[20:21], s[6:7]
	v_dual_mov_b32 v5, v33 :: v_dual_add_nc_u32 v24, v28, v0
	s_mov_b32 s30, exec_lo
	ds_store_b8 v32, v4 offset:8192
	ds_store_2addr_b64 v36, v[18:19], v[18:19] offset1:4
	ds_store_2addr_b64 v36, v[18:19], v[18:19] offset0:8 offset1:12
	s_wait_dscnt 0x0
	v_cmpx_lt_i32_e64 v24, v33
	s_cbranch_execz .LBB94_22
; %bb.11:                               ;   in Loop: Header=BB94_10 Depth=1
	v_mul_u64_e32 v[26:27], s[8:9], v[22:23]
	v_mov_b64_e32 v[20:21], s[6:7]
	v_mov_b32_e32 v3, v33
	s_mov_b32 s31, 0
	s_branch .LBB94_13
.LBB94_12:                              ;   in Loop: Header=BB94_13 Depth=2
	s_wait_xcnt 0x0
	s_or_b32 exec_lo, exec_lo, s0
	v_dual_mov_b32 v3, v5 :: v_dual_add_nc_u32 v24, 4, v24
	s_xor_b32 s3, vcc_lo, -1
	s_delay_alu instid0(VALU_DEP_1) | instskip(SKIP_1) | instid1(SALU_CYCLE_1)
	v_cmp_ge_i32_e64 s0, v24, v33
	s_or_b32 s0, s3, s0
	s_and_b32 s0, exec_lo, s0
	s_delay_alu instid0(SALU_CYCLE_1) | instskip(NEXT) | instid1(SALU_CYCLE_1)
	s_or_b32 s31, s0, s31
	s_and_not1_b32 exec_lo, exec_lo, s31
	s_cbranch_execz .LBB94_21
.LBB94_13:                              ;   Parent Loop BB94_10 Depth=1
                                        ; =>  This Inner Loop Header: Depth=2
	global_load_b64 v[28:29], v24, s[14:15] scale_offset
                                        ; implicit-def: $vgpr30_vgpr31
	s_mov_b32 s0, exec_lo
	s_wait_loadcnt 0x0
	v_sub_nc_u64_e64 v[28:29], v[28:29], s[18:19]
	s_delay_alu instid0(VALU_DEP_1) | instskip(SKIP_1) | instid1(VALU_DEP_1)
	v_or_b32_e32 v5, s9, v29
	s_wait_xcnt 0x0
	v_cmpx_ne_u64_e32 0, v[4:5]
	s_xor_b32 s33, exec_lo, s0
	s_cbranch_execz .LBB94_15
; %bb.14:                               ;   in Loop: Header=BB94_13 Depth=2
	s_mov_b32 s3, s2
	v_dual_mov_b32 v49, v4 :: v_dual_ashrrev_i32 v30, 31, v29
	s_add_nc_u64 s[22:23], s[8:9], s[2:3]
	v_mov_b32_e32 v53, v4
	s_xor_b64 s[22:23], s[22:23], s[2:3]
	s_delay_alu instid0(VALU_DEP_2)
	v_mov_b32_e32 v31, v30
	s_cvt_f32_u32 s0, s22
	s_cvt_f32_u32 s3, s23
	s_sub_nc_u64 s[36:37], 0, s[22:23]
	v_mov_b32_e32 v57, v4
	v_add_nc_u64_e32 v[46:47], v[28:29], v[30:31]
	s_fmamk_f32 s0, s3, 0x4f800000, s0
	s_delay_alu instid0(SALU_CYCLE_3) | instskip(NEXT) | instid1(VALU_DEP_1)
	v_s_rcp_f32 s0, s0
	v_xor_b32_e32 v48, v46, v30
	s_delay_alu instid0(VALU_DEP_2) | instskip(SKIP_1) | instid1(TRANS32_DEP_1)
	v_xor_b32_e32 v52, v47, v30
	v_xor_b32_e32 v30, s2, v30
	s_mul_f32 s0, s0, 0x5f7ffffc
	s_delay_alu instid0(SALU_CYCLE_3) | instskip(NEXT) | instid1(SALU_CYCLE_3)
	s_mul_f32 s3, s0, 0x2f800000
	s_trunc_f32 s3, s3
	s_delay_alu instid0(SALU_CYCLE_3) | instskip(SKIP_1) | instid1(SALU_CYCLE_2)
	s_fmamk_f32 s0, s3, 0xcf800000, s0
	s_cvt_u32_f32 s35, s3
	s_cvt_u32_f32 s34, s0
	s_delay_alu instid0(SALU_CYCLE_3) | instskip(NEXT) | instid1(SALU_CYCLE_1)
	s_mul_u64 s[38:39], s[36:37], s[34:35]
	s_mul_hi_u32 s41, s34, s39
	s_mul_i32 s40, s34, s39
	s_mul_hi_u32 s10, s34, s38
	s_mul_i32 s3, s35, s38
	s_add_nc_u64 s[40:41], s[10:11], s[40:41]
	s_mul_hi_u32 s0, s35, s38
	s_mul_hi_u32 s42, s35, s39
	s_add_co_u32 s3, s40, s3
	s_add_co_ci_u32 s10, s41, s0
	s_mul_i32 s38, s35, s39
	s_add_co_ci_u32 s39, s42, 0
	s_delay_alu instid0(SALU_CYCLE_1) | instskip(NEXT) | instid1(SALU_CYCLE_1)
	s_add_nc_u64 s[38:39], s[10:11], s[38:39]
	s_add_co_u32 s34, s34, s38
	s_cselect_b32 s0, -1, 0
	s_delay_alu instid0(SALU_CYCLE_1) | instskip(SKIP_1) | instid1(SALU_CYCLE_1)
	s_cmp_lg_u32 s0, 0
	s_add_co_ci_u32 s35, s35, s39
	s_mul_u64 s[36:37], s[36:37], s[34:35]
	s_delay_alu instid0(SALU_CYCLE_1)
	s_mul_hi_u32 s39, s34, s37
	s_mul_i32 s38, s34, s37
	s_mul_hi_u32 s10, s34, s36
	s_mul_i32 s3, s35, s36
	s_add_nc_u64 s[38:39], s[10:11], s[38:39]
	s_mul_hi_u32 s0, s35, s36
	s_mul_hi_u32 s40, s35, s37
	s_add_co_u32 s3, s38, s3
	s_add_co_ci_u32 s10, s39, s0
	s_mul_i32 s36, s35, s37
	s_add_co_ci_u32 s37, s40, 0
	s_delay_alu instid0(SALU_CYCLE_1) | instskip(NEXT) | instid1(SALU_CYCLE_1)
	s_add_nc_u64 s[36:37], s[10:11], s[36:37]
	s_add_co_u32 s0, s34, s36
	s_cselect_b32 s3, -1, 0
	v_mul_hi_u32 v56, v48, s0
	s_cmp_lg_u32 s3, 0
	s_add_co_ci_u32 s10, s35, s37
	s_and_b64 s[34:35], s[0:1], s[20:21]
	v_mul_u64_e32 v[50:51], s[10:11], v[48:49]
	v_mul_u64_e32 v[46:47], s[34:35], v[52:53]
	;; [unrolled: 1-line block ×3, first 2 shown]
	s_delay_alu instid0(VALU_DEP_3) | instskip(NEXT) | instid1(VALU_DEP_1)
	v_add_nc_u64_e32 v[50:51], v[56:57], v[50:51]
	v_add_co_u32 v5, vcc_lo, v50, v46
	s_delay_alu instid0(VALU_DEP_2) | instskip(NEXT) | instid1(VALU_DEP_4)
	v_add_co_ci_u32_e32 v56, vcc_lo, v51, v47, vcc_lo
	v_add_co_ci_u32_e32 v55, vcc_lo, 0, v55, vcc_lo
	s_delay_alu instid0(VALU_DEP_1) | instskip(NEXT) | instid1(VALU_DEP_1)
	v_add_nc_u64_e32 v[46:47], v[56:57], v[54:55]
	v_mul_u64_e32 v[50:51], s[22:23], v[46:47]
	s_delay_alu instid0(VALU_DEP_1) | instskip(NEXT) | instid1(VALU_DEP_2)
	v_sub_nc_u32_e32 v5, v52, v51
	v_sub_co_u32 v25, vcc_lo, v48, v50
	s_delay_alu instid0(VALU_DEP_1) | instskip(NEXT) | instid1(VALU_DEP_3)
	v_sub_co_ci_u32_e64 v29, null, v52, v51, vcc_lo
	v_subrev_co_ci_u32_e64 v5, null, s23, v5, vcc_lo
	s_delay_alu instid0(VALU_DEP_3) | instskip(SKIP_1) | instid1(VALU_DEP_3)
	v_sub_co_u32 v27, s0, v25, s22
	v_add_nc_u64_e32 v[48:49], 2, v[46:47]
	v_subrev_co_ci_u32_e64 v5, null, 0, v5, s0
	s_delay_alu instid0(VALU_DEP_3) | instskip(SKIP_2) | instid1(VALU_DEP_4)
	v_cmp_le_u32_e32 vcc_lo, s22, v27
	v_add_nc_u64_e32 v[50:51], 1, v[46:47]
	v_cndmask_b32_e64 v27, 0, -1, vcc_lo
	v_cmp_le_u32_e32 vcc_lo, s23, v5
	v_cndmask_b32_e64 v31, 0, -1, vcc_lo
	v_cmp_le_u32_e32 vcc_lo, s22, v25
	;; [unrolled: 2-line block ×3, first 2 shown]
	v_cndmask_b32_e64 v52, 0, -1, vcc_lo
	v_cmp_eq_u32_e32 vcc_lo, s23, v5
	v_cndmask_b32_e32 v5, v31, v27, vcc_lo
	v_cmp_eq_u32_e32 vcc_lo, s23, v29
	s_delay_alu instid0(VALU_DEP_4) | instskip(NEXT) | instid1(VALU_DEP_3)
	v_dual_mov_b32 v31, v30 :: v_dual_cndmask_b32 v25, v52, v25, vcc_lo
	v_cmp_ne_u32_e32 vcc_lo, 0, v5
	s_delay_alu instid0(VALU_DEP_2) | instskip(SKIP_1) | instid1(VALU_DEP_1)
	v_cmp_ne_u32_e64 s0, 0, v25
	v_dual_cndmask_b32 v5, v51, v49, vcc_lo :: v_dual_cndmask_b32 v25, v50, v48, vcc_lo
	v_cndmask_b32_e64 v25, v46, v25, s0
	s_delay_alu instid0(VALU_DEP_1) | instskip(NEXT) | instid1(VALU_DEP_1)
	v_dual_cndmask_b32 v5, v47, v5, s0 :: v_dual_bitop2_b32 v46, v25, v30 bitop3:0x14
	v_xor_b32_e32 v47, v5, v30
	s_delay_alu instid0(VALU_DEP_1)
	v_sub_nc_u64_e32 v[30:31], v[46:47], v[30:31]
.LBB94_15:                              ;   in Loop: Header=BB94_13 Depth=2
	s_and_not1_saveexec_b32 s0, s33
	s_cbranch_execz .LBB94_17
; %bb.16:                               ;   in Loop: Header=BB94_13 Depth=2
	v_mul_hi_u32 v5, v28, v44
	s_delay_alu instid0(VALU_DEP_1) | instskip(SKIP_1) | instid1(VALU_DEP_1)
	v_dual_mov_b32 v31, v4 :: v_dual_add_nc_u32 v27, 1, v5
	v_mul_lo_u32 v25, v5, s8
	v_sub_nc_u32_e32 v25, v28, v25
	s_delay_alu instid0(VALU_DEP_1) | instskip(NEXT) | instid1(VALU_DEP_4)
	v_cmp_le_u32_e32 vcc_lo, s8, v25
	v_cndmask_b32_e32 v5, v5, v27, vcc_lo
	v_subrev_nc_u32_e32 v29, s8, v25
	s_delay_alu instid0(VALU_DEP_2) | instskip(NEXT) | instid1(VALU_DEP_2)
	v_add_nc_u32_e32 v27, 1, v5
	v_cndmask_b32_e32 v25, v25, v29, vcc_lo
	s_delay_alu instid0(VALU_DEP_1) | instskip(NEXT) | instid1(VALU_DEP_3)
	v_cmp_le_u32_e32 vcc_lo, s8, v25
	v_cndmask_b32_e32 v30, v5, v27, vcc_lo
.LBB94_17:                              ;   in Loop: Header=BB94_13 Depth=2
	s_or_b32 exec_lo, exec_lo, s0
	s_delay_alu instid0(VALU_DEP_1) | instskip(SKIP_2) | instid1(SALU_CYCLE_1)
	v_cmp_ne_u64_e64 s0, v[30:31], v[22:23]
	v_cmp_eq_u64_e32 vcc_lo, v[30:31], v[22:23]
	s_and_saveexec_b32 s3, s0
	s_xor_b32 s0, exec_lo, s3
; %bb.18:                               ;   in Loop: Header=BB94_13 Depth=2
	v_min_i64 v[20:21], v[30:31], v[20:21]
                                        ; implicit-def: $vgpr28_vgpr29
                                        ; implicit-def: $vgpr3
; %bb.19:                               ;   in Loop: Header=BB94_13 Depth=2
	s_or_saveexec_b32 s0, s0
	v_mov_b32_e32 v5, v24
	s_xor_b32 exec_lo, exec_lo, s0
	s_cbranch_execz .LBB94_12
; %bb.20:                               ;   in Loop: Header=BB94_13 Depth=2
	v_dual_ashrrev_i32 v25, 31, v24 :: v_dual_sub_nc_u32 v5, v28, v26
	s_delay_alu instid0(VALU_DEP_1) | instskip(NEXT) | instid1(VALU_DEP_2)
	v_lshl_add_u64 v[30:31], v[24:25], 3, s[16:17]
	v_lshl_add_u32 v25, v5, 3, v34
	v_mov_b32_e32 v5, v3
	global_load_b64 v[30:31], v[30:31], off
	ds_store_b8 v32, v43 offset:8192
	s_wait_loadcnt 0x0
	ds_store_b64 v25, v[30:31]
	s_branch .LBB94_12
.LBB94_21:                              ;   in Loop: Header=BB94_10 Depth=1
	s_or_b32 exec_lo, exec_lo, s31
.LBB94_22:                              ;   in Loop: Header=BB94_10 Depth=1
	s_delay_alu instid0(SALU_CYCLE_1)
	s_or_b32 exec_lo, exec_lo, s30
	ds_bpermute_b32 v3, v37, v5
	s_wait_dscnt 0x0
	ds_load_u8 v22, v32 offset:8192
	v_min_i32_e32 v3, v3, v5
	ds_bpermute_b32 v5, v38, v3
	s_wait_dscnt 0x0
	v_min_i32_e32 v3, v5, v3
	ds_bpermute_b32 v28, v35, v3
	v_and_b32_e32 v3, 1, v22
	s_delay_alu instid0(VALU_DEP_1)
	v_cmp_eq_u32_e32 vcc_lo, 1, v3
	v_mov_b32_e32 v3, 0
	s_and_saveexec_b32 s0, vcc_lo
	s_cbranch_execz .LBB94_9
; %bb.23:                               ;   in Loop: Header=BB94_10 Depth=1
	v_dual_ashrrev_i32 v3, 31, v2 :: v_dual_add_nc_u32 v26, s24, v45
	s_delay_alu instid0(VALU_DEP_1) | instskip(NEXT) | instid1(VALU_DEP_2)
	v_mul_u64_e32 v[22:23], s[12:13], v[2:3]
	v_ashrrev_i32_e32 v27, 31, v26
	global_store_b64 v2, v[26:27], s[4:5] scale_offset
	v_lshlrev_b64_e32 v[22:23], 3, v[22:23]
	s_delay_alu instid0(VALU_DEP_1)
	v_add_nc_u64_e32 v[24:25], v[6:7], v[22:23]
	v_add_nc_u64_e32 v[22:23], v[8:9], v[22:23]
	s_wait_xcnt 0x0
	s_and_saveexec_b32 s3, s26
	s_cbranch_execz .LBB94_27
; %bb.24:                               ;   in Loop: Header=BB94_10 Depth=1
	ds_load_b64 v[26:27], v36
	s_and_b32 vcc_lo, exec_lo, s25
	s_cbranch_vccz .LBB94_38
; %bb.25:                               ;   in Loop: Header=BB94_10 Depth=1
	v_lshl_add_u64 v[30:31], v[10:11], 3, v[24:25]
	s_wait_dscnt 0x0
	global_store_b64 v[30:31], v[26:27], off
	s_cbranch_execnz .LBB94_27
.LBB94_26:                              ;   in Loop: Header=BB94_10 Depth=1
	s_wait_xcnt 0x0
	v_dual_mov_b32 v31, v4 :: v_dual_lshlrev_b32 v30, 3, v0
	s_delay_alu instid0(VALU_DEP_1)
	v_add_nc_u64_e32 v[30:31], v[22:23], v[30:31]
	s_wait_dscnt 0x0
	global_store_b64 v[30:31], v[26:27], off
.LBB94_27:                              ;   in Loop: Header=BB94_10 Depth=1
	s_wait_xcnt 0x0
	s_or_b32 exec_lo, exec_lo, s3
	s_and_saveexec_b32 s3, s27
	s_cbranch_execz .LBB94_31
; %bb.28:                               ;   in Loop: Header=BB94_10 Depth=1
	s_and_not1_b32 vcc_lo, exec_lo, s25
	s_cbranch_vccnz .LBB94_39
; %bb.29:                               ;   in Loop: Header=BB94_10 Depth=1
	s_wait_dscnt 0x0
	ds_load_b64 v[26:27], v36 offset:32
	v_lshl_add_u64 v[30:31], v[12:13], 3, v[24:25]
	s_wait_dscnt 0x0
	global_store_b64 v[30:31], v[26:27], off
	s_cbranch_execnz .LBB94_31
.LBB94_30:                              ;   in Loop: Header=BB94_10 Depth=1
	s_wait_dscnt 0x0
	s_wait_xcnt 0x0
	ds_load_b64 v[26:27], v36 offset:32
	v_dual_mov_b32 v31, v4 :: v_dual_lshlrev_b32 v30, 3, v0
	s_delay_alu instid0(VALU_DEP_1)
	v_add_nc_u64_e32 v[30:31], v[22:23], v[30:31]
	s_wait_dscnt 0x0
	global_store_b64 v[30:31], v[26:27], off offset:32
.LBB94_31:                              ;   in Loop: Header=BB94_10 Depth=1
	s_wait_xcnt 0x0
	s_or_b32 exec_lo, exec_lo, s3
	s_and_saveexec_b32 s3, s1
	s_cbranch_execz .LBB94_35
; %bb.32:                               ;   in Loop: Header=BB94_10 Depth=1
	s_and_not1_b32 vcc_lo, exec_lo, s25
	s_cbranch_vccnz .LBB94_40
; %bb.33:                               ;   in Loop: Header=BB94_10 Depth=1
	s_wait_dscnt 0x0
	ds_load_b64 v[26:27], v36 offset:64
	v_lshl_add_u64 v[30:31], v[14:15], 3, v[24:25]
	s_wait_dscnt 0x0
	global_store_b64 v[30:31], v[26:27], off
	s_cbranch_execnz .LBB94_35
.LBB94_34:                              ;   in Loop: Header=BB94_10 Depth=1
	s_wait_dscnt 0x0
	s_wait_xcnt 0x0
	ds_load_b64 v[26:27], v36 offset:64
	v_dual_mov_b32 v31, v4 :: v_dual_lshlrev_b32 v30, 3, v0
	s_delay_alu instid0(VALU_DEP_1)
	v_add_nc_u64_e32 v[30:31], v[22:23], v[30:31]
	s_wait_dscnt 0x0
	global_store_b64 v[30:31], v[26:27], off offset:64
.LBB94_35:                              ;   in Loop: Header=BB94_10 Depth=1
	s_wait_xcnt 0x0
	s_or_b32 exec_lo, exec_lo, s3
	s_and_saveexec_b32 s3, s28
	s_cbranch_execz .LBB94_8
; %bb.36:                               ;   in Loop: Header=BB94_10 Depth=1
	s_and_not1_b32 vcc_lo, exec_lo, s25
	s_cbranch_vccnz .LBB94_41
; %bb.37:                               ;   in Loop: Header=BB94_10 Depth=1
	s_wait_dscnt 0x0
	ds_load_b64 v[26:27], v36 offset:96
	v_lshl_add_u64 v[24:25], v[16:17], 3, v[24:25]
	s_wait_dscnt 0x0
	global_store_b64 v[24:25], v[26:27], off
	s_cbranch_execnz .LBB94_8
	s_branch .LBB94_42
.LBB94_38:                              ;   in Loop: Header=BB94_10 Depth=1
	s_branch .LBB94_26
.LBB94_39:                              ;   in Loop: Header=BB94_10 Depth=1
	s_branch .LBB94_30
.LBB94_40:                              ;   in Loop: Header=BB94_10 Depth=1
	s_branch .LBB94_34
.LBB94_41:                              ;   in Loop: Header=BB94_10 Depth=1
.LBB94_42:                              ;   in Loop: Header=BB94_10 Depth=1
	s_wait_xcnt 0x0
	ds_load_b64 v[24:25], v36 offset:96
	s_wait_dscnt 0x1
	v_dual_mov_b32 v27, v4 :: v_dual_lshlrev_b32 v26, 3, v0
	s_delay_alu instid0(VALU_DEP_1)
	v_add_nc_u64_e32 v[22:23], v[22:23], v[26:27]
	s_wait_dscnt 0x0
	global_store_b64 v[22:23], v[24:25], off offset:96
	s_branch .LBB94_8
.LBB94_43:
	s_endpgm
	.section	.rodata,"a",@progbits
	.p2align	6, 0x0
	.amdhsa_kernel _ZN9rocsparseL42csr2bsr_wavefront_per_row_multipass_kernelILj256ELj64ELj16E21rocsparse_complex_numIfEilEEv20rocsparse_direction_T4_S4_S4_S4_S4_21rocsparse_index_base_PKT2_PKT3_PKS4_S5_PS6_PS9_PS4_
		.amdhsa_group_segment_fixed_size 8196
		.amdhsa_private_segment_fixed_size 0
		.amdhsa_kernarg_size 112
		.amdhsa_user_sgpr_count 2
		.amdhsa_user_sgpr_dispatch_ptr 0
		.amdhsa_user_sgpr_queue_ptr 0
		.amdhsa_user_sgpr_kernarg_segment_ptr 1
		.amdhsa_user_sgpr_dispatch_id 0
		.amdhsa_user_sgpr_kernarg_preload_length 0
		.amdhsa_user_sgpr_kernarg_preload_offset 0
		.amdhsa_user_sgpr_private_segment_size 0
		.amdhsa_wavefront_size32 1
		.amdhsa_uses_dynamic_stack 0
		.amdhsa_enable_private_segment 0
		.amdhsa_system_sgpr_workgroup_id_x 1
		.amdhsa_system_sgpr_workgroup_id_y 0
		.amdhsa_system_sgpr_workgroup_id_z 0
		.amdhsa_system_sgpr_workgroup_info 0
		.amdhsa_system_vgpr_workitem_id 0
		.amdhsa_next_free_vgpr 58
		.amdhsa_next_free_sgpr 43
		.amdhsa_named_barrier_count 0
		.amdhsa_reserve_vcc 1
		.amdhsa_float_round_mode_32 0
		.amdhsa_float_round_mode_16_64 0
		.amdhsa_float_denorm_mode_32 3
		.amdhsa_float_denorm_mode_16_64 3
		.amdhsa_fp16_overflow 0
		.amdhsa_memory_ordered 1
		.amdhsa_forward_progress 1
		.amdhsa_inst_pref_size 21
		.amdhsa_round_robin_scheduling 0
		.amdhsa_exception_fp_ieee_invalid_op 0
		.amdhsa_exception_fp_denorm_src 0
		.amdhsa_exception_fp_ieee_div_zero 0
		.amdhsa_exception_fp_ieee_overflow 0
		.amdhsa_exception_fp_ieee_underflow 0
		.amdhsa_exception_fp_ieee_inexact 0
		.amdhsa_exception_int_div_zero 0
	.end_amdhsa_kernel
	.section	.text._ZN9rocsparseL42csr2bsr_wavefront_per_row_multipass_kernelILj256ELj64ELj16E21rocsparse_complex_numIfEilEEv20rocsparse_direction_T4_S4_S4_S4_S4_21rocsparse_index_base_PKT2_PKT3_PKS4_S5_PS6_PS9_PS4_,"axG",@progbits,_ZN9rocsparseL42csr2bsr_wavefront_per_row_multipass_kernelILj256ELj64ELj16E21rocsparse_complex_numIfEilEEv20rocsparse_direction_T4_S4_S4_S4_S4_21rocsparse_index_base_PKT2_PKT3_PKS4_S5_PS6_PS9_PS4_,comdat
.Lfunc_end94:
	.size	_ZN9rocsparseL42csr2bsr_wavefront_per_row_multipass_kernelILj256ELj64ELj16E21rocsparse_complex_numIfEilEEv20rocsparse_direction_T4_S4_S4_S4_S4_21rocsparse_index_base_PKT2_PKT3_PKS4_S5_PS6_PS9_PS4_, .Lfunc_end94-_ZN9rocsparseL42csr2bsr_wavefront_per_row_multipass_kernelILj256ELj64ELj16E21rocsparse_complex_numIfEilEEv20rocsparse_direction_T4_S4_S4_S4_S4_21rocsparse_index_base_PKT2_PKT3_PKS4_S5_PS6_PS9_PS4_
                                        ; -- End function
	.set _ZN9rocsparseL42csr2bsr_wavefront_per_row_multipass_kernelILj256ELj64ELj16E21rocsparse_complex_numIfEilEEv20rocsparse_direction_T4_S4_S4_S4_S4_21rocsparse_index_base_PKT2_PKT3_PKS4_S5_PS6_PS9_PS4_.num_vgpr, 58
	.set _ZN9rocsparseL42csr2bsr_wavefront_per_row_multipass_kernelILj256ELj64ELj16E21rocsparse_complex_numIfEilEEv20rocsparse_direction_T4_S4_S4_S4_S4_21rocsparse_index_base_PKT2_PKT3_PKS4_S5_PS6_PS9_PS4_.num_agpr, 0
	.set _ZN9rocsparseL42csr2bsr_wavefront_per_row_multipass_kernelILj256ELj64ELj16E21rocsparse_complex_numIfEilEEv20rocsparse_direction_T4_S4_S4_S4_S4_21rocsparse_index_base_PKT2_PKT3_PKS4_S5_PS6_PS9_PS4_.numbered_sgpr, 43
	.set _ZN9rocsparseL42csr2bsr_wavefront_per_row_multipass_kernelILj256ELj64ELj16E21rocsparse_complex_numIfEilEEv20rocsparse_direction_T4_S4_S4_S4_S4_21rocsparse_index_base_PKT2_PKT3_PKS4_S5_PS6_PS9_PS4_.num_named_barrier, 0
	.set _ZN9rocsparseL42csr2bsr_wavefront_per_row_multipass_kernelILj256ELj64ELj16E21rocsparse_complex_numIfEilEEv20rocsparse_direction_T4_S4_S4_S4_S4_21rocsparse_index_base_PKT2_PKT3_PKS4_S5_PS6_PS9_PS4_.private_seg_size, 0
	.set _ZN9rocsparseL42csr2bsr_wavefront_per_row_multipass_kernelILj256ELj64ELj16E21rocsparse_complex_numIfEilEEv20rocsparse_direction_T4_S4_S4_S4_S4_21rocsparse_index_base_PKT2_PKT3_PKS4_S5_PS6_PS9_PS4_.uses_vcc, 1
	.set _ZN9rocsparseL42csr2bsr_wavefront_per_row_multipass_kernelILj256ELj64ELj16E21rocsparse_complex_numIfEilEEv20rocsparse_direction_T4_S4_S4_S4_S4_21rocsparse_index_base_PKT2_PKT3_PKS4_S5_PS6_PS9_PS4_.uses_flat_scratch, 0
	.set _ZN9rocsparseL42csr2bsr_wavefront_per_row_multipass_kernelILj256ELj64ELj16E21rocsparse_complex_numIfEilEEv20rocsparse_direction_T4_S4_S4_S4_S4_21rocsparse_index_base_PKT2_PKT3_PKS4_S5_PS6_PS9_PS4_.has_dyn_sized_stack, 0
	.set _ZN9rocsparseL42csr2bsr_wavefront_per_row_multipass_kernelILj256ELj64ELj16E21rocsparse_complex_numIfEilEEv20rocsparse_direction_T4_S4_S4_S4_S4_21rocsparse_index_base_PKT2_PKT3_PKS4_S5_PS6_PS9_PS4_.has_recursion, 0
	.set _ZN9rocsparseL42csr2bsr_wavefront_per_row_multipass_kernelILj256ELj64ELj16E21rocsparse_complex_numIfEilEEv20rocsparse_direction_T4_S4_S4_S4_S4_21rocsparse_index_base_PKT2_PKT3_PKS4_S5_PS6_PS9_PS4_.has_indirect_call, 0
	.section	.AMDGPU.csdata,"",@progbits
; Kernel info:
; codeLenInByte = 2592
; TotalNumSgprs: 45
; NumVgprs: 58
; ScratchSize: 0
; MemoryBound: 0
; FloatMode: 240
; IeeeMode: 1
; LDSByteSize: 8196 bytes/workgroup (compile time only)
; SGPRBlocks: 0
; VGPRBlocks: 3
; NumSGPRsForWavesPerEU: 45
; NumVGPRsForWavesPerEU: 58
; NamedBarCnt: 0
; Occupancy: 16
; WaveLimiterHint : 0
; COMPUTE_PGM_RSRC2:SCRATCH_EN: 0
; COMPUTE_PGM_RSRC2:USER_SGPR: 2
; COMPUTE_PGM_RSRC2:TRAP_HANDLER: 0
; COMPUTE_PGM_RSRC2:TGID_X_EN: 1
; COMPUTE_PGM_RSRC2:TGID_Y_EN: 0
; COMPUTE_PGM_RSRC2:TGID_Z_EN: 0
; COMPUTE_PGM_RSRC2:TIDIG_COMP_CNT: 0
	.section	.text._ZN9rocsparseL42csr2bsr_wavefront_per_row_multipass_kernelILj256ELj32ELj16E21rocsparse_complex_numIfEilEEv20rocsparse_direction_T4_S4_S4_S4_S4_21rocsparse_index_base_PKT2_PKT3_PKS4_S5_PS6_PS9_PS4_,"axG",@progbits,_ZN9rocsparseL42csr2bsr_wavefront_per_row_multipass_kernelILj256ELj32ELj16E21rocsparse_complex_numIfEilEEv20rocsparse_direction_T4_S4_S4_S4_S4_21rocsparse_index_base_PKT2_PKT3_PKS4_S5_PS6_PS9_PS4_,comdat
	.globl	_ZN9rocsparseL42csr2bsr_wavefront_per_row_multipass_kernelILj256ELj32ELj16E21rocsparse_complex_numIfEilEEv20rocsparse_direction_T4_S4_S4_S4_S4_21rocsparse_index_base_PKT2_PKT3_PKS4_S5_PS6_PS9_PS4_ ; -- Begin function _ZN9rocsparseL42csr2bsr_wavefront_per_row_multipass_kernelILj256ELj32ELj16E21rocsparse_complex_numIfEilEEv20rocsparse_direction_T4_S4_S4_S4_S4_21rocsparse_index_base_PKT2_PKT3_PKS4_S5_PS6_PS9_PS4_
	.p2align	8
	.type	_ZN9rocsparseL42csr2bsr_wavefront_per_row_multipass_kernelILj256ELj32ELj16E21rocsparse_complex_numIfEilEEv20rocsparse_direction_T4_S4_S4_S4_S4_21rocsparse_index_base_PKT2_PKT3_PKS4_S5_PS6_PS9_PS4_,@function
_ZN9rocsparseL42csr2bsr_wavefront_per_row_multipass_kernelILj256ELj32ELj16E21rocsparse_complex_numIfEilEEv20rocsparse_direction_T4_S4_S4_S4_S4_21rocsparse_index_base_PKT2_PKT3_PKS4_S5_PS6_PS9_PS4_: ; @_ZN9rocsparseL42csr2bsr_wavefront_per_row_multipass_kernelILj256ELj32ELj16E21rocsparse_complex_numIfEilEEv20rocsparse_direction_T4_S4_S4_S4_S4_21rocsparse_index_base_PKT2_PKT3_PKS4_S5_PS6_PS9_PS4_
; %bb.0:
	s_bfe_u32 s2, ttmp6, 0x4000c
	s_clause 0x1
	s_load_b96 s[12:14], s[0:1], 0x28
	s_load_b64 s[6:7], s[0:1], 0x40
	s_add_co_i32 s2, s2, 1
	s_and_b32 s3, ttmp6, 15
	s_mul_i32 s2, ttmp9, s2
	s_getreg_b32 s4, hwreg(HW_REG_IB_STS2, 6, 4)
	s_add_co_i32 s3, s3, s2
	s_cmp_eq_u32 s4, 0
	v_dual_mov_b32 v43, 0 :: v_dual_lshrrev_b32 v42, 5, v0
	s_cselect_b32 s4, ttmp9, s3
	v_bfe_u32 v4, v0, 1, 4
	s_ashr_i32 s5, s4, 31
	v_mov_b32_e32 v38, 0
	s_lshl_b64 s[2:3], s[4:5], 3
	s_delay_alu instid0(SALU_CYCLE_1) | instskip(SKIP_2) | instid1(VALU_DEP_1)
	v_dual_mov_b32 v5, v43 :: v_dual_bitop2_b32 v1, s2, v42 bitop3:0x54
	s_load_b128 s[8:11], s[0:1], 0x18
	s_wait_kmcnt 0x0
	v_mad_nc_u64_u32 v[2:3], v1, s12, v[4:5]
	s_delay_alu instid0(VALU_DEP_1) | instskip(SKIP_1) | instid1(VALU_DEP_1)
	v_mad_u32 v3, s3, s12, v3
	s_load_b64 s[2:3], s[0:1], 0x8
	v_mad_u32 v3, v1, s13, v3
	s_wait_kmcnt 0x0
	s_delay_alu instid0(VALU_DEP_1) | instskip(SKIP_2) | instid1(SALU_CYCLE_1)
	v_cmp_gt_i64_e32 vcc_lo, s[2:3], v[2:3]
	v_cmp_gt_i64_e64 s2, s[12:13], v[4:5]
	s_and_b32 s3, s2, vcc_lo
	s_and_saveexec_b32 s5, s3
	s_cbranch_execz .LBB95_2
; %bb.1:
	v_lshl_add_u64 v[6:7], v[2:3], 2, s[6:7]
	global_load_b32 v1, v[6:7], off
	s_wait_loadcnt 0x0
	v_subrev_nc_u32_e32 v38, s14, v1
.LBB95_2:
	s_or_b32 exec_lo, exec_lo, s5
	s_and_saveexec_b32 s5, s3
	s_cbranch_execz .LBB95_4
; %bb.3:
	v_lshl_add_u64 v[2:3], v[2:3], 2, s[6:7]
	global_load_b32 v1, v[2:3], off offset:4
	s_wait_loadcnt 0x0
	v_subrev_nc_u32_e32 v43, s14, v1
.LBB95_4:
	s_or_b32 exec_lo, exec_lo, s5
	s_load_b32 s24, s[0:1], 0x50
	v_mov_b32_e32 v7, 0
	v_lshl_or_b32 v6, s4, 3, v42
	s_mov_b32 s3, exec_lo
	s_delay_alu instid0(VALU_DEP_2) | instskip(NEXT) | instid1(VALU_DEP_2)
	v_mov_b32_e32 v2, v7
	v_cmpx_gt_i64_e64 s[8:9], v[6:7]
	s_cbranch_execz .LBB95_6
; %bb.5:
	s_load_b64 s[4:5], s[0:1], 0x60
	s_wait_kmcnt 0x0
	v_lshl_add_u64 v[2:3], v[6:7], 2, s[4:5]
	global_load_b32 v1, v[2:3], off
	s_wait_loadcnt 0x0
	v_subrev_nc_u32_e32 v2, s24, v1
.LBB95_6:
	s_or_b32 exec_lo, exec_lo, s3
	v_cmp_lt_i64_e64 s3, s[10:11], 1
	s_and_b32 vcc_lo, exec_lo, s3
	s_cbranch_vccnz .LBB95_63
; %bb.7:
	v_mbcnt_lo_u32_b32 v1, -1, 0
	v_mul_u64_e32 v[8:9], s[12:13], v[4:5]
	v_dual_lshlrev_b32 v6, 3, v4 :: v_dual_lshlrev_b32 v3, 7, v4
	s_delay_alu instid0(VALU_DEP_3) | instskip(SKIP_2) | instid1(VALU_DEP_4)
	v_dual_mov_b32 v4, 0 :: v_dual_bitop2_b32 v5, 1, v1 bitop3:0x14
	v_xor_b32_e32 v11, 2, v1
	v_xor_b32_e32 v10, 4, v1
	v_lshl_or_b32 v44, v42, 11, v3
	s_clause 0x4
	s_load_b64 s[4:5], s[0:1], 0x58
	s_load_b64 s[8:9], s[0:1], 0x48
	;; [unrolled: 1-line block ×3, first 2 shown]
	s_load_b32 s3, s[0:1], 0x0
	s_load_b64 s[18:19], s[0:1], 0x68
	v_cmp_gt_i32_e32 vcc_lo, 32, v5
	v_dual_mov_b32 v7, v4 :: v_dual_bitop2_b32 v0, 1, v0 bitop3:0x40
	v_lshl_or_b32 v47, v1, 2, 4
	v_dual_mov_b32 v52, 0x7c :: v_dual_cndmask_b32 v3, v1, v5
	s_delay_alu instid0(VALU_DEP_3) | instskip(SKIP_1) | instid1(VALU_DEP_3)
	v_dual_mov_b32 v27, v4 :: v_dual_bitop2_b32 v26, 2, v0 bitop3:0x54
	v_dual_mov_b32 v29, v4 :: v_dual_bitop2_b32 v28, 4, v0 bitop3:0x54
	v_dual_lshlrev_b32 v46, 2, v3 :: v_dual_bitop2_b32 v3, 16, v1 bitop3:0x14
	v_dual_mov_b32 v31, v4 :: v_dual_bitop2_b32 v30, 6, v0 bitop3:0x54
	v_dual_mov_b32 v33, v4 :: v_dual_bitop2_b32 v32, 8, v0 bitop3:0x54
	s_delay_alu instid0(VALU_DEP_3) | instskip(SKIP_4) | instid1(VALU_DEP_4)
	v_cmp_gt_i32_e32 vcc_lo, 32, v3
	v_xor_b32_e32 v5, 8, v1
	v_dual_mov_b32 v35, v4 :: v_dual_bitop2_b32 v34, 10, v0 bitop3:0x54
	v_dual_mov_b32 v37, v4 :: v_dual_bitop2_b32 v36, 12, v0 bitop3:0x54
	v_cndmask_b32_e32 v3, v1, v3, vcc_lo
	v_cmp_gt_i32_e32 vcc_lo, 32, v5
	v_dual_mov_b32 v41, v4 :: v_dual_bitop2_b32 v40, 14, v0 bitop3:0x54
	v_mul_u64_e32 v[12:13], s[12:13], v[26:27]
	v_mul_u64_e32 v[14:15], s[12:13], v[28:29]
	v_cndmask_b32_e32 v5, v1, v5, vcc_lo
	v_cmp_gt_i32_e32 vcc_lo, 32, v10
	v_lshlrev_b32_e32 v48, 2, v3
	v_cvt_f32_u32_e32 v3, s12
	v_mul_u64_e32 v[16:17], s[12:13], v[30:31]
	v_mul_u64_e32 v[18:19], s[12:13], v[32:33]
	v_cndmask_b32_e32 v10, v1, v10, vcc_lo
	v_cmp_gt_i32_e32 vcc_lo, 32, v11
	v_rcp_iflag_f32_e32 v3, v3
	v_mul_u64_e32 v[20:21], s[12:13], v[34:35]
	v_mul_u64_e32 v[22:23], s[12:13], v[36:37]
	;; [unrolled: 1-line block ×3, first 2 shown]
	v_dual_cndmask_b32 v1, v1, v11 :: v_dual_lshlrev_b32 v50, 2, v10
	s_wait_xcnt 0x0
	v_cmp_gt_u64_e64 s1, s[12:13], v[28:29]
	v_dual_mul_f32 v3, 0x4f7ffffe, v3 :: v_dual_lshlrev_b32 v28, 3, v0
	s_delay_alu instid0(VALU_DEP_3) | instskip(SKIP_2) | instid1(VALU_DEP_2)
	v_dual_lshlrev_b32 v51, 2, v1 :: v_dual_mov_b32 v1, v4
	s_wait_kmcnt 0x0
	s_cmp_lg_u32 s3, 0
	v_cvt_u32_f32_e32 v3, v3
	s_cselect_b32 s25, -1, 0
	s_sub_co_i32 s0, 0, s12
	v_mul_u64_e32 v[10:11], s[12:13], v[0:1]
	v_cmp_gt_u64_e32 vcc_lo, s[12:13], v[0:1]
	v_mul_lo_u32 v1, s0, v3
	v_lshlrev_b32_e32 v49, 2, v5
	v_add_nc_u64_e32 v[6:7], s[4:5], v[6:7]
	v_lshl_add_u64 v[8:9], v[8:9], 3, s[4:5]
	v_cmp_gt_u64_e64 s0, s[12:13], v[26:27]
	v_cmp_gt_u64_e64 s3, s[12:13], v[30:31]
	;; [unrolled: 1-line block ×6, first 2 shown]
	v_mov_b64_e32 v[32:33], 0
	v_mul_hi_u32 v5, v3, v1
	v_mov_b64_e32 v[26:27], 0
	v_lshl_or_b32 v45, v0, 3, v44
	v_dual_mov_b32 v1, 1 :: v_dual_mov_b32 v29, 0
	s_mov_b32 s15, 0
	s_mul_u64 s[20:21], s[12:13], s[12:13]
	s_mov_b32 s22, s14
	s_mov_b32 s23, s15
	s_and_b32 s26, s2, vcc_lo
	s_and_b32 s27, s2, s0
	s_delay_alu instid0(VALU_DEP_4)
	v_add_nc_u32_e32 v53, v3, v5
	s_and_b32 s1, s2, s1
	s_and_b32 s28, s2, s3
	;; [unrolled: 1-line block ×5, first 2 shown]
	s_mov_b64 s[4:5], 0xffffffff
	s_and_b32 s33, s2, s7
	s_ashr_i32 s2, s13, 31
	s_mov_b32 s34, 0
	s_branch .LBB95_10
.LBB95_8:                               ;   in Loop: Header=BB95_10 Depth=1
	s_wait_xcnt 0x0
	s_or_b32 exec_lo, exec_lo, s3
	v_mov_b32_e32 v3, 1
.LBB95_9:                               ;   in Loop: Header=BB95_10 Depth=1
	s_or_b32 exec_lo, exec_lo, s0
	ds_bpermute_b32 v32, v48, v30
	ds_bpermute_b32 v33, v48, v31
	s_wait_storecnt_dscnt 0x0
	v_add_nc_u32_e32 v2, v3, v2
	v_min_i64 v[30:31], v[32:33], v[30:31]
	ds_bpermute_b32 v32, v49, v30
	ds_bpermute_b32 v33, v49, v31
	s_wait_dscnt 0x0
	v_min_i64 v[30:31], v[32:33], v[30:31]
	ds_bpermute_b32 v32, v50, v30
	ds_bpermute_b32 v33, v50, v31
	s_wait_dscnt 0x0
	;; [unrolled: 4-line block ×4, first 2 shown]
	v_min_i64 v[30:31], v[32:33], v[30:31]
	ds_bpermute_b32 v32, v52, v30
	s_wait_dscnt 0x0
	v_dual_ashrrev_i32 v33, 31, v32 :: v_dual_mov_b32 v29, v32
	s_delay_alu instid0(VALU_DEP_1) | instskip(SKIP_1) | instid1(SALU_CYCLE_1)
	v_cmp_le_i64_e32 vcc_lo, s[10:11], v[32:33]
	s_or_b32 s34, vcc_lo, s34
	s_and_not1_b32 exec_lo, exec_lo, s34
	s_cbranch_execz .LBB95_63
.LBB95_10:                              ; =>This Loop Header: Depth=1
                                        ;     Child Loop BB95_13 Depth 2
	v_mov_b64_e32 v[30:31], s[10:11]
	v_dual_mov_b32 v5, v43 :: v_dual_add_nc_u32 v34, v38, v0
	s_mov_b32 s35, exec_lo
	ds_store_b8 v42, v4 offset:16384
	ds_store_2addr_b64 v45, v[26:27], v[26:27] offset1:2
	ds_store_2addr_b64 v45, v[26:27], v[26:27] offset0:4 offset1:6
	ds_store_2addr_b64 v45, v[26:27], v[26:27] offset0:8 offset1:10
	;; [unrolled: 1-line block ×3, first 2 shown]
	s_wait_dscnt 0x0
	v_cmpx_lt_i32_e64 v34, v43
	s_cbranch_execz .LBB95_22
; %bb.11:                               ;   in Loop: Header=BB95_10 Depth=1
	v_mul_u64_e32 v[36:37], s[12:13], v[32:33]
	v_mov_b64_e32 v[30:31], s[10:11]
	v_mov_b32_e32 v3, v43
	s_mov_b32 s36, 0
	s_branch .LBB95_13
.LBB95_12:                              ;   in Loop: Header=BB95_13 Depth=2
	s_wait_xcnt 0x0
	s_or_b32 exec_lo, exec_lo, s0
	v_dual_mov_b32 v3, v5 :: v_dual_add_nc_u32 v34, 2, v34
	s_xor_b32 s3, vcc_lo, -1
	s_delay_alu instid0(VALU_DEP_1) | instskip(SKIP_1) | instid1(SALU_CYCLE_1)
	v_cmp_ge_i32_e64 s0, v34, v43
	s_or_b32 s0, s3, s0
	s_and_b32 s0, exec_lo, s0
	s_delay_alu instid0(SALU_CYCLE_1) | instskip(NEXT) | instid1(SALU_CYCLE_1)
	s_or_b32 s36, s0, s36
	s_and_not1_b32 exec_lo, exec_lo, s36
	s_cbranch_execz .LBB95_21
.LBB95_13:                              ;   Parent Loop BB95_10 Depth=1
                                        ; =>  This Inner Loop Header: Depth=2
	global_load_b64 v[38:39], v34, s[8:9] scale_offset
                                        ; implicit-def: $vgpr40_vgpr41
	s_mov_b32 s0, exec_lo
	s_wait_loadcnt 0x0
	v_sub_nc_u64_e64 v[38:39], v[38:39], s[22:23]
	s_delay_alu instid0(VALU_DEP_1) | instskip(SKIP_1) | instid1(VALU_DEP_1)
	v_or_b32_e32 v5, s13, v39
	s_wait_xcnt 0x0
	v_cmpx_ne_u64_e32 0, v[4:5]
	s_xor_b32 s37, exec_lo, s0
	s_cbranch_execz .LBB95_15
; %bb.14:                               ;   in Loop: Header=BB95_13 Depth=2
	s_mov_b32 s3, s2
	v_dual_mov_b32 v57, v4 :: v_dual_ashrrev_i32 v40, 31, v39
	s_add_nc_u64 s[6:7], s[12:13], s[2:3]
	v_mov_b32_e32 v65, v4
	s_xor_b64 s[6:7], s[6:7], s[2:3]
	s_delay_alu instid0(VALU_DEP_2) | instskip(SKIP_3) | instid1(VALU_DEP_1)
	v_mov_b32_e32 v41, v40
	s_cvt_f32_u32 s0, s6
	s_cvt_f32_u32 s3, s7
	s_sub_nc_u64 s[40:41], 0, s[6:7]
	v_add_nc_u64_e32 v[54:55], v[38:39], v[40:41]
	s_delay_alu instid0(SALU_CYCLE_1) | instskip(SKIP_1) | instid1(SALU_CYCLE_2)
	s_fmamk_f32 s0, s3, 0x4f800000, s0
	v_mov_b32_e32 v61, v4
	v_s_rcp_f32 s0, s0
	s_delay_alu instid0(VALU_DEP_2) | instskip(NEXT) | instid1(VALU_DEP_3)
	v_xor_b32_e32 v56, v54, v40
	v_xor_b32_e32 v60, v55, v40
	s_delay_alu instid0(TRANS32_DEP_1) | instskip(NEXT) | instid1(SALU_CYCLE_3)
	s_mul_f32 s0, s0, 0x5f7ffffc
	s_mul_f32 s3, s0, 0x2f800000
	s_delay_alu instid0(SALU_CYCLE_3) | instskip(NEXT) | instid1(SALU_CYCLE_3)
	s_trunc_f32 s3, s3
	s_fmamk_f32 s0, s3, 0xcf800000, s0
	s_cvt_u32_f32 s39, s3
	s_delay_alu instid0(SALU_CYCLE_2) | instskip(NEXT) | instid1(SALU_CYCLE_3)
	s_cvt_u32_f32 s38, s0
	s_mul_u64 s[42:43], s[40:41], s[38:39]
	s_delay_alu instid0(SALU_CYCLE_1)
	s_mul_hi_u32 s45, s38, s43
	s_mul_i32 s44, s38, s43
	s_mul_hi_u32 s14, s38, s42
	s_mul_i32 s3, s39, s42
	s_add_nc_u64 s[44:45], s[14:15], s[44:45]
	s_mul_hi_u32 s0, s39, s42
	s_mul_hi_u32 s46, s39, s43
	s_add_co_u32 s3, s44, s3
	s_add_co_ci_u32 s14, s45, s0
	s_mul_i32 s42, s39, s43
	s_add_co_ci_u32 s43, s46, 0
	s_delay_alu instid0(SALU_CYCLE_1) | instskip(NEXT) | instid1(SALU_CYCLE_1)
	s_add_nc_u64 s[42:43], s[14:15], s[42:43]
	s_add_co_u32 s38, s38, s42
	s_cselect_b32 s0, -1, 0
	s_delay_alu instid0(SALU_CYCLE_1) | instskip(SKIP_1) | instid1(SALU_CYCLE_1)
	s_cmp_lg_u32 s0, 0
	s_add_co_ci_u32 s39, s39, s43
	s_mul_u64 s[40:41], s[40:41], s[38:39]
	s_delay_alu instid0(SALU_CYCLE_1)
	s_mul_hi_u32 s43, s38, s41
	s_mul_i32 s42, s38, s41
	s_mul_hi_u32 s14, s38, s40
	s_mul_i32 s3, s39, s40
	s_add_nc_u64 s[42:43], s[14:15], s[42:43]
	s_mul_hi_u32 s0, s39, s40
	s_mul_hi_u32 s44, s39, s41
	s_add_co_u32 s3, s42, s3
	s_add_co_ci_u32 s14, s43, s0
	s_mul_i32 s40, s39, s41
	s_add_co_ci_u32 s41, s44, 0
	s_delay_alu instid0(SALU_CYCLE_1) | instskip(NEXT) | instid1(SALU_CYCLE_1)
	s_add_nc_u64 s[40:41], s[14:15], s[40:41]
	s_add_co_u32 s0, s38, s40
	s_cselect_b32 s3, -1, 0
	v_mul_hi_u32 v64, v56, s0
	s_cmp_lg_u32 s3, 0
	s_add_co_ci_u32 s14, s39, s41
	s_and_b64 s[38:39], s[0:1], s[4:5]
	v_mul_u64_e32 v[58:59], s[14:15], v[56:57]
	v_mul_u64_e32 v[54:55], s[38:39], v[60:61]
	;; [unrolled: 1-line block ×3, first 2 shown]
	s_delay_alu instid0(VALU_DEP_3) | instskip(NEXT) | instid1(VALU_DEP_1)
	v_add_nc_u64_e32 v[58:59], v[64:65], v[58:59]
	v_add_co_u32 v5, vcc_lo, v58, v54
	s_delay_alu instid0(VALU_DEP_2) | instskip(NEXT) | instid1(VALU_DEP_4)
	v_add_co_ci_u32_e32 v64, vcc_lo, v59, v55, vcc_lo
	v_add_co_ci_u32_e32 v63, vcc_lo, 0, v63, vcc_lo
	s_delay_alu instid0(VALU_DEP_1) | instskip(NEXT) | instid1(VALU_DEP_1)
	v_add_nc_u64_e32 v[54:55], v[64:65], v[62:63]
	v_mul_u64_e32 v[58:59], s[6:7], v[54:55]
	s_delay_alu instid0(VALU_DEP_1) | instskip(SKIP_1) | instid1(VALU_DEP_3)
	v_sub_co_u32 v35, vcc_lo, v56, v58
	v_add_nc_u64_e32 v[56:57], 2, v[54:55]
	v_sub_nc_u32_e32 v5, v60, v59
	v_sub_co_ci_u32_e64 v39, null, v60, v59, vcc_lo
	s_delay_alu instid0(VALU_DEP_4) | instskip(NEXT) | instid1(VALU_DEP_3)
	v_sub_co_u32 v37, s0, v35, s6
	v_subrev_co_ci_u32_e64 v5, null, s7, v5, vcc_lo
	v_add_nc_u64_e32 v[58:59], 1, v[54:55]
	s_delay_alu instid0(VALU_DEP_3) | instskip(NEXT) | instid1(VALU_DEP_3)
	v_cmp_le_u32_e32 vcc_lo, s6, v37
	v_subrev_co_ci_u32_e64 v5, null, 0, v5, s0
	v_cndmask_b32_e64 v37, 0, -1, vcc_lo
	s_delay_alu instid0(VALU_DEP_2)
	v_cmp_le_u32_e32 vcc_lo, s7, v5
	v_cndmask_b32_e64 v41, 0, -1, vcc_lo
	v_cmp_le_u32_e32 vcc_lo, s6, v35
	v_cndmask_b32_e64 v35, 0, -1, vcc_lo
	;; [unrolled: 2-line block ×3, first 2 shown]
	v_cmp_eq_u32_e32 vcc_lo, s7, v5
	v_cndmask_b32_e32 v5, v41, v37, vcc_lo
	v_cmp_eq_u32_e32 vcc_lo, s7, v39
	s_delay_alu instid0(VALU_DEP_4) | instskip(NEXT) | instid1(VALU_DEP_3)
	v_cndmask_b32_e32 v35, v60, v35, vcc_lo
	v_cmp_ne_u32_e32 vcc_lo, 0, v5
	v_cndmask_b32_e32 v5, v59, v57, vcc_lo
	s_delay_alu instid0(VALU_DEP_3) | instskip(SKIP_1) | instid1(VALU_DEP_2)
	v_cmp_ne_u32_e64 s0, 0, v35
	v_cndmask_b32_e32 v35, v58, v56, vcc_lo
	v_dual_cndmask_b32 v5, v55, v5, s0 :: v_dual_bitop2_b32 v40, s2, v40 bitop3:0x14
	s_delay_alu instid0(VALU_DEP_1) | instskip(NEXT) | instid1(VALU_DEP_2)
	v_dual_cndmask_b32 v35, v54, v35, s0 :: v_dual_mov_b32 v41, v40
	v_xor_b32_e32 v55, v5, v40
	s_delay_alu instid0(VALU_DEP_2) | instskip(NEXT) | instid1(VALU_DEP_1)
	v_xor_b32_e32 v54, v35, v40
	v_sub_nc_u64_e32 v[40:41], v[54:55], v[40:41]
.LBB95_15:                              ;   in Loop: Header=BB95_13 Depth=2
	s_and_not1_saveexec_b32 s0, s37
	s_cbranch_execz .LBB95_17
; %bb.16:                               ;   in Loop: Header=BB95_13 Depth=2
	v_mul_hi_u32 v5, v38, v53
	v_mov_b32_e32 v41, v4
	s_delay_alu instid0(VALU_DEP_2) | instskip(NEXT) | instid1(VALU_DEP_1)
	v_mul_lo_u32 v35, v5, s12
	v_dual_add_nc_u32 v37, 1, v5 :: v_dual_sub_nc_u32 v35, v38, v35
	s_delay_alu instid0(VALU_DEP_1) | instskip(SKIP_1) | instid1(VALU_DEP_2)
	v_subrev_nc_u32_e32 v39, s12, v35
	v_cmp_le_u32_e32 vcc_lo, s12, v35
	v_dual_cndmask_b32 v35, v35, v39, vcc_lo :: v_dual_cndmask_b32 v5, v5, v37, vcc_lo
	s_delay_alu instid0(VALU_DEP_1) | instskip(NEXT) | instid1(VALU_DEP_2)
	v_cmp_le_u32_e32 vcc_lo, s12, v35
	v_add_nc_u32_e32 v37, 1, v5
	s_delay_alu instid0(VALU_DEP_1)
	v_cndmask_b32_e32 v40, v5, v37, vcc_lo
.LBB95_17:                              ;   in Loop: Header=BB95_13 Depth=2
	s_or_b32 exec_lo, exec_lo, s0
	s_delay_alu instid0(VALU_DEP_1) | instskip(SKIP_2) | instid1(SALU_CYCLE_1)
	v_cmp_ne_u64_e64 s0, v[40:41], v[32:33]
	v_cmp_eq_u64_e32 vcc_lo, v[40:41], v[32:33]
	s_and_saveexec_b32 s3, s0
	s_xor_b32 s0, exec_lo, s3
; %bb.18:                               ;   in Loop: Header=BB95_13 Depth=2
	v_min_i64 v[30:31], v[40:41], v[30:31]
                                        ; implicit-def: $vgpr38_vgpr39
                                        ; implicit-def: $vgpr3
; %bb.19:                               ;   in Loop: Header=BB95_13 Depth=2
	s_or_saveexec_b32 s0, s0
	v_mov_b32_e32 v5, v34
	s_xor_b32 exec_lo, exec_lo, s0
	s_cbranch_execz .LBB95_12
; %bb.20:                               ;   in Loop: Header=BB95_13 Depth=2
	v_dual_ashrrev_i32 v35, 31, v34 :: v_dual_sub_nc_u32 v5, v38, v36
	s_delay_alu instid0(VALU_DEP_1) | instskip(NEXT) | instid1(VALU_DEP_2)
	v_lshl_add_u64 v[40:41], v[34:35], 3, s[16:17]
	v_lshl_add_u32 v35, v5, 3, v44
	v_mov_b32_e32 v5, v3
	global_load_b64 v[40:41], v[40:41], off
	ds_store_b8 v42, v1 offset:16384
	s_wait_loadcnt 0x0
	ds_store_b64 v35, v[40:41]
	s_branch .LBB95_12
.LBB95_21:                              ;   in Loop: Header=BB95_10 Depth=1
	s_or_b32 exec_lo, exec_lo, s36
.LBB95_22:                              ;   in Loop: Header=BB95_10 Depth=1
	s_delay_alu instid0(SALU_CYCLE_1)
	s_or_b32 exec_lo, exec_lo, s35
	ds_bpermute_b32 v3, v46, v5
	s_wait_dscnt 0x0
	ds_load_u8 v32, v42 offset:16384
	v_min_i32_e32 v3, v3, v5
	ds_bpermute_b32 v38, v47, v3
	s_wait_dscnt 0x1
	v_and_b32_e32 v3, 1, v32
	s_delay_alu instid0(VALU_DEP_1)
	v_cmp_eq_u32_e32 vcc_lo, 1, v3
	v_mov_b32_e32 v3, 0
	s_and_saveexec_b32 s0, vcc_lo
	s_cbranch_execz .LBB95_9
; %bb.23:                               ;   in Loop: Header=BB95_10 Depth=1
	v_dual_ashrrev_i32 v3, 31, v2 :: v_dual_add_nc_u32 v36, s24, v29
	s_delay_alu instid0(VALU_DEP_1) | instskip(NEXT) | instid1(VALU_DEP_2)
	v_mul_u64_e32 v[32:33], s[20:21], v[2:3]
	v_ashrrev_i32_e32 v37, 31, v36
	global_store_b64 v2, v[36:37], s[18:19] scale_offset
	v_lshlrev_b64_e32 v[32:33], 3, v[32:33]
	s_delay_alu instid0(VALU_DEP_1)
	v_add_nc_u64_e32 v[34:35], v[6:7], v[32:33]
	v_add_nc_u64_e32 v[32:33], v[8:9], v[32:33]
	s_wait_xcnt 0x0
	s_and_saveexec_b32 s3, s26
	s_cbranch_execz .LBB95_27
; %bb.24:                               ;   in Loop: Header=BB95_10 Depth=1
	ds_load_b64 v[36:37], v45
	s_and_b32 vcc_lo, exec_lo, s25
	s_cbranch_vccz .LBB95_54
; %bb.25:                               ;   in Loop: Header=BB95_10 Depth=1
	v_lshl_add_u64 v[40:41], v[10:11], 3, v[34:35]
	s_wait_dscnt 0x0
	global_store_b64 v[40:41], v[36:37], off
	s_cbranch_execnz .LBB95_27
.LBB95_26:                              ;   in Loop: Header=BB95_10 Depth=1
	v_mov_b32_e32 v29, v4
	s_wait_xcnt 0x0
	s_delay_alu instid0(VALU_DEP_1)
	v_add_nc_u64_e32 v[40:41], v[32:33], v[28:29]
	s_wait_dscnt 0x0
	global_store_b64 v[40:41], v[36:37], off
.LBB95_27:                              ;   in Loop: Header=BB95_10 Depth=1
	s_wait_xcnt 0x0
	s_or_b32 exec_lo, exec_lo, s3
	s_and_saveexec_b32 s3, s27
	s_cbranch_execz .LBB95_31
; %bb.28:                               ;   in Loop: Header=BB95_10 Depth=1
	s_and_not1_b32 vcc_lo, exec_lo, s25
	s_cbranch_vccnz .LBB95_55
; %bb.29:                               ;   in Loop: Header=BB95_10 Depth=1
	s_wait_dscnt 0x0
	ds_load_b64 v[36:37], v45 offset:16
	v_lshl_add_u64 v[40:41], v[12:13], 3, v[34:35]
	s_wait_dscnt 0x0
	global_store_b64 v[40:41], v[36:37], off
	s_cbranch_execnz .LBB95_31
.LBB95_30:                              ;   in Loop: Header=BB95_10 Depth=1
	s_wait_dscnt 0x0
	s_wait_xcnt 0x0
	ds_load_b64 v[36:37], v45 offset:16
	v_mov_b32_e32 v29, v4
	s_delay_alu instid0(VALU_DEP_1)
	v_add_nc_u64_e32 v[40:41], v[32:33], v[28:29]
	s_wait_dscnt 0x0
	global_store_b64 v[40:41], v[36:37], off offset:16
.LBB95_31:                              ;   in Loop: Header=BB95_10 Depth=1
	s_wait_xcnt 0x0
	s_or_b32 exec_lo, exec_lo, s3
	s_and_saveexec_b32 s3, s1
	s_cbranch_execz .LBB95_35
; %bb.32:                               ;   in Loop: Header=BB95_10 Depth=1
	s_and_not1_b32 vcc_lo, exec_lo, s25
	s_cbranch_vccnz .LBB95_56
; %bb.33:                               ;   in Loop: Header=BB95_10 Depth=1
	s_wait_dscnt 0x0
	ds_load_b64 v[36:37], v45 offset:32
	v_lshl_add_u64 v[40:41], v[14:15], 3, v[34:35]
	s_wait_dscnt 0x0
	global_store_b64 v[40:41], v[36:37], off
	s_cbranch_execnz .LBB95_35
.LBB95_34:                              ;   in Loop: Header=BB95_10 Depth=1
	s_wait_dscnt 0x0
	s_wait_xcnt 0x0
	ds_load_b64 v[36:37], v45 offset:32
	v_mov_b32_e32 v29, v4
	s_delay_alu instid0(VALU_DEP_1)
	v_add_nc_u64_e32 v[40:41], v[32:33], v[28:29]
	s_wait_dscnt 0x0
	global_store_b64 v[40:41], v[36:37], off offset:32
.LBB95_35:                              ;   in Loop: Header=BB95_10 Depth=1
	s_wait_xcnt 0x0
	s_or_b32 exec_lo, exec_lo, s3
	s_and_saveexec_b32 s3, s28
	s_cbranch_execz .LBB95_39
; %bb.36:                               ;   in Loop: Header=BB95_10 Depth=1
	s_and_not1_b32 vcc_lo, exec_lo, s25
	s_cbranch_vccnz .LBB95_57
; %bb.37:                               ;   in Loop: Header=BB95_10 Depth=1
	s_wait_dscnt 0x0
	ds_load_b64 v[36:37], v45 offset:48
	v_lshl_add_u64 v[40:41], v[16:17], 3, v[34:35]
	s_wait_dscnt 0x0
	global_store_b64 v[40:41], v[36:37], off
	s_cbranch_execnz .LBB95_39
.LBB95_38:                              ;   in Loop: Header=BB95_10 Depth=1
	s_wait_dscnt 0x0
	s_wait_xcnt 0x0
	ds_load_b64 v[36:37], v45 offset:48
	v_mov_b32_e32 v29, v4
	s_delay_alu instid0(VALU_DEP_1)
	v_add_nc_u64_e32 v[40:41], v[32:33], v[28:29]
	s_wait_dscnt 0x0
	global_store_b64 v[40:41], v[36:37], off offset:48
.LBB95_39:                              ;   in Loop: Header=BB95_10 Depth=1
	s_wait_xcnt 0x0
	s_or_b32 exec_lo, exec_lo, s3
	s_and_saveexec_b32 s3, s29
	s_cbranch_execz .LBB95_43
; %bb.40:                               ;   in Loop: Header=BB95_10 Depth=1
	s_and_not1_b32 vcc_lo, exec_lo, s25
	s_cbranch_vccnz .LBB95_58
; %bb.41:                               ;   in Loop: Header=BB95_10 Depth=1
	s_wait_dscnt 0x0
	ds_load_b64 v[36:37], v45 offset:64
	v_lshl_add_u64 v[40:41], v[18:19], 3, v[34:35]
	s_wait_dscnt 0x0
	global_store_b64 v[40:41], v[36:37], off
	s_cbranch_execnz .LBB95_43
.LBB95_42:                              ;   in Loop: Header=BB95_10 Depth=1
	s_wait_dscnt 0x0
	s_wait_xcnt 0x0
	ds_load_b64 v[36:37], v45 offset:64
	v_mov_b32_e32 v29, v4
	s_delay_alu instid0(VALU_DEP_1)
	v_add_nc_u64_e32 v[40:41], v[32:33], v[28:29]
	s_wait_dscnt 0x0
	global_store_b64 v[40:41], v[36:37], off offset:64
.LBB95_43:                              ;   in Loop: Header=BB95_10 Depth=1
	s_wait_xcnt 0x0
	s_or_b32 exec_lo, exec_lo, s3
	s_and_saveexec_b32 s3, s30
	s_cbranch_execz .LBB95_47
; %bb.44:                               ;   in Loop: Header=BB95_10 Depth=1
	s_and_not1_b32 vcc_lo, exec_lo, s25
	s_cbranch_vccnz .LBB95_59
; %bb.45:                               ;   in Loop: Header=BB95_10 Depth=1
	s_wait_dscnt 0x0
	ds_load_b64 v[36:37], v45 offset:80
	v_lshl_add_u64 v[40:41], v[20:21], 3, v[34:35]
	s_wait_dscnt 0x0
	global_store_b64 v[40:41], v[36:37], off
	s_cbranch_execnz .LBB95_47
.LBB95_46:                              ;   in Loop: Header=BB95_10 Depth=1
	s_wait_dscnt 0x0
	s_wait_xcnt 0x0
	ds_load_b64 v[36:37], v45 offset:80
	v_mov_b32_e32 v29, v4
	s_delay_alu instid0(VALU_DEP_1)
	v_add_nc_u64_e32 v[40:41], v[32:33], v[28:29]
	s_wait_dscnt 0x0
	global_store_b64 v[40:41], v[36:37], off offset:80
.LBB95_47:                              ;   in Loop: Header=BB95_10 Depth=1
	s_wait_xcnt 0x0
	s_or_b32 exec_lo, exec_lo, s3
	s_and_saveexec_b32 s3, s31
	s_cbranch_execz .LBB95_51
; %bb.48:                               ;   in Loop: Header=BB95_10 Depth=1
	s_and_not1_b32 vcc_lo, exec_lo, s25
	s_cbranch_vccnz .LBB95_60
; %bb.49:                               ;   in Loop: Header=BB95_10 Depth=1
	s_wait_dscnt 0x0
	ds_load_b64 v[36:37], v45 offset:96
	v_lshl_add_u64 v[40:41], v[22:23], 3, v[34:35]
	s_wait_dscnt 0x0
	global_store_b64 v[40:41], v[36:37], off
	s_cbranch_execnz .LBB95_51
.LBB95_50:                              ;   in Loop: Header=BB95_10 Depth=1
	s_wait_dscnt 0x0
	s_wait_xcnt 0x0
	ds_load_b64 v[36:37], v45 offset:96
	v_mov_b32_e32 v29, v4
	s_delay_alu instid0(VALU_DEP_1)
	v_add_nc_u64_e32 v[40:41], v[32:33], v[28:29]
	s_wait_dscnt 0x0
	global_store_b64 v[40:41], v[36:37], off offset:96
.LBB95_51:                              ;   in Loop: Header=BB95_10 Depth=1
	s_wait_xcnt 0x0
	s_or_b32 exec_lo, exec_lo, s3
	s_and_saveexec_b32 s3, s33
	s_cbranch_execz .LBB95_8
; %bb.52:                               ;   in Loop: Header=BB95_10 Depth=1
	s_and_not1_b32 vcc_lo, exec_lo, s25
	s_cbranch_vccnz .LBB95_61
; %bb.53:                               ;   in Loop: Header=BB95_10 Depth=1
	s_wait_dscnt 0x0
	ds_load_b64 v[36:37], v45 offset:112
	v_lshl_add_u64 v[34:35], v[24:25], 3, v[34:35]
	s_wait_dscnt 0x0
	global_store_b64 v[34:35], v[36:37], off
	s_cbranch_execnz .LBB95_8
	s_branch .LBB95_62
.LBB95_54:                              ;   in Loop: Header=BB95_10 Depth=1
	s_branch .LBB95_26
.LBB95_55:                              ;   in Loop: Header=BB95_10 Depth=1
	s_branch .LBB95_30
.LBB95_56:                              ;   in Loop: Header=BB95_10 Depth=1
	s_branch .LBB95_34
.LBB95_57:                              ;   in Loop: Header=BB95_10 Depth=1
	s_branch .LBB95_38
.LBB95_58:                              ;   in Loop: Header=BB95_10 Depth=1
	s_branch .LBB95_42
.LBB95_59:                              ;   in Loop: Header=BB95_10 Depth=1
	s_branch .LBB95_46
.LBB95_60:                              ;   in Loop: Header=BB95_10 Depth=1
	s_branch .LBB95_50
.LBB95_61:                              ;   in Loop: Header=BB95_10 Depth=1
.LBB95_62:                              ;   in Loop: Header=BB95_10 Depth=1
	s_wait_xcnt 0x0
	ds_load_b64 v[34:35], v45 offset:112
	v_mov_b32_e32 v29, v4
	s_delay_alu instid0(VALU_DEP_1)
	v_add_nc_u64_e32 v[32:33], v[32:33], v[28:29]
	s_wait_dscnt 0x0
	global_store_b64 v[32:33], v[34:35], off offset:112
	s_branch .LBB95_8
.LBB95_63:
	s_endpgm
	.section	.rodata,"a",@progbits
	.p2align	6, 0x0
	.amdhsa_kernel _ZN9rocsparseL42csr2bsr_wavefront_per_row_multipass_kernelILj256ELj32ELj16E21rocsparse_complex_numIfEilEEv20rocsparse_direction_T4_S4_S4_S4_S4_21rocsparse_index_base_PKT2_PKT3_PKS4_S5_PS6_PS9_PS4_
		.amdhsa_group_segment_fixed_size 16392
		.amdhsa_private_segment_fixed_size 0
		.amdhsa_kernarg_size 112
		.amdhsa_user_sgpr_count 2
		.amdhsa_user_sgpr_dispatch_ptr 0
		.amdhsa_user_sgpr_queue_ptr 0
		.amdhsa_user_sgpr_kernarg_segment_ptr 1
		.amdhsa_user_sgpr_dispatch_id 0
		.amdhsa_user_sgpr_kernarg_preload_length 0
		.amdhsa_user_sgpr_kernarg_preload_offset 0
		.amdhsa_user_sgpr_private_segment_size 0
		.amdhsa_wavefront_size32 1
		.amdhsa_uses_dynamic_stack 0
		.amdhsa_enable_private_segment 0
		.amdhsa_system_sgpr_workgroup_id_x 1
		.amdhsa_system_sgpr_workgroup_id_y 0
		.amdhsa_system_sgpr_workgroup_id_z 0
		.amdhsa_system_sgpr_workgroup_info 0
		.amdhsa_system_vgpr_workitem_id 0
		.amdhsa_next_free_vgpr 66
		.amdhsa_next_free_sgpr 47
		.amdhsa_named_barrier_count 0
		.amdhsa_reserve_vcc 1
		.amdhsa_float_round_mode_32 0
		.amdhsa_float_round_mode_16_64 0
		.amdhsa_float_denorm_mode_32 3
		.amdhsa_float_denorm_mode_16_64 3
		.amdhsa_fp16_overflow 0
		.amdhsa_memory_ordered 1
		.amdhsa_forward_progress 1
		.amdhsa_inst_pref_size 25
		.amdhsa_round_robin_scheduling 0
		.amdhsa_exception_fp_ieee_invalid_op 0
		.amdhsa_exception_fp_denorm_src 0
		.amdhsa_exception_fp_ieee_div_zero 0
		.amdhsa_exception_fp_ieee_overflow 0
		.amdhsa_exception_fp_ieee_underflow 0
		.amdhsa_exception_fp_ieee_inexact 0
		.amdhsa_exception_int_div_zero 0
	.end_amdhsa_kernel
	.section	.text._ZN9rocsparseL42csr2bsr_wavefront_per_row_multipass_kernelILj256ELj32ELj16E21rocsparse_complex_numIfEilEEv20rocsparse_direction_T4_S4_S4_S4_S4_21rocsparse_index_base_PKT2_PKT3_PKS4_S5_PS6_PS9_PS4_,"axG",@progbits,_ZN9rocsparseL42csr2bsr_wavefront_per_row_multipass_kernelILj256ELj32ELj16E21rocsparse_complex_numIfEilEEv20rocsparse_direction_T4_S4_S4_S4_S4_21rocsparse_index_base_PKT2_PKT3_PKS4_S5_PS6_PS9_PS4_,comdat
.Lfunc_end95:
	.size	_ZN9rocsparseL42csr2bsr_wavefront_per_row_multipass_kernelILj256ELj32ELj16E21rocsparse_complex_numIfEilEEv20rocsparse_direction_T4_S4_S4_S4_S4_21rocsparse_index_base_PKT2_PKT3_PKS4_S5_PS6_PS9_PS4_, .Lfunc_end95-_ZN9rocsparseL42csr2bsr_wavefront_per_row_multipass_kernelILj256ELj32ELj16E21rocsparse_complex_numIfEilEEv20rocsparse_direction_T4_S4_S4_S4_S4_21rocsparse_index_base_PKT2_PKT3_PKS4_S5_PS6_PS9_PS4_
                                        ; -- End function
	.set _ZN9rocsparseL42csr2bsr_wavefront_per_row_multipass_kernelILj256ELj32ELj16E21rocsparse_complex_numIfEilEEv20rocsparse_direction_T4_S4_S4_S4_S4_21rocsparse_index_base_PKT2_PKT3_PKS4_S5_PS6_PS9_PS4_.num_vgpr, 66
	.set _ZN9rocsparseL42csr2bsr_wavefront_per_row_multipass_kernelILj256ELj32ELj16E21rocsparse_complex_numIfEilEEv20rocsparse_direction_T4_S4_S4_S4_S4_21rocsparse_index_base_PKT2_PKT3_PKS4_S5_PS6_PS9_PS4_.num_agpr, 0
	.set _ZN9rocsparseL42csr2bsr_wavefront_per_row_multipass_kernelILj256ELj32ELj16E21rocsparse_complex_numIfEilEEv20rocsparse_direction_T4_S4_S4_S4_S4_21rocsparse_index_base_PKT2_PKT3_PKS4_S5_PS6_PS9_PS4_.numbered_sgpr, 47
	.set _ZN9rocsparseL42csr2bsr_wavefront_per_row_multipass_kernelILj256ELj32ELj16E21rocsparse_complex_numIfEilEEv20rocsparse_direction_T4_S4_S4_S4_S4_21rocsparse_index_base_PKT2_PKT3_PKS4_S5_PS6_PS9_PS4_.num_named_barrier, 0
	.set _ZN9rocsparseL42csr2bsr_wavefront_per_row_multipass_kernelILj256ELj32ELj16E21rocsparse_complex_numIfEilEEv20rocsparse_direction_T4_S4_S4_S4_S4_21rocsparse_index_base_PKT2_PKT3_PKS4_S5_PS6_PS9_PS4_.private_seg_size, 0
	.set _ZN9rocsparseL42csr2bsr_wavefront_per_row_multipass_kernelILj256ELj32ELj16E21rocsparse_complex_numIfEilEEv20rocsparse_direction_T4_S4_S4_S4_S4_21rocsparse_index_base_PKT2_PKT3_PKS4_S5_PS6_PS9_PS4_.uses_vcc, 1
	.set _ZN9rocsparseL42csr2bsr_wavefront_per_row_multipass_kernelILj256ELj32ELj16E21rocsparse_complex_numIfEilEEv20rocsparse_direction_T4_S4_S4_S4_S4_21rocsparse_index_base_PKT2_PKT3_PKS4_S5_PS6_PS9_PS4_.uses_flat_scratch, 0
	.set _ZN9rocsparseL42csr2bsr_wavefront_per_row_multipass_kernelILj256ELj32ELj16E21rocsparse_complex_numIfEilEEv20rocsparse_direction_T4_S4_S4_S4_S4_21rocsparse_index_base_PKT2_PKT3_PKS4_S5_PS6_PS9_PS4_.has_dyn_sized_stack, 0
	.set _ZN9rocsparseL42csr2bsr_wavefront_per_row_multipass_kernelILj256ELj32ELj16E21rocsparse_complex_numIfEilEEv20rocsparse_direction_T4_S4_S4_S4_S4_21rocsparse_index_base_PKT2_PKT3_PKS4_S5_PS6_PS9_PS4_.has_recursion, 0
	.set _ZN9rocsparseL42csr2bsr_wavefront_per_row_multipass_kernelILj256ELj32ELj16E21rocsparse_complex_numIfEilEEv20rocsparse_direction_T4_S4_S4_S4_S4_21rocsparse_index_base_PKT2_PKT3_PKS4_S5_PS6_PS9_PS4_.has_indirect_call, 0
	.section	.AMDGPU.csdata,"",@progbits
; Kernel info:
; codeLenInByte = 3104
; TotalNumSgprs: 49
; NumVgprs: 66
; ScratchSize: 0
; MemoryBound: 0
; FloatMode: 240
; IeeeMode: 1
; LDSByteSize: 16392 bytes/workgroup (compile time only)
; SGPRBlocks: 0
; VGPRBlocks: 4
; NumSGPRsForWavesPerEU: 49
; NumVGPRsForWavesPerEU: 66
; NamedBarCnt: 0
; Occupancy: 12
; WaveLimiterHint : 0
; COMPUTE_PGM_RSRC2:SCRATCH_EN: 0
; COMPUTE_PGM_RSRC2:USER_SGPR: 2
; COMPUTE_PGM_RSRC2:TRAP_HANDLER: 0
; COMPUTE_PGM_RSRC2:TGID_X_EN: 1
; COMPUTE_PGM_RSRC2:TGID_Y_EN: 0
; COMPUTE_PGM_RSRC2:TGID_Z_EN: 0
; COMPUTE_PGM_RSRC2:TIDIG_COMP_CNT: 0
	.section	.text._ZN9rocsparseL38csr2bsr_block_per_row_multipass_kernelILj256ELj32E21rocsparse_complex_numIfEilEEv20rocsparse_direction_T3_S4_S4_S4_S4_21rocsparse_index_base_PKT1_PKT2_PKS4_S5_PS6_PS9_PS4_,"axG",@progbits,_ZN9rocsparseL38csr2bsr_block_per_row_multipass_kernelILj256ELj32E21rocsparse_complex_numIfEilEEv20rocsparse_direction_T3_S4_S4_S4_S4_21rocsparse_index_base_PKT1_PKT2_PKS4_S5_PS6_PS9_PS4_,comdat
	.globl	_ZN9rocsparseL38csr2bsr_block_per_row_multipass_kernelILj256ELj32E21rocsparse_complex_numIfEilEEv20rocsparse_direction_T3_S4_S4_S4_S4_21rocsparse_index_base_PKT1_PKT2_PKS4_S5_PS6_PS9_PS4_ ; -- Begin function _ZN9rocsparseL38csr2bsr_block_per_row_multipass_kernelILj256ELj32E21rocsparse_complex_numIfEilEEv20rocsparse_direction_T3_S4_S4_S4_S4_21rocsparse_index_base_PKT1_PKT2_PKS4_S5_PS6_PS9_PS4_
	.p2align	8
	.type	_ZN9rocsparseL38csr2bsr_block_per_row_multipass_kernelILj256ELj32E21rocsparse_complex_numIfEilEEv20rocsparse_direction_T3_S4_S4_S4_S4_21rocsparse_index_base_PKT1_PKT2_PKS4_S5_PS6_PS9_PS4_,@function
_ZN9rocsparseL38csr2bsr_block_per_row_multipass_kernelILj256ELj32E21rocsparse_complex_numIfEilEEv20rocsparse_direction_T3_S4_S4_S4_S4_21rocsparse_index_base_PKT1_PKT2_PKS4_S5_PS6_PS9_PS4_: ; @_ZN9rocsparseL38csr2bsr_block_per_row_multipass_kernelILj256ELj32E21rocsparse_complex_numIfEilEEv20rocsparse_direction_T3_S4_S4_S4_S4_21rocsparse_index_base_PKT1_PKT2_PKS4_S5_PS6_PS9_PS4_
; %bb.0:
	s_clause 0x1
	s_load_b128 s[12:15], s[0:1], 0x20
	s_load_b64 s[6:7], s[0:1], 0x8
	s_bfe_u32 s3, ttmp6, 0x4000c
	v_dual_mov_b32 v30, 0 :: v_dual_lshrrev_b32 v6, 3, v0
	s_add_co_i32 s3, s3, 1
	s_and_b32 s2, ttmp6, 15
	s_mul_i32 s3, ttmp9, s3
	s_getreg_b32 s4, hwreg(HW_REG_IB_STS2, 6, 4)
	v_dual_mov_b32 v7, v30 :: v_dual_mov_b32 v26, 0
	s_add_co_i32 s2, s2, s3
	s_cmp_eq_u32 s4, 0
	s_clause 0x1
	s_load_b32 s10, s[0:1], 0x30
	s_load_b64 s[4:5], s[0:1], 0x40
	s_cselect_b32 s2, ttmp9, s2
	s_delay_alu instid0(SALU_CYCLE_1)
	s_ashr_i32 s3, s2, 31
	s_wait_kmcnt 0x0
	v_mad_nc_u64_u32 v[2:3], s14, s2, v[6:7]
	s_mul_i32 s8, s14, s3
	s_mul_i32 s9, s15, s2
	s_delay_alu instid0(VALU_DEP_1) | instid1(SALU_CYCLE_1)
	v_add3_u32 v3, s8, s9, v3
	v_cmp_gt_i64_e64 s8, s[14:15], v[6:7]
	s_delay_alu instid0(VALU_DEP_2) | instskip(SKIP_1) | instid1(SALU_CYCLE_1)
	v_cmp_gt_i64_e32 vcc_lo, s[6:7], v[2:3]
	s_and_b32 s6, s8, vcc_lo
	s_and_saveexec_b32 s7, s6
	s_cbranch_execnz .LBB96_3
; %bb.1:
	s_or_b32 exec_lo, exec_lo, s7
	s_and_saveexec_b32 s7, s6
	s_cbranch_execnz .LBB96_4
.LBB96_2:
	s_or_b32 exec_lo, exec_lo, s7
	v_cmp_lt_i64_e64 s4, s[12:13], 1
	s_and_b32 vcc_lo, exec_lo, s4
	s_cbranch_vccz .LBB96_5
	s_branch .LBB96_57
.LBB96_3:
	v_lshl_add_u64 v[4:5], v[2:3], 2, s[4:5]
	global_load_b32 v1, v[4:5], off
	s_wait_loadcnt 0x0
	v_subrev_nc_u32_e32 v26, s10, v1
	s_or_b32 exec_lo, exec_lo, s7
	s_and_saveexec_b32 s7, s6
	s_cbranch_execz .LBB96_2
.LBB96_4:
	v_lshl_add_u64 v[2:3], v[2:3], 2, s[4:5]
	global_load_b32 v1, v[2:3], off offset:4
	s_wait_loadcnt 0x0
	v_subrev_nc_u32_e32 v30, s10, v1
	s_or_b32 exec_lo, exec_lo, s7
	v_cmp_lt_i64_e64 s4, s[12:13], 1
	s_and_b32 vcc_lo, exec_lo, s4
	s_cbranch_vccnz .LBB96_57
.LBB96_5:
	s_clause 0x1
	s_load_b128 s[4:7], s[0:1], 0x58
	s_load_b64 s[20:21], s[0:1], 0x68
	v_mbcnt_lo_u32_b32 v1, -1, 0
	v_mul_u64_e32 v[10:11], s[14:15], v[6:7]
	v_dual_lshlrev_b32 v8, 3, v6 :: v_dual_mov_b32 v2, 0
	v_dual_lshlrev_b32 v31, 8, v6 :: v_dual_bitop2_b32 v4, 7, v0 bitop3:0x40
	s_delay_alu instid0(VALU_DEP_4) | instskip(NEXT) | instid1(VALU_DEP_3)
	v_xor_b32_e32 v6, 4, v1
	v_dual_mov_b32 v19, v2 :: v_dual_bitop2_b32 v7, 2, v1 bitop3:0x14
	v_mov_b32_e32 v5, v2
	s_clause 0x2
	s_load_b96 s[16:18], s[0:1], 0x48
	s_load_b64 s[26:27], s[0:1], 0x38
	s_load_b32 s9, s[0:1], 0x0
	v_cmp_gt_i32_e32 vcc_lo, 32, v6
	s_wait_xcnt 0x0
	s_lshl_b64 s[0:1], s[2:3], 2
	v_dual_mov_b32 v21, v2 :: v_dual_bitop2_b32 v12, 1, v1 bitop3:0x14
	v_dual_cndmask_b32 v6, v1, v6, vcc_lo :: v_dual_bitop2_b32 v22, 16, v4 bitop3:0x54
	v_cmp_gt_i32_e32 vcc_lo, 32, v7
	s_wait_kmcnt 0x0
	s_add_nc_u64 s[0:1], s[6:7], s[0:1]
	v_cvt_f32_u32_e32 v3, s14
	s_load_b32 s0, s[0:1], 0x0
	v_lshl_or_b32 v32, v1, 2, 28
	v_cndmask_b32_e32 v7, v1, v7, vcc_lo
	v_cmp_gt_i32_e32 vcc_lo, 32, v12
	v_rcp_iflag_f32_e32 v3, v3
	v_dual_mov_b32 v9, v2 :: v_dual_lshlrev_b32 v18, 3, v4
	v_dual_mov_b32 v23, v2 :: v_dual_bitop2_b32 v20, 8, v4 bitop3:0x54
	v_cndmask_b32_e32 v1, v1, v12, vcc_lo
	v_dual_lshlrev_b32 v33, 2, v6 :: v_dual_bitop2_b32 v24, 24, v4 bitop3:0x54
	v_dual_mov_b32 v25, v2 :: v_dual_lshlrev_b32 v34, 2, v7
	s_delay_alu instid0(VALU_DEP_3)
	v_dual_mov_b32 v37, 1 :: v_dual_lshlrev_b32 v35, 2, v1
	v_dual_mul_f32 v1, 0x4f7ffffe, v3 :: v_dual_lshlrev_b32 v36, 3, v0
	v_add_nc_u64_e32 v[6:7], s[4:5], v[8:9]
	v_lshl_add_u64 v[16:17], v[10:11], 3, s[4:5]
	s_wait_kmcnt 0x0
	s_sub_co_i32 s28, s0, s18
	v_mul_u64_e32 v[8:9], s[14:15], v[4:5]
	v_mul_u64_e32 v[10:11], s[14:15], v[20:21]
	;; [unrolled: 1-line block ×3, first 2 shown]
	v_cvt_u32_f32_e32 v3, v1
	v_mul_u64_e32 v[14:15], s[14:15], v[24:25]
	s_cmp_lg_u32 s9, 0
	v_add_nc_u64_e32 v[16:17], v[16:17], v[18:19]
	s_cselect_b32 s19, -1, 0
	s_sub_co_i32 s0, 0, s14
	v_cmp_gt_i64_e32 vcc_lo, s[14:15], v[4:5]
	v_mul_lo_u32 v1, s0, v3
	v_cmp_gt_i64_e64 s9, s[14:15], v[20:21]
	v_cmp_gt_u32_e64 s0, 0x80, v0
	v_cmp_gt_u32_e64 s1, 64, v0
	;; [unrolled: 1-line block ×4, first 2 shown]
	s_and_b32 s33, s8, vcc_lo
	v_cmp_gt_i64_e32 vcc_lo, s[14:15], v[22:23]
	s_and_b32 s38, s8, s9
	v_cmp_gt_i64_e64 s9, s[14:15], v[24:25]
	v_cmp_gt_u32_e64 s4, 8, v0
	v_mul_hi_u32 v19, v3, v1
	v_cmp_gt_u32_e64 s5, 4, v0
	v_cmp_gt_u32_e64 s6, 2, v0
	v_cmp_eq_u32_e64 s7, 0, v0
	v_mov_b64_e32 v[20:21], 0
	v_mov_b64_e32 v[0:1], 0
	v_dual_add_nc_u32 v5, v18, v31 :: v_dual_mov_b32 v39, 0
	s_mov_b32 s25, 0
	s_mul_u64 s[22:23], s[14:15], s[14:15]
	s_mov_b32 s11, s25
	v_add_nc_u32_e32 v38, v3, v19
	s_mov_b64 s[30:31], 0xffffffff
	s_and_b32 s39, s8, vcc_lo
	s_and_b32 s9, s8, s9
	s_ashr_i32 s34, s15, 31
	s_branch .LBB96_7
.LBB96_6:                               ;   in Loop: Header=BB96_7 Depth=1
	s_or_b32 exec_lo, exec_lo, s24
	s_wait_dscnt 0x0
	s_barrier_signal -1
	s_barrier_wait -1
	ds_load_b64 v[20:21], v2
	s_add_co_i32 s28, s8, s28
	s_wait_dscnt 0x0
	s_barrier_signal -1
	s_barrier_wait -1
	v_dual_ashrrev_i32 v21, 31, v20 :: v_dual_mov_b32 v39, v20
	s_delay_alu instid0(VALU_DEP_1)
	v_cmp_gt_i64_e32 vcc_lo, s[12:13], v[20:21]
	s_cbranch_vccz .LBB96_57
.LBB96_7:                               ; =>This Loop Header: Depth=1
                                        ;     Child Loop BB96_10 Depth 2
	v_mov_b64_e32 v[18:19], s[12:13]
	v_add_nc_u32_e32 v22, v26, v4
	v_mov_b32_e32 v3, v30
	s_mov_b32 s29, exec_lo
	ds_store_b8 v2, v2 offset:8192
	ds_store_2addr_b64 v5, v[0:1], v[0:1] offset1:8
	ds_store_2addr_b64 v5, v[0:1], v[0:1] offset0:16 offset1:24
	s_wait_dscnt 0x0
	s_barrier_signal -1
	s_barrier_wait -1
	v_cmpx_lt_i32_e64 v22, v30
	s_cbranch_execz .LBB96_19
; %bb.8:                                ;   in Loop: Header=BB96_7 Depth=1
	v_mul_u64_e32 v[24:25], s[14:15], v[20:21]
	v_mov_b64_e32 v[18:19], s[12:13]
	v_mov_b32_e32 v25, v30
	s_mov_b32 s40, 0
	s_branch .LBB96_10
.LBB96_9:                               ;   in Loop: Header=BB96_10 Depth=2
	s_wait_xcnt 0x0
	s_or_b32 exec_lo, exec_lo, s8
	v_dual_mov_b32 v25, v3 :: v_dual_add_nc_u32 v22, 8, v22
	s_xor_b32 s24, vcc_lo, -1
	s_delay_alu instid0(VALU_DEP_1) | instskip(SKIP_1) | instid1(SALU_CYCLE_1)
	v_cmp_ge_i32_e64 s8, v22, v30
	s_or_b32 s8, s24, s8
	s_and_b32 s8, exec_lo, s8
	s_delay_alu instid0(SALU_CYCLE_1) | instskip(NEXT) | instid1(SALU_CYCLE_1)
	s_or_b32 s40, s8, s40
	s_and_not1_b32 exec_lo, exec_lo, s40
	s_cbranch_execz .LBB96_18
.LBB96_10:                              ;   Parent Loop BB96_7 Depth=1
                                        ; =>  This Inner Loop Header: Depth=2
	global_load_b64 v[26:27], v22, s[16:17] scale_offset
                                        ; implicit-def: $vgpr28_vgpr29
	s_mov_b32 s8, exec_lo
	s_wait_loadcnt 0x0
	v_sub_nc_u64_e64 v[26:27], v[26:27], s[10:11]
	s_delay_alu instid0(VALU_DEP_1) | instskip(SKIP_1) | instid1(VALU_DEP_1)
	v_or_b32_e32 v3, s15, v27
	s_wait_xcnt 0x0
	v_cmpx_ne_u64_e32 0, v[2:3]
	s_xor_b32 s41, exec_lo, s8
	s_cbranch_execz .LBB96_12
; %bb.11:                               ;   in Loop: Header=BB96_10 Depth=2
	s_mov_b32 s35, s34
	v_dual_mov_b32 v43, v2 :: v_dual_ashrrev_i32 v28, 31, v27
	s_add_nc_u64 s[36:37], s[14:15], s[34:35]
	v_mov_b32_e32 v47, v2
	s_xor_b64 s[36:37], s[36:37], s[34:35]
	s_delay_alu instid0(VALU_DEP_2)
	v_mov_b32_e32 v29, v28
	s_cvt_f32_u32 s8, s36
	s_cvt_f32_u32 s24, s37
	s_sub_nc_u64 s[44:45], 0, s[36:37]
	v_mov_b32_e32 v51, v2
	v_add_nc_u64_e32 v[40:41], v[26:27], v[28:29]
	s_fmamk_f32 s8, s24, 0x4f800000, s8
	s_delay_alu instid0(SALU_CYCLE_3) | instskip(NEXT) | instid1(VALU_DEP_1)
	v_s_rcp_f32 s8, s8
	v_xor_b32_e32 v42, v40, v28
	s_delay_alu instid0(VALU_DEP_2) | instskip(NEXT) | instid1(TRANS32_DEP_1)
	v_xor_b32_e32 v46, v41, v28
	s_mul_f32 s8, s8, 0x5f7ffffc
	s_delay_alu instid0(SALU_CYCLE_3) | instskip(NEXT) | instid1(SALU_CYCLE_3)
	s_mul_f32 s24, s8, 0x2f800000
	s_trunc_f32 s24, s24
	s_delay_alu instid0(SALU_CYCLE_3) | instskip(SKIP_1) | instid1(SALU_CYCLE_2)
	s_fmamk_f32 s8, s24, 0xcf800000, s8
	s_cvt_u32_f32 s43, s24
	s_cvt_u32_f32 s42, s8
	s_delay_alu instid0(SALU_CYCLE_3) | instskip(NEXT) | instid1(SALU_CYCLE_1)
	s_mul_u64 s[46:47], s[44:45], s[42:43]
	s_mul_hi_u32 s49, s42, s47
	s_mul_i32 s48, s42, s47
	s_mul_hi_u32 s24, s42, s46
	s_mul_i32 s35, s43, s46
	s_add_nc_u64 s[48:49], s[24:25], s[48:49]
	s_mul_hi_u32 s8, s43, s46
	s_mul_hi_u32 s50, s43, s47
	s_add_co_u32 s24, s48, s35
	s_add_co_ci_u32 s24, s49, s8
	s_mul_i32 s46, s43, s47
	s_add_co_ci_u32 s47, s50, 0
	s_delay_alu instid0(SALU_CYCLE_1) | instskip(NEXT) | instid1(SALU_CYCLE_1)
	s_add_nc_u64 s[46:47], s[24:25], s[46:47]
	s_add_co_u32 s42, s42, s46
	s_cselect_b32 s8, -1, 0
	s_delay_alu instid0(SALU_CYCLE_1) | instskip(SKIP_1) | instid1(SALU_CYCLE_1)
	s_cmp_lg_u32 s8, 0
	s_add_co_ci_u32 s43, s43, s47
	s_mul_u64 s[44:45], s[44:45], s[42:43]
	s_delay_alu instid0(SALU_CYCLE_1)
	s_mul_hi_u32 s47, s42, s45
	s_mul_i32 s46, s42, s45
	s_mul_hi_u32 s24, s42, s44
	s_mul_i32 s35, s43, s44
	s_add_nc_u64 s[46:47], s[24:25], s[46:47]
	s_mul_hi_u32 s8, s43, s44
	s_mul_hi_u32 s48, s43, s45
	s_add_co_u32 s24, s46, s35
	s_add_co_ci_u32 s24, s47, s8
	s_mul_i32 s44, s43, s45
	s_add_co_ci_u32 s45, s48, 0
	s_delay_alu instid0(SALU_CYCLE_1) | instskip(NEXT) | instid1(SALU_CYCLE_1)
	s_add_nc_u64 s[44:45], s[24:25], s[44:45]
	s_add_co_u32 s8, s42, s44
	s_cselect_b32 s24, -1, 0
	v_mul_hi_u32 v50, v42, s8
	s_cmp_lg_u32 s24, 0
	s_add_co_ci_u32 s24, s43, s45
	s_and_b64 s[42:43], s[8:9], s[30:31]
	v_mul_u64_e32 v[44:45], s[24:25], v[42:43]
	v_mul_u64_e32 v[40:41], s[42:43], v[46:47]
	;; [unrolled: 1-line block ×3, first 2 shown]
	s_delay_alu instid0(VALU_DEP_3) | instskip(NEXT) | instid1(VALU_DEP_1)
	v_add_nc_u64_e32 v[44:45], v[50:51], v[44:45]
	v_add_co_u32 v3, vcc_lo, v44, v40
	s_delay_alu instid0(VALU_DEP_2) | instskip(NEXT) | instid1(VALU_DEP_4)
	v_add_co_ci_u32_e32 v50, vcc_lo, v45, v41, vcc_lo
	v_add_co_ci_u32_e32 v49, vcc_lo, 0, v49, vcc_lo
	s_delay_alu instid0(VALU_DEP_1) | instskip(NEXT) | instid1(VALU_DEP_1)
	v_add_nc_u64_e32 v[40:41], v[50:51], v[48:49]
	v_mul_u64_e32 v[44:45], s[36:37], v[40:41]
	s_delay_alu instid0(VALU_DEP_1) | instskip(NEXT) | instid1(VALU_DEP_2)
	v_sub_nc_u32_e32 v3, v46, v45
	v_sub_co_u32 v23, vcc_lo, v42, v44
	s_delay_alu instid0(VALU_DEP_1) | instskip(NEXT) | instid1(VALU_DEP_3)
	v_sub_co_ci_u32_e64 v29, null, v46, v45, vcc_lo
	v_subrev_co_ci_u32_e64 v3, null, s37, v3, vcc_lo
	s_delay_alu instid0(VALU_DEP_3) | instskip(SKIP_1) | instid1(VALU_DEP_3)
	v_sub_co_u32 v27, s8, v23, s36
	v_add_nc_u64_e32 v[44:45], 1, v[40:41]
	v_subrev_co_ci_u32_e64 v3, null, 0, v3, s8
	s_delay_alu instid0(VALU_DEP_3) | instskip(SKIP_1) | instid1(VALU_DEP_3)
	v_cmp_le_u32_e32 vcc_lo, s36, v27
	v_cndmask_b32_e64 v27, 0, -1, vcc_lo
	v_cmp_le_u32_e32 vcc_lo, s37, v3
	v_cndmask_b32_e64 v42, 0, -1, vcc_lo
	;; [unrolled: 2-line block ×4, first 2 shown]
	v_cmp_eq_u32_e32 vcc_lo, s37, v3
	v_cndmask_b32_e32 v3, v42, v27, vcc_lo
	v_cmp_eq_u32_e32 vcc_lo, s37, v29
	v_add_nc_u64_e32 v[42:43], 2, v[40:41]
	v_cndmask_b32_e32 v23, v46, v23, vcc_lo
	s_delay_alu instid0(VALU_DEP_4) | instskip(NEXT) | instid1(VALU_DEP_2)
	v_cmp_ne_u32_e32 vcc_lo, 0, v3
	v_cmp_ne_u32_e64 s8, 0, v23
	s_delay_alu instid0(VALU_DEP_4) | instskip(NEXT) | instid1(VALU_DEP_1)
	v_dual_cndmask_b32 v3, v45, v43, vcc_lo :: v_dual_cndmask_b32 v23, v44, v42, vcc_lo
	v_dual_cndmask_b32 v3, v41, v3, s8 :: v_dual_bitop2_b32 v28, s34, v28 bitop3:0x14
	s_delay_alu instid0(VALU_DEP_1) | instskip(NEXT) | instid1(VALU_DEP_1)
	v_dual_cndmask_b32 v23, v40, v23, s8 :: v_dual_bitop2_b32 v41, v3, v28 bitop3:0x14
	v_dual_mov_b32 v29, v28 :: v_dual_bitop2_b32 v40, v23, v28 bitop3:0x14
	s_delay_alu instid0(VALU_DEP_1)
	v_sub_nc_u64_e32 v[28:29], v[40:41], v[28:29]
.LBB96_12:                              ;   in Loop: Header=BB96_10 Depth=2
	s_and_not1_saveexec_b32 s8, s41
	s_cbranch_execz .LBB96_14
; %bb.13:                               ;   in Loop: Header=BB96_10 Depth=2
	v_mul_hi_u32 v3, v26, v38
	v_mov_b32_e32 v29, v2
	s_delay_alu instid0(VALU_DEP_2) | instskip(NEXT) | instid1(VALU_DEP_1)
	v_mul_lo_u32 v23, v3, s14
	v_sub_nc_u32_e32 v23, v26, v23
	s_delay_alu instid0(VALU_DEP_1) | instskip(SKIP_1) | instid1(VALU_DEP_2)
	v_subrev_nc_u32_e32 v28, s14, v23
	v_cmp_le_u32_e32 vcc_lo, s14, v23
	v_dual_add_nc_u32 v27, 1, v3 :: v_dual_cndmask_b32 v23, v23, v28, vcc_lo
	s_delay_alu instid0(VALU_DEP_1) | instskip(NEXT) | instid1(VALU_DEP_2)
	v_cndmask_b32_e32 v3, v3, v27, vcc_lo
	v_cmp_le_u32_e32 vcc_lo, s14, v23
	s_delay_alu instid0(VALU_DEP_2) | instskip(NEXT) | instid1(VALU_DEP_1)
	v_add_nc_u32_e32 v27, 1, v3
	v_cndmask_b32_e32 v28, v3, v27, vcc_lo
.LBB96_14:                              ;   in Loop: Header=BB96_10 Depth=2
	s_or_b32 exec_lo, exec_lo, s8
	s_delay_alu instid0(VALU_DEP_1) | instskip(SKIP_2) | instid1(SALU_CYCLE_1)
	v_cmp_ne_u64_e64 s8, v[28:29], v[20:21]
	v_cmp_eq_u64_e32 vcc_lo, v[28:29], v[20:21]
	s_and_saveexec_b32 s24, s8
	s_xor_b32 s8, exec_lo, s24
; %bb.15:                               ;   in Loop: Header=BB96_10 Depth=2
	v_min_i64 v[18:19], v[28:29], v[18:19]
                                        ; implicit-def: $vgpr26_vgpr27
                                        ; implicit-def: $vgpr25
; %bb.16:                               ;   in Loop: Header=BB96_10 Depth=2
	s_or_saveexec_b32 s8, s8
	v_mov_b32_e32 v3, v22
	s_xor_b32 exec_lo, exec_lo, s8
	s_cbranch_execz .LBB96_9
; %bb.17:                               ;   in Loop: Header=BB96_10 Depth=2
	v_dual_ashrrev_i32 v23, 31, v22 :: v_dual_sub_nc_u32 v3, v26, v24
	s_delay_alu instid0(VALU_DEP_1) | instskip(NEXT) | instid1(VALU_DEP_2)
	v_lshl_add_u64 v[28:29], v[22:23], 3, s[26:27]
	v_lshl_add_u32 v23, v3, 3, v31
	v_mov_b32_e32 v3, v25
	global_load_b64 v[28:29], v[28:29], off
	ds_store_b8 v2, v37 offset:8192
	s_wait_loadcnt 0x0
	ds_store_b64 v23, v[28:29]
	s_branch .LBB96_9
.LBB96_18:                              ;   in Loop: Header=BB96_7 Depth=1
	s_or_b32 exec_lo, exec_lo, s40
.LBB96_19:                              ;   in Loop: Header=BB96_7 Depth=1
	s_delay_alu instid0(SALU_CYCLE_1)
	s_or_b32 exec_lo, exec_lo, s29
	ds_bpermute_b32 v20, v33, v3
	s_wait_dscnt 0x0
	s_barrier_signal -1
	s_barrier_wait -1
	ds_load_u8 v21, v2 offset:8192
	s_mov_b32 s8, 0
	v_min_i32_e32 v3, v20, v3
	ds_bpermute_b32 v20, v34, v3
	s_wait_dscnt 0x0
	v_min_i32_e32 v3, v20, v3
	ds_bpermute_b32 v20, v35, v3
	s_wait_dscnt 0x0
	v_min_i32_e32 v3, v20, v3
	ds_bpermute_b32 v26, v32, v3
	v_and_b32_e32 v3, 1, v21
	s_delay_alu instid0(VALU_DEP_1)
	v_cmp_eq_u32_e32 vcc_lo, 0, v3
	s_cbranch_vccnz .LBB96_37
; %bb.20:                               ;   in Loop: Header=BB96_7 Depth=1
	s_ashr_i32 s29, s28, 31
	v_dual_mov_b32 v3, s28 :: v_dual_add_nc_u32 v24, s18, v39
	s_mul_u64 s[36:37], s[22:23], s[28:29]
	s_delay_alu instid0(SALU_CYCLE_1) | instskip(NEXT) | instid1(VALU_DEP_1)
	s_lshl_b64 s[36:37], s[36:37], 3
	v_ashrrev_i32_e32 v25, 31, v24
	v_add_nc_u64_e32 v[22:23], s[36:37], v[6:7]
	v_add_nc_u64_e32 v[20:21], s[36:37], v[16:17]
	global_store_b64 v3, v[24:25], s[20:21] scale_offset
	s_wait_xcnt 0x0
	s_and_saveexec_b32 s8, s33
	s_cbranch_execz .LBB96_24
; %bb.21:                               ;   in Loop: Header=BB96_7 Depth=1
	s_and_b32 vcc_lo, exec_lo, s19
	s_cbranch_vccz .LBB96_53
; %bb.22:                               ;   in Loop: Header=BB96_7 Depth=1
	ds_load_b64 v[24:25], v5
	v_lshl_add_u64 v[28:29], v[8:9], 3, v[22:23]
	s_wait_dscnt 0x0
	global_store_b64 v[28:29], v[24:25], off
	s_cbranch_execnz .LBB96_24
.LBB96_23:                              ;   in Loop: Header=BB96_7 Depth=1
	s_wait_xcnt 0x0
	ds_load_b64 v[24:25], v5
	s_wait_dscnt 0x0
	global_store_b64 v[20:21], v[24:25], off
.LBB96_24:                              ;   in Loop: Header=BB96_7 Depth=1
	s_wait_xcnt 0x0
	s_or_b32 exec_lo, exec_lo, s8
	s_and_saveexec_b32 s8, s38
	s_cbranch_execz .LBB96_28
; %bb.25:                               ;   in Loop: Header=BB96_7 Depth=1
	ds_load_b64 v[24:25], v5 offset:64
	s_and_not1_b32 vcc_lo, exec_lo, s19
	s_cbranch_vccnz .LBB96_54
; %bb.26:                               ;   in Loop: Header=BB96_7 Depth=1
	v_lshl_add_u64 v[28:29], v[10:11], 3, v[22:23]
	s_wait_dscnt 0x0
	global_store_b64 v[28:29], v[24:25], off
	s_cbranch_execnz .LBB96_28
.LBB96_27:                              ;   in Loop: Header=BB96_7 Depth=1
	s_wait_dscnt 0x0
	global_store_b64 v[20:21], v[24:25], off offset:64
.LBB96_28:                              ;   in Loop: Header=BB96_7 Depth=1
	s_wait_xcnt 0x0
	s_or_b32 exec_lo, exec_lo, s8
	s_and_saveexec_b32 s8, s39
	s_cbranch_execz .LBB96_32
; %bb.29:                               ;   in Loop: Header=BB96_7 Depth=1
	s_wait_dscnt 0x0
	ds_load_b64 v[24:25], v5 offset:128
	s_and_not1_b32 vcc_lo, exec_lo, s19
	s_cbranch_vccnz .LBB96_55
; %bb.30:                               ;   in Loop: Header=BB96_7 Depth=1
	v_lshl_add_u64 v[28:29], v[12:13], 3, v[22:23]
	s_wait_dscnt 0x0
	global_store_b64 v[28:29], v[24:25], off
	s_cbranch_execnz .LBB96_32
.LBB96_31:                              ;   in Loop: Header=BB96_7 Depth=1
	s_wait_dscnt 0x0
	global_store_b64 v[20:21], v[24:25], off offset:128
.LBB96_32:                              ;   in Loop: Header=BB96_7 Depth=1
	s_wait_xcnt 0x0
	s_or_b32 exec_lo, exec_lo, s8
	s_and_saveexec_b32 s8, s9
	s_cbranch_execz .LBB96_36
; %bb.33:                               ;   in Loop: Header=BB96_7 Depth=1
	s_wait_dscnt 0x0
	ds_load_b64 v[24:25], v5 offset:192
	s_and_not1_b32 vcc_lo, exec_lo, s19
	s_cbranch_vccnz .LBB96_56
; %bb.34:                               ;   in Loop: Header=BB96_7 Depth=1
	v_lshl_add_u64 v[22:23], v[14:15], 3, v[22:23]
	s_wait_dscnt 0x0
	global_store_b64 v[22:23], v[24:25], off
	s_cbranch_execnz .LBB96_36
.LBB96_35:                              ;   in Loop: Header=BB96_7 Depth=1
	s_wait_dscnt 0x0
	global_store_b64 v[20:21], v[24:25], off offset:192
.LBB96_36:                              ;   in Loop: Header=BB96_7 Depth=1
	s_wait_xcnt 0x0
	s_or_b32 exec_lo, exec_lo, s8
	s_mov_b32 s8, 1
.LBB96_37:                              ;   in Loop: Header=BB96_7 Depth=1
	s_wait_storecnt_dscnt 0x0
	s_barrier_signal -1
	s_barrier_wait -1
	ds_store_b64 v36, v[18:19]
	s_wait_dscnt 0x0
	s_barrier_signal -1
	s_barrier_wait -1
	s_and_saveexec_b32 s24, s0
	s_cbranch_execz .LBB96_39
; %bb.38:                               ;   in Loop: Header=BB96_7 Depth=1
	ds_load_2addr_stride64_b64 v[18:21], v36 offset1:2
	s_wait_dscnt 0x0
	v_min_i64 v[18:19], v[20:21], v[18:19]
	ds_store_b64 v36, v[18:19]
.LBB96_39:                              ;   in Loop: Header=BB96_7 Depth=1
	s_or_b32 exec_lo, exec_lo, s24
	s_wait_dscnt 0x0
	s_barrier_signal -1
	s_barrier_wait -1
	s_and_saveexec_b32 s24, s1
	s_cbranch_execz .LBB96_41
; %bb.40:                               ;   in Loop: Header=BB96_7 Depth=1
	ds_load_2addr_stride64_b64 v[18:21], v36 offset1:1
	s_wait_dscnt 0x0
	v_min_i64 v[18:19], v[20:21], v[18:19]
	ds_store_b64 v36, v[18:19]
.LBB96_41:                              ;   in Loop: Header=BB96_7 Depth=1
	s_or_b32 exec_lo, exec_lo, s24
	s_wait_dscnt 0x0
	s_barrier_signal -1
	s_barrier_wait -1
	s_and_saveexec_b32 s24, s2
	s_cbranch_execz .LBB96_43
; %bb.42:                               ;   in Loop: Header=BB96_7 Depth=1
	ds_load_2addr_b64 v[18:21], v36 offset1:32
	s_wait_dscnt 0x0
	v_min_i64 v[18:19], v[20:21], v[18:19]
	ds_store_b64 v36, v[18:19]
.LBB96_43:                              ;   in Loop: Header=BB96_7 Depth=1
	s_or_b32 exec_lo, exec_lo, s24
	s_wait_dscnt 0x0
	s_barrier_signal -1
	s_barrier_wait -1
	s_and_saveexec_b32 s24, s3
	s_cbranch_execz .LBB96_45
; %bb.44:                               ;   in Loop: Header=BB96_7 Depth=1
	ds_load_2addr_b64 v[18:21], v36 offset1:16
	s_wait_dscnt 0x0
	v_min_i64 v[18:19], v[20:21], v[18:19]
	ds_store_b64 v36, v[18:19]
.LBB96_45:                              ;   in Loop: Header=BB96_7 Depth=1
	;; [unrolled: 12-line block ×5, first 2 shown]
	s_or_b32 exec_lo, exec_lo, s24
	s_wait_dscnt 0x0
	s_barrier_signal -1
	s_barrier_wait -1
	s_and_saveexec_b32 s24, s7
	s_cbranch_execz .LBB96_6
; %bb.52:                               ;   in Loop: Header=BB96_7 Depth=1
	ds_load_b128 v[18:21], v2
	s_wait_dscnt 0x0
	v_min_i64 v[18:19], v[20:21], v[18:19]
	ds_store_b64 v2, v[18:19]
	s_branch .LBB96_6
.LBB96_53:                              ;   in Loop: Header=BB96_7 Depth=1
	s_branch .LBB96_23
.LBB96_54:                              ;   in Loop: Header=BB96_7 Depth=1
	s_branch .LBB96_27
.LBB96_55:                              ;   in Loop: Header=BB96_7 Depth=1
	s_branch .LBB96_31
.LBB96_56:                              ;   in Loop: Header=BB96_7 Depth=1
	s_branch .LBB96_35
.LBB96_57:
	s_endpgm
	.section	.rodata,"a",@progbits
	.p2align	6, 0x0
	.amdhsa_kernel _ZN9rocsparseL38csr2bsr_block_per_row_multipass_kernelILj256ELj32E21rocsparse_complex_numIfEilEEv20rocsparse_direction_T3_S4_S4_S4_S4_21rocsparse_index_base_PKT1_PKT2_PKS4_S5_PS6_PS9_PS4_
		.amdhsa_group_segment_fixed_size 8196
		.amdhsa_private_segment_fixed_size 0
		.amdhsa_kernarg_size 112
		.amdhsa_user_sgpr_count 2
		.amdhsa_user_sgpr_dispatch_ptr 0
		.amdhsa_user_sgpr_queue_ptr 0
		.amdhsa_user_sgpr_kernarg_segment_ptr 1
		.amdhsa_user_sgpr_dispatch_id 0
		.amdhsa_user_sgpr_kernarg_preload_length 0
		.amdhsa_user_sgpr_kernarg_preload_offset 0
		.amdhsa_user_sgpr_private_segment_size 0
		.amdhsa_wavefront_size32 1
		.amdhsa_uses_dynamic_stack 0
		.amdhsa_enable_private_segment 0
		.amdhsa_system_sgpr_workgroup_id_x 1
		.amdhsa_system_sgpr_workgroup_id_y 0
		.amdhsa_system_sgpr_workgroup_id_z 0
		.amdhsa_system_sgpr_workgroup_info 0
		.amdhsa_system_vgpr_workitem_id 0
		.amdhsa_next_free_vgpr 52
		.amdhsa_next_free_sgpr 51
		.amdhsa_named_barrier_count 0
		.amdhsa_reserve_vcc 1
		.amdhsa_float_round_mode_32 0
		.amdhsa_float_round_mode_16_64 0
		.amdhsa_float_denorm_mode_32 3
		.amdhsa_float_denorm_mode_16_64 3
		.amdhsa_fp16_overflow 0
		.amdhsa_memory_ordered 1
		.amdhsa_forward_progress 1
		.amdhsa_inst_pref_size 22
		.amdhsa_round_robin_scheduling 0
		.amdhsa_exception_fp_ieee_invalid_op 0
		.amdhsa_exception_fp_denorm_src 0
		.amdhsa_exception_fp_ieee_div_zero 0
		.amdhsa_exception_fp_ieee_overflow 0
		.amdhsa_exception_fp_ieee_underflow 0
		.amdhsa_exception_fp_ieee_inexact 0
		.amdhsa_exception_int_div_zero 0
	.end_amdhsa_kernel
	.section	.text._ZN9rocsparseL38csr2bsr_block_per_row_multipass_kernelILj256ELj32E21rocsparse_complex_numIfEilEEv20rocsparse_direction_T3_S4_S4_S4_S4_21rocsparse_index_base_PKT1_PKT2_PKS4_S5_PS6_PS9_PS4_,"axG",@progbits,_ZN9rocsparseL38csr2bsr_block_per_row_multipass_kernelILj256ELj32E21rocsparse_complex_numIfEilEEv20rocsparse_direction_T3_S4_S4_S4_S4_21rocsparse_index_base_PKT1_PKT2_PKS4_S5_PS6_PS9_PS4_,comdat
.Lfunc_end96:
	.size	_ZN9rocsparseL38csr2bsr_block_per_row_multipass_kernelILj256ELj32E21rocsparse_complex_numIfEilEEv20rocsparse_direction_T3_S4_S4_S4_S4_21rocsparse_index_base_PKT1_PKT2_PKS4_S5_PS6_PS9_PS4_, .Lfunc_end96-_ZN9rocsparseL38csr2bsr_block_per_row_multipass_kernelILj256ELj32E21rocsparse_complex_numIfEilEEv20rocsparse_direction_T3_S4_S4_S4_S4_21rocsparse_index_base_PKT1_PKT2_PKS4_S5_PS6_PS9_PS4_
                                        ; -- End function
	.set _ZN9rocsparseL38csr2bsr_block_per_row_multipass_kernelILj256ELj32E21rocsparse_complex_numIfEilEEv20rocsparse_direction_T3_S4_S4_S4_S4_21rocsparse_index_base_PKT1_PKT2_PKS4_S5_PS6_PS9_PS4_.num_vgpr, 52
	.set _ZN9rocsparseL38csr2bsr_block_per_row_multipass_kernelILj256ELj32E21rocsparse_complex_numIfEilEEv20rocsparse_direction_T3_S4_S4_S4_S4_21rocsparse_index_base_PKT1_PKT2_PKS4_S5_PS6_PS9_PS4_.num_agpr, 0
	.set _ZN9rocsparseL38csr2bsr_block_per_row_multipass_kernelILj256ELj32E21rocsparse_complex_numIfEilEEv20rocsparse_direction_T3_S4_S4_S4_S4_21rocsparse_index_base_PKT1_PKT2_PKS4_S5_PS6_PS9_PS4_.numbered_sgpr, 51
	.set _ZN9rocsparseL38csr2bsr_block_per_row_multipass_kernelILj256ELj32E21rocsparse_complex_numIfEilEEv20rocsparse_direction_T3_S4_S4_S4_S4_21rocsparse_index_base_PKT1_PKT2_PKS4_S5_PS6_PS9_PS4_.num_named_barrier, 0
	.set _ZN9rocsparseL38csr2bsr_block_per_row_multipass_kernelILj256ELj32E21rocsparse_complex_numIfEilEEv20rocsparse_direction_T3_S4_S4_S4_S4_21rocsparse_index_base_PKT1_PKT2_PKS4_S5_PS6_PS9_PS4_.private_seg_size, 0
	.set _ZN9rocsparseL38csr2bsr_block_per_row_multipass_kernelILj256ELj32E21rocsparse_complex_numIfEilEEv20rocsparse_direction_T3_S4_S4_S4_S4_21rocsparse_index_base_PKT1_PKT2_PKS4_S5_PS6_PS9_PS4_.uses_vcc, 1
	.set _ZN9rocsparseL38csr2bsr_block_per_row_multipass_kernelILj256ELj32E21rocsparse_complex_numIfEilEEv20rocsparse_direction_T3_S4_S4_S4_S4_21rocsparse_index_base_PKT1_PKT2_PKS4_S5_PS6_PS9_PS4_.uses_flat_scratch, 0
	.set _ZN9rocsparseL38csr2bsr_block_per_row_multipass_kernelILj256ELj32E21rocsparse_complex_numIfEilEEv20rocsparse_direction_T3_S4_S4_S4_S4_21rocsparse_index_base_PKT1_PKT2_PKS4_S5_PS6_PS9_PS4_.has_dyn_sized_stack, 0
	.set _ZN9rocsparseL38csr2bsr_block_per_row_multipass_kernelILj256ELj32E21rocsparse_complex_numIfEilEEv20rocsparse_direction_T3_S4_S4_S4_S4_21rocsparse_index_base_PKT1_PKT2_PKS4_S5_PS6_PS9_PS4_.has_recursion, 0
	.set _ZN9rocsparseL38csr2bsr_block_per_row_multipass_kernelILj256ELj32E21rocsparse_complex_numIfEilEEv20rocsparse_direction_T3_S4_S4_S4_S4_21rocsparse_index_base_PKT1_PKT2_PKS4_S5_PS6_PS9_PS4_.has_indirect_call, 0
	.section	.AMDGPU.csdata,"",@progbits
; Kernel info:
; codeLenInByte = 2744
; TotalNumSgprs: 53
; NumVgprs: 52
; ScratchSize: 0
; MemoryBound: 0
; FloatMode: 240
; IeeeMode: 1
; LDSByteSize: 8196 bytes/workgroup (compile time only)
; SGPRBlocks: 0
; VGPRBlocks: 3
; NumSGPRsForWavesPerEU: 53
; NumVGPRsForWavesPerEU: 52
; NamedBarCnt: 0
; Occupancy: 16
; WaveLimiterHint : 1
; COMPUTE_PGM_RSRC2:SCRATCH_EN: 0
; COMPUTE_PGM_RSRC2:USER_SGPR: 2
; COMPUTE_PGM_RSRC2:TRAP_HANDLER: 0
; COMPUTE_PGM_RSRC2:TGID_X_EN: 1
; COMPUTE_PGM_RSRC2:TGID_Y_EN: 0
; COMPUTE_PGM_RSRC2:TGID_Z_EN: 0
; COMPUTE_PGM_RSRC2:TIDIG_COMP_CNT: 0
	.section	.text._ZN9rocsparseL38csr2bsr_block_per_row_multipass_kernelILj256ELj64E21rocsparse_complex_numIfEilEEv20rocsparse_direction_T3_S4_S4_S4_S4_21rocsparse_index_base_PKT1_PKT2_PKS4_S5_PS6_PS9_PS4_,"axG",@progbits,_ZN9rocsparseL38csr2bsr_block_per_row_multipass_kernelILj256ELj64E21rocsparse_complex_numIfEilEEv20rocsparse_direction_T3_S4_S4_S4_S4_21rocsparse_index_base_PKT1_PKT2_PKS4_S5_PS6_PS9_PS4_,comdat
	.globl	_ZN9rocsparseL38csr2bsr_block_per_row_multipass_kernelILj256ELj64E21rocsparse_complex_numIfEilEEv20rocsparse_direction_T3_S4_S4_S4_S4_21rocsparse_index_base_PKT1_PKT2_PKS4_S5_PS6_PS9_PS4_ ; -- Begin function _ZN9rocsparseL38csr2bsr_block_per_row_multipass_kernelILj256ELj64E21rocsparse_complex_numIfEilEEv20rocsparse_direction_T3_S4_S4_S4_S4_21rocsparse_index_base_PKT1_PKT2_PKS4_S5_PS6_PS9_PS4_
	.p2align	8
	.type	_ZN9rocsparseL38csr2bsr_block_per_row_multipass_kernelILj256ELj64E21rocsparse_complex_numIfEilEEv20rocsparse_direction_T3_S4_S4_S4_S4_21rocsparse_index_base_PKT1_PKT2_PKS4_S5_PS6_PS9_PS4_,@function
_ZN9rocsparseL38csr2bsr_block_per_row_multipass_kernelILj256ELj64E21rocsparse_complex_numIfEilEEv20rocsparse_direction_T3_S4_S4_S4_S4_21rocsparse_index_base_PKT1_PKT2_PKS4_S5_PS6_PS9_PS4_: ; @_ZN9rocsparseL38csr2bsr_block_per_row_multipass_kernelILj256ELj64E21rocsparse_complex_numIfEilEEv20rocsparse_direction_T3_S4_S4_S4_S4_21rocsparse_index_base_PKT1_PKT2_PKS4_S5_PS6_PS9_PS4_
; %bb.0:
	s_clause 0x1
	s_load_b128 s[12:15], s[0:1], 0x20
	s_load_b64 s[2:3], s[0:1], 0x8
	s_bfe_u32 s5, ttmp6, 0x4000c
	s_and_b32 s4, ttmp6, 15
	s_add_co_i32 s5, s5, 1
	s_getreg_b32 s6, hwreg(HW_REG_IB_STS2, 6, 4)
	s_mul_i32 s5, ttmp9, s5
	v_dual_mov_b32 v3, 0 :: v_dual_lshrrev_b32 v2, 2, v0
	s_add_co_i32 s4, s4, s5
	s_cmp_eq_u32 s6, 0
	s_clause 0x1
	s_load_b32 s10, s[0:1], 0x30
	s_load_b64 s[6:7], s[0:1], 0x40
	s_cselect_b32 s4, ttmp9, s4
	v_mov_b32_e32 v7, v3
	s_ashr_i32 s5, s4, 31
	s_wait_kmcnt 0x0
	v_mad_nc_u64_u32 v[4:5], s14, s4, v[2:3]
	s_mul_i32 s8, s14, s5
	s_mul_i32 s9, s15, s4
	s_delay_alu instid0(VALU_DEP_1) | instid1(SALU_CYCLE_1)
	v_add3_u32 v5, s8, s9, v5
	s_delay_alu instid0(VALU_DEP_1) | instskip(SKIP_2) | instid1(SALU_CYCLE_1)
	v_cmp_gt_i64_e32 vcc_lo, s[2:3], v[4:5]
	v_cmp_gt_i64_e64 s2, s[14:15], v[2:3]
	s_and_b32 s3, s2, vcc_lo
	s_and_saveexec_b32 s8, s3
	s_cbranch_execnz .LBB97_3
; %bb.1:
	s_or_b32 exec_lo, exec_lo, s8
	s_and_saveexec_b32 s8, s3
	s_cbranch_execnz .LBB97_4
.LBB97_2:
	s_or_b32 exec_lo, exec_lo, s8
	v_cmp_lt_i64_e64 s3, s[12:13], 1
	s_and_b32 vcc_lo, exec_lo, s3
	s_cbranch_vccz .LBB97_5
	s_branch .LBB97_59
.LBB97_3:
	v_lshl_add_u64 v[6:7], v[4:5], 2, s[6:7]
	global_load_b32 v1, v[6:7], off
	s_wait_loadcnt 0x0
	v_subrev_nc_u32_e32 v7, s10, v1
	s_or_b32 exec_lo, exec_lo, s8
	s_and_saveexec_b32 s8, s3
	s_cbranch_execz .LBB97_2
.LBB97_4:
	v_lshl_add_u64 v[4:5], v[4:5], 2, s[6:7]
	global_load_b32 v1, v[4:5], off offset:4
	s_wait_loadcnt 0x0
	v_subrev_nc_u32_e32 v3, s10, v1
	s_or_b32 exec_lo, exec_lo, s8
	v_cmp_lt_i64_e64 s3, s[12:13], 1
	s_and_b32 vcc_lo, exec_lo, s3
	s_cbranch_vccnz .LBB97_59
.LBB97_5:
	s_clause 0x4
	s_load_b128 s[16:19], s[0:1], 0x58
	s_load_b64 s[24:25], s[0:1], 0x68
	s_load_b96 s[20:22], s[0:1], 0x48
	s_load_b64 s[26:27], s[0:1], 0x38
	s_load_b32 s9, s[0:1], 0x0
	s_wait_xcnt 0x0
	s_lshl_b64 s[0:1], s[4:5], 2
	v_cvt_f32_u32_e32 v1, s14
	v_dual_lshlrev_b32 v34, 9, v2 :: v_dual_bitop2_b32 v4, 3, v0 bitop3:0x40
	v_dual_mov_b32 v6, 0 :: v_dual_lshlrev_b32 v35, 3, v0
	s_delay_alu instid0(VALU_DEP_3)
	v_rcp_iflag_f32_e32 v1, v1
	v_cmp_gt_u32_e64 s3, 32, v0
	v_cmp_gt_u32_e64 s4, 16, v0
	;; [unrolled: 1-line block ×5, first 2 shown]
	v_cmp_eq_u32_e64 s8, 0, v0
	v_mbcnt_lo_u32_b32 v12, -1, 0
	v_mov_b32_e32 v5, v6
	s_wait_kmcnt 0x0
	s_add_nc_u64 s[0:1], s[18:19], s[0:1]
	v_mov_b64_e32 v[20:21], 0
	s_load_b32 s11, s[0:1], 0x0
	s_wait_xcnt 0x0
	v_cmp_gt_u32_e64 s0, 0x80, v0
	v_cmp_gt_u32_e64 s1, 64, v0
	v_dual_mul_f32 v1, 0x4f7ffffe, v1 :: v_dual_lshlrev_b32 v0, 3, v2
	v_dual_mov_b32 v2, 1 :: v_dual_bitop2_b32 v16, 2, v12 bitop3:0x14
	v_lshlrev_b32_e32 v10, 3, v4
	v_xor_b32_e32 v19, 1, v12
	s_delay_alu instid0(VALU_DEP_4) | instskip(NEXT) | instid1(VALU_DEP_4)
	v_cvt_u32_f32_e32 v18, v1
	v_cmp_gt_i32_e32 vcc_lo, 32, v16
	v_mov_b32_e32 v1, v6
	v_or_b32_e32 v37, v34, v10
	v_mov_b64_e32 v[8:9], 0
	v_lshl_or_b32 v36, v12, 2, 12
	v_cndmask_b32_e32 v23, v12, v16, vcc_lo
	v_cmp_gt_i32_e32 vcc_lo, 32, v19
	v_dual_mov_b32 v11, v6 :: v_dual_mov_b32 v13, v6
	v_dual_mov_b32 v15, v6 :: v_dual_mov_b32 v17, v6
	s_wait_kmcnt 0x0
	s_sub_co_i32 s30, s11, s22
	s_cmp_lg_u32 s9, 0
	v_dual_cndmask_b32 v19, v12, v19, vcc_lo :: v_dual_bitop2_b32 v12, 64, v10 bitop3:0x54
	s_cselect_b32 s23, -1, 0
	s_sub_co_i32 s9, 0, s14
	v_or_b32_e32 v16, 0x60, v10
	v_mul_lo_u32 v14, s9, v18
	v_mov_b32_e32 v30, 0
	s_mov_b32 s29, 0
	s_mov_b64 s[18:19], 0xffffffff
	s_mov_b32 s11, s29
	s_lshl_b64 s[34:35], s[14:15], 3
	s_lshl_b64 s[36:37], s[14:15], 7
	s_ashr_i32 s38, s15, 31
	v_lshlrev_b32_e32 v38, 2, v23
	s_delay_alu instid0(VALU_DEP_3) | instskip(SKIP_1) | instid1(VALU_DEP_2)
	v_mul_hi_u32 v22, v18, v14
	v_dual_lshlrev_b32 v39, 2, v19 :: v_dual_bitop2_b32 v14, 32, v10 bitop3:0x54
	v_add_nc_u32_e32 v40, v18, v22
	s_branch .LBB97_7
.LBB97_6:                               ;   in Loop: Header=BB97_7 Depth=1
	s_or_b32 exec_lo, exec_lo, s28
	s_wait_dscnt 0x0
	s_barrier_signal -1
	s_barrier_wait -1
	ds_load_b64 v[20:21], v6
	s_add_co_i32 s30, s9, s30
	s_wait_dscnt 0x0
	s_barrier_signal -1
	s_barrier_wait -1
	v_dual_mov_b32 v30, v20 :: v_dual_ashrrev_i32 v21, 31, v20
	s_delay_alu instid0(VALU_DEP_1)
	v_cmp_gt_i64_e32 vcc_lo, s[12:13], v[20:21]
	s_cbranch_vccz .LBB97_59
.LBB97_7:                               ; =>This Loop Header: Depth=1
                                        ;     Child Loop BB97_10 Depth 2
                                        ;     Child Loop BB97_22 Depth 2
	v_mov_b64_e32 v[18:19], s[12:13]
	v_add_nc_u32_e32 v22, v7, v4
	v_mov_b32_e32 v7, v3
	s_mov_b32 s31, exec_lo
	ds_store_b8 v6, v6 offset:32768
	ds_store_2addr_b64 v37, v[8:9], v[8:9] offset1:4
	ds_store_2addr_b64 v37, v[8:9], v[8:9] offset0:8 offset1:12
	ds_store_2addr_b64 v37, v[8:9], v[8:9] offset0:16 offset1:20
	;; [unrolled: 1-line block ×7, first 2 shown]
	s_wait_dscnt 0x0
	s_barrier_signal -1
	s_barrier_wait -1
	v_cmpx_lt_i32_e64 v22, v3
	s_cbranch_execz .LBB97_19
; %bb.8:                                ;   in Loop: Header=BB97_7 Depth=1
	v_mul_u64_e32 v[24:25], s[14:15], v[20:21]
	v_mov_b64_e32 v[18:19], s[12:13]
	v_mov_b32_e32 v25, v3
	s_mov_b32 s33, 0
	s_branch .LBB97_10
.LBB97_9:                               ;   in Loop: Header=BB97_10 Depth=2
	s_wait_xcnt 0x0
	s_or_b32 exec_lo, exec_lo, s9
	v_dual_mov_b32 v25, v7 :: v_dual_add_nc_u32 v22, 4, v22
	s_xor_b32 s28, vcc_lo, -1
	s_delay_alu instid0(VALU_DEP_1) | instskip(SKIP_1) | instid1(SALU_CYCLE_1)
	v_cmp_ge_i32_e64 s9, v22, v3
	s_or_b32 s9, s28, s9
	s_and_b32 s9, exec_lo, s9
	s_delay_alu instid0(SALU_CYCLE_1) | instskip(NEXT) | instid1(SALU_CYCLE_1)
	s_or_b32 s33, s9, s33
	s_and_not1_b32 exec_lo, exec_lo, s33
	s_cbranch_execz .LBB97_18
.LBB97_10:                              ;   Parent Loop BB97_7 Depth=1
                                        ; =>  This Inner Loop Header: Depth=2
	global_load_b64 v[26:27], v22, s[20:21] scale_offset
                                        ; implicit-def: $vgpr28_vgpr29
	s_mov_b32 s9, exec_lo
	s_wait_loadcnt 0x0
	v_sub_nc_u64_e64 v[26:27], v[26:27], s[10:11]
	s_delay_alu instid0(VALU_DEP_1) | instskip(SKIP_1) | instid1(VALU_DEP_1)
	v_or_b32_e32 v7, s15, v27
	s_wait_xcnt 0x0
	v_cmpx_ne_u64_e32 0, v[6:7]
	s_xor_b32 s42, exec_lo, s9
	s_cbranch_execz .LBB97_12
; %bb.11:                               ;   in Loop: Header=BB97_10 Depth=2
	s_mov_b32 s39, s38
	v_dual_mov_b32 v43, v6 :: v_dual_ashrrev_i32 v28, 31, v27
	s_add_nc_u64 s[40:41], s[14:15], s[38:39]
	v_mov_b32_e32 v47, v6
	s_xor_b64 s[40:41], s[40:41], s[38:39]
	s_delay_alu instid0(VALU_DEP_2)
	v_mov_b32_e32 v29, v28
	s_cvt_f32_u32 s9, s40
	s_cvt_f32_u32 s28, s41
	s_sub_nc_u64 s[46:47], 0, s[40:41]
	v_mov_b32_e32 v51, v6
	v_add_nc_u64_e32 v[32:33], v[26:27], v[28:29]
	s_fmamk_f32 s9, s28, 0x4f800000, s9
	s_delay_alu instid0(SALU_CYCLE_3) | instskip(NEXT) | instid1(VALU_DEP_1)
	v_s_rcp_f32 s9, s9
	v_xor_b32_e32 v42, v32, v28
	s_delay_alu instid0(VALU_DEP_2) | instskip(NEXT) | instid1(TRANS32_DEP_1)
	v_xor_b32_e32 v46, v33, v28
	s_mul_f32 s9, s9, 0x5f7ffffc
	s_delay_alu instid0(SALU_CYCLE_3) | instskip(NEXT) | instid1(SALU_CYCLE_3)
	s_mul_f32 s28, s9, 0x2f800000
	s_trunc_f32 s28, s28
	s_delay_alu instid0(SALU_CYCLE_3) | instskip(SKIP_1) | instid1(SALU_CYCLE_2)
	s_fmamk_f32 s9, s28, 0xcf800000, s9
	s_cvt_u32_f32 s45, s28
	s_cvt_u32_f32 s44, s9
	s_delay_alu instid0(SALU_CYCLE_3) | instskip(NEXT) | instid1(SALU_CYCLE_1)
	s_mul_u64 s[48:49], s[46:47], s[44:45]
	s_mul_hi_u32 s51, s44, s49
	s_mul_i32 s50, s44, s49
	s_mul_hi_u32 s28, s44, s48
	s_mul_i32 s39, s45, s48
	s_add_nc_u64 s[50:51], s[28:29], s[50:51]
	s_mul_hi_u32 s9, s45, s48
	s_mul_hi_u32 s43, s45, s49
	s_add_co_u32 s28, s50, s39
	s_add_co_ci_u32 s28, s51, s9
	s_mul_i32 s48, s45, s49
	s_add_co_ci_u32 s49, s43, 0
	s_delay_alu instid0(SALU_CYCLE_1) | instskip(NEXT) | instid1(SALU_CYCLE_1)
	s_add_nc_u64 s[48:49], s[28:29], s[48:49]
	s_add_co_u32 s44, s44, s48
	s_cselect_b32 s9, -1, 0
	s_delay_alu instid0(SALU_CYCLE_1) | instskip(SKIP_1) | instid1(SALU_CYCLE_1)
	s_cmp_lg_u32 s9, 0
	s_add_co_ci_u32 s45, s45, s49
	s_mul_u64 s[46:47], s[46:47], s[44:45]
	s_delay_alu instid0(SALU_CYCLE_1)
	s_mul_hi_u32 s49, s44, s47
	s_mul_i32 s48, s44, s47
	s_mul_hi_u32 s28, s44, s46
	s_mul_i32 s39, s45, s46
	s_add_nc_u64 s[48:49], s[28:29], s[48:49]
	s_mul_hi_u32 s9, s45, s46
	s_mul_hi_u32 s43, s45, s47
	s_add_co_u32 s28, s48, s39
	s_add_co_ci_u32 s28, s49, s9
	s_mul_i32 s46, s45, s47
	s_add_co_ci_u32 s47, s43, 0
	s_delay_alu instid0(SALU_CYCLE_1) | instskip(NEXT) | instid1(SALU_CYCLE_1)
	s_add_nc_u64 s[46:47], s[28:29], s[46:47]
	s_add_co_u32 s44, s44, s46
	s_cselect_b32 s9, -1, 0
	v_mul_hi_u32 v50, v42, s44
	s_cmp_lg_u32 s9, 0
	s_add_co_ci_u32 s28, s45, s47
	s_and_b64 s[46:47], s[44:45], s[18:19]
	v_mul_u64_e32 v[44:45], s[28:29], v[42:43]
	v_mul_u64_e32 v[32:33], s[46:47], v[46:47]
	;; [unrolled: 1-line block ×3, first 2 shown]
	s_delay_alu instid0(VALU_DEP_3) | instskip(NEXT) | instid1(VALU_DEP_1)
	v_add_nc_u64_e32 v[44:45], v[50:51], v[44:45]
	v_add_co_u32 v7, vcc_lo, v44, v32
	s_delay_alu instid0(VALU_DEP_2) | instskip(NEXT) | instid1(VALU_DEP_4)
	v_add_co_ci_u32_e32 v50, vcc_lo, v45, v33, vcc_lo
	v_add_co_ci_u32_e32 v49, vcc_lo, 0, v49, vcc_lo
	s_delay_alu instid0(VALU_DEP_1) | instskip(NEXT) | instid1(VALU_DEP_1)
	v_add_nc_u64_e32 v[32:33], v[50:51], v[48:49]
	v_mul_u64_e32 v[44:45], s[40:41], v[32:33]
	s_delay_alu instid0(VALU_DEP_1) | instskip(NEXT) | instid1(VALU_DEP_2)
	v_sub_nc_u32_e32 v7, v46, v45
	v_sub_co_u32 v23, vcc_lo, v42, v44
	s_delay_alu instid0(VALU_DEP_1) | instskip(NEXT) | instid1(VALU_DEP_3)
	v_sub_co_ci_u32_e64 v29, null, v46, v45, vcc_lo
	v_subrev_co_ci_u32_e64 v7, null, s41, v7, vcc_lo
	s_delay_alu instid0(VALU_DEP_3) | instskip(SKIP_1) | instid1(VALU_DEP_3)
	v_sub_co_u32 v27, s9, v23, s40
	v_add_nc_u64_e32 v[42:43], 2, v[32:33]
	v_subrev_co_ci_u32_e64 v7, null, 0, v7, s9
	s_delay_alu instid0(VALU_DEP_3) | instskip(SKIP_2) | instid1(VALU_DEP_4)
	v_cmp_le_u32_e32 vcc_lo, s40, v27
	v_add_nc_u64_e32 v[44:45], 1, v[32:33]
	v_cndmask_b32_e64 v27, 0, -1, vcc_lo
	v_cmp_le_u32_e32 vcc_lo, s41, v7
	v_cndmask_b32_e64 v31, 0, -1, vcc_lo
	v_cmp_le_u32_e32 vcc_lo, s40, v23
	;; [unrolled: 2-line block ×3, first 2 shown]
	v_cndmask_b32_e64 v41, 0, -1, vcc_lo
	v_cmp_eq_u32_e32 vcc_lo, s41, v7
	v_cndmask_b32_e32 v7, v31, v27, vcc_lo
	v_cmp_eq_u32_e32 vcc_lo, s41, v29
	s_delay_alu instid0(VALU_DEP_4) | instskip(NEXT) | instid1(VALU_DEP_3)
	v_cndmask_b32_e32 v23, v41, v23, vcc_lo
	v_cmp_ne_u32_e32 vcc_lo, 0, v7
	s_delay_alu instid0(VALU_DEP_2) | instskip(SKIP_1) | instid1(VALU_DEP_1)
	v_cmp_ne_u32_e64 s9, 0, v23
	v_dual_cndmask_b32 v7, v45, v43, vcc_lo :: v_dual_cndmask_b32 v23, v44, v42, vcc_lo
	v_dual_cndmask_b32 v7, v33, v7, s9 :: v_dual_bitop2_b32 v28, s38, v28 bitop3:0x14
	s_delay_alu instid0(VALU_DEP_1) | instskip(NEXT) | instid1(VALU_DEP_1)
	v_dual_cndmask_b32 v23, v32, v23, s9 :: v_dual_bitop2_b32 v33, v7, v28 bitop3:0x14
	v_dual_mov_b32 v29, v28 :: v_dual_bitop2_b32 v32, v23, v28 bitop3:0x14
	s_delay_alu instid0(VALU_DEP_1)
	v_sub_nc_u64_e32 v[28:29], v[32:33], v[28:29]
.LBB97_12:                              ;   in Loop: Header=BB97_10 Depth=2
	s_and_not1_saveexec_b32 s9, s42
	s_cbranch_execz .LBB97_14
; %bb.13:                               ;   in Loop: Header=BB97_10 Depth=2
	v_mul_hi_u32 v7, v26, v40
	v_mov_b32_e32 v29, v6
	s_delay_alu instid0(VALU_DEP_2) | instskip(NEXT) | instid1(VALU_DEP_1)
	v_mul_lo_u32 v23, v7, s14
	v_sub_nc_u32_e32 v23, v26, v23
	s_delay_alu instid0(VALU_DEP_1) | instskip(SKIP_1) | instid1(VALU_DEP_2)
	v_subrev_nc_u32_e32 v28, s14, v23
	v_cmp_le_u32_e32 vcc_lo, s14, v23
	v_dual_add_nc_u32 v27, 1, v7 :: v_dual_cndmask_b32 v23, v23, v28, vcc_lo
	s_delay_alu instid0(VALU_DEP_1) | instskip(NEXT) | instid1(VALU_DEP_2)
	v_cndmask_b32_e32 v7, v7, v27, vcc_lo
	v_cmp_le_u32_e32 vcc_lo, s14, v23
	s_delay_alu instid0(VALU_DEP_2) | instskip(NEXT) | instid1(VALU_DEP_1)
	v_add_nc_u32_e32 v27, 1, v7
	v_cndmask_b32_e32 v28, v7, v27, vcc_lo
.LBB97_14:                              ;   in Loop: Header=BB97_10 Depth=2
	s_or_b32 exec_lo, exec_lo, s9
	s_delay_alu instid0(VALU_DEP_1) | instskip(SKIP_2) | instid1(SALU_CYCLE_1)
	v_cmp_ne_u64_e64 s9, v[28:29], v[20:21]
	v_cmp_eq_u64_e32 vcc_lo, v[28:29], v[20:21]
	s_and_saveexec_b32 s28, s9
	s_xor_b32 s9, exec_lo, s28
; %bb.15:                               ;   in Loop: Header=BB97_10 Depth=2
	v_min_i64 v[18:19], v[28:29], v[18:19]
                                        ; implicit-def: $vgpr26_vgpr27
                                        ; implicit-def: $vgpr25
; %bb.16:                               ;   in Loop: Header=BB97_10 Depth=2
	s_or_saveexec_b32 s9, s9
	v_mov_b32_e32 v7, v22
	s_xor_b32 exec_lo, exec_lo, s9
	s_cbranch_execz .LBB97_9
; %bb.17:                               ;   in Loop: Header=BB97_10 Depth=2
	v_dual_ashrrev_i32 v23, 31, v22 :: v_dual_sub_nc_u32 v7, v26, v24
	s_delay_alu instid0(VALU_DEP_1) | instskip(NEXT) | instid1(VALU_DEP_2)
	v_lshl_add_u64 v[28:29], v[22:23], 3, s[26:27]
	v_lshl_add_u32 v23, v7, 3, v34
	v_mov_b32_e32 v7, v25
	global_load_b64 v[28:29], v[28:29], off
	ds_store_b8 v6, v2 offset:32768
	s_wait_loadcnt 0x0
	ds_store_b64 v23, v[28:29]
	s_branch .LBB97_9
.LBB97_18:                              ;   in Loop: Header=BB97_7 Depth=1
	s_or_b32 exec_lo, exec_lo, s33
.LBB97_19:                              ;   in Loop: Header=BB97_7 Depth=1
	s_delay_alu instid0(SALU_CYCLE_1)
	s_or_b32 exec_lo, exec_lo, s31
	ds_bpermute_b32 v20, v38, v7
	s_wait_dscnt 0x0
	s_barrier_signal -1
	s_barrier_wait -1
	ds_load_u8 v21, v6 offset:32768
	s_mov_b32 s9, 0
	v_min_i32_e32 v7, v20, v7
	ds_bpermute_b32 v20, v39, v7
	s_wait_dscnt 0x0
	v_min_i32_e32 v7, v20, v7
	v_and_b32_e32 v20, 1, v21
	ds_bpermute_b32 v7, v36, v7
	v_cmp_eq_u32_e32 vcc_lo, 0, v20
	s_cbranch_vccnz .LBB97_43
; %bb.20:                               ;   in Loop: Header=BB97_7 Depth=1
	s_ashr_i32 s31, s30, 31
	v_add_nc_u32_e32 v30, s22, v30
	s_mul_u64 s[40:41], s[34:35], s[30:31]
	v_mov_b32_e32 v41, v37
	v_add_nc_u64_e32 v[32:33], s[40:41], v[12:13]
	v_add_nc_u64_e32 v[42:43], s[40:41], v[14:15]
	;; [unrolled: 1-line block ×5, first 2 shown]
	s_mov_b64 s[40:41], 0
	v_mad_nc_u64_u32 v[20:21], s14, v32, v[0:1]
	v_mad_nc_u64_u32 v[22:23], s14, v42, v[0:1]
	;; [unrolled: 1-line block ×5, first 2 shown]
	v_mad_u32 v21, s15, v32, v21
	v_mad_u32 v23, s15, v42, v23
	;; [unrolled: 1-line block ×5, first 2 shown]
	v_dual_mov_b32 v32, s30 :: v_dual_ashrrev_i32 v31, 31, v30
	global_store_b64 v32, v[30:31], s[24:25] scale_offset
	v_mad_u32 v21, s14, v33, v21
	v_mad_u32 v23, s14, v43, v23
	;; [unrolled: 1-line block ×5, first 2 shown]
	s_branch .LBB97_22
.LBB97_21:                              ;   in Loop: Header=BB97_22 Depth=2
	s_wait_xcnt 0x0
	s_or_b32 exec_lo, exec_lo, s9
	v_add_nc_u64_e32 v[20:21], s[36:37], v[20:21]
	v_add_nc_u64_e32 v[22:23], s[36:37], v[22:23]
	;; [unrolled: 1-line block ×5, first 2 shown]
	s_add_nc_u64 s[40:41], s[40:41], 16
	v_add_nc_u32_e32 v41, 0x80, v41
	s_add_co_i32 s9, s40, -4
	s_delay_alu instid0(SALU_CYCLE_1)
	s_cmp_lt_u32 s9, 60
	s_cbranch_scc0 .LBB97_42
.LBB97_22:                              ;   Parent Loop BB97_7 Depth=1
                                        ; =>  This Inner Loop Header: Depth=2
	s_wait_xcnt 0x0
	s_wait_dscnt 0x0
	v_add_nc_u64_e32 v[30:31], s[40:41], v[4:5]
	s_delay_alu instid0(VALU_DEP_1) | instskip(SKIP_1) | instid1(SALU_CYCLE_1)
	v_cmp_gt_i64_e32 vcc_lo, s[14:15], v[30:31]
	s_and_b32 s28, s2, vcc_lo
	s_and_saveexec_b32 s9, s28
	s_cbranch_execz .LBB97_26
; %bb.23:                               ;   in Loop: Header=BB97_22 Depth=2
	ds_load_b64 v[32:33], v41
	s_and_b32 vcc_lo, exec_lo, s23
	s_cbranch_vccz .LBB97_37
; %bb.24:                               ;   in Loop: Header=BB97_22 Depth=2
	v_add_nc_u64_e32 v[42:43], s[16:17], v[24:25]
	s_wait_dscnt 0x0
	global_store_b64 v[42:43], v[32:33], off
	s_cbranch_execnz .LBB97_26
.LBB97_25:                              ;   in Loop: Header=BB97_22 Depth=2
	s_wait_xcnt 0x0
	v_add_nc_u64_e32 v[42:43], s[16:17], v[26:27]
	s_wait_dscnt 0x0
	global_store_b64 v[42:43], v[32:33], off
.LBB97_26:                              ;   in Loop: Header=BB97_22 Depth=2
	s_wait_xcnt 0x0
	s_or_b32 exec_lo, exec_lo, s9
	s_wait_dscnt 0x0
	v_add_nc_u64_e32 v[32:33], 4, v[30:31]
	s_delay_alu instid0(VALU_DEP_1) | instskip(SKIP_1) | instid1(SALU_CYCLE_1)
	v_cmp_gt_i64_e32 vcc_lo, s[14:15], v[32:33]
	s_and_b32 s28, s2, vcc_lo
	s_and_saveexec_b32 s9, s28
	s_cbranch_execz .LBB97_30
; %bb.27:                               ;   in Loop: Header=BB97_22 Depth=2
	ds_load_b64 v[32:33], v41 offset:32
	s_and_not1_b32 vcc_lo, exec_lo, s23
	s_cbranch_vccnz .LBB97_38
; %bb.28:                               ;   in Loop: Header=BB97_22 Depth=2
	v_add_nc_u64_e32 v[42:43], s[16:17], v[22:23]
	s_wait_dscnt 0x0
	global_store_b64 v[42:43], v[32:33], off
	s_cbranch_execnz .LBB97_30
.LBB97_29:                              ;   in Loop: Header=BB97_22 Depth=2
	s_wait_xcnt 0x0
	v_add_nc_u64_e32 v[42:43], s[16:17], v[26:27]
	s_wait_dscnt 0x0
	global_store_b64 v[42:43], v[32:33], off offset:32
.LBB97_30:                              ;   in Loop: Header=BB97_22 Depth=2
	s_wait_xcnt 0x0
	s_or_b32 exec_lo, exec_lo, s9
	s_wait_dscnt 0x0
	v_add_nc_u64_e32 v[32:33], 8, v[30:31]
	s_delay_alu instid0(VALU_DEP_1) | instskip(SKIP_1) | instid1(SALU_CYCLE_1)
	v_cmp_gt_i64_e32 vcc_lo, s[14:15], v[32:33]
	s_and_b32 s28, s2, vcc_lo
	s_and_saveexec_b32 s9, s28
	s_cbranch_execz .LBB97_34
; %bb.31:                               ;   in Loop: Header=BB97_22 Depth=2
	ds_load_b64 v[32:33], v41 offset:64
	s_and_not1_b32 vcc_lo, exec_lo, s23
	s_cbranch_vccnz .LBB97_39
; %bb.32:                               ;   in Loop: Header=BB97_22 Depth=2
	v_add_nc_u64_e32 v[42:43], s[16:17], v[20:21]
	s_wait_dscnt 0x0
	global_store_b64 v[42:43], v[32:33], off
	s_cbranch_execnz .LBB97_34
.LBB97_33:                              ;   in Loop: Header=BB97_22 Depth=2
	s_wait_xcnt 0x0
	v_add_nc_u64_e32 v[42:43], s[16:17], v[26:27]
	s_wait_dscnt 0x0
	global_store_b64 v[42:43], v[32:33], off offset:64
.LBB97_34:                              ;   in Loop: Header=BB97_22 Depth=2
	s_wait_xcnt 0x0
	s_or_b32 exec_lo, exec_lo, s9
	v_add_nc_u64_e32 v[30:31], 12, v[30:31]
	s_delay_alu instid0(VALU_DEP_1) | instskip(SKIP_1) | instid1(SALU_CYCLE_1)
	v_cmp_gt_i64_e32 vcc_lo, s[14:15], v[30:31]
	s_and_b32 s28, s2, vcc_lo
	s_and_saveexec_b32 s9, s28
	s_cbranch_execz .LBB97_21
; %bb.35:                               ;   in Loop: Header=BB97_22 Depth=2
	ds_load_b64 v[30:31], v41 offset:96
	s_and_not1_b32 vcc_lo, exec_lo, s23
	s_cbranch_vccnz .LBB97_40
; %bb.36:                               ;   in Loop: Header=BB97_22 Depth=2
	s_wait_dscnt 0x1
	v_add_nc_u64_e32 v[32:33], s[16:17], v[28:29]
	s_wait_dscnt 0x0
	global_store_b64 v[32:33], v[30:31], off
	s_cbranch_execnz .LBB97_21
	s_branch .LBB97_41
.LBB97_37:                              ;   in Loop: Header=BB97_22 Depth=2
	s_branch .LBB97_25
.LBB97_38:                              ;   in Loop: Header=BB97_22 Depth=2
	s_branch .LBB97_29
.LBB97_39:                              ;   in Loop: Header=BB97_22 Depth=2
	s_branch .LBB97_33
.LBB97_40:                              ;   in Loop: Header=BB97_22 Depth=2
.LBB97_41:                              ;   in Loop: Header=BB97_22 Depth=2
	s_wait_dscnt 0x1
	s_wait_xcnt 0x0
	v_add_nc_u64_e32 v[32:33], s[16:17], v[26:27]
	s_wait_dscnt 0x0
	global_store_b64 v[32:33], v[30:31], off offset:96
	s_branch .LBB97_21
.LBB97_42:                              ;   in Loop: Header=BB97_7 Depth=1
	s_mov_b32 s9, 1
.LBB97_43:                              ;   in Loop: Header=BB97_7 Depth=1
	s_wait_storecnt_dscnt 0x0
	s_barrier_signal -1
	s_barrier_wait -1
	ds_store_b64 v35, v[18:19]
	s_wait_dscnt 0x0
	s_barrier_signal -1
	s_barrier_wait -1
	s_and_saveexec_b32 s28, s0
	s_cbranch_execz .LBB97_45
; %bb.44:                               ;   in Loop: Header=BB97_7 Depth=1
	ds_load_2addr_stride64_b64 v[18:21], v35 offset1:2
	s_wait_dscnt 0x0
	v_min_i64 v[18:19], v[20:21], v[18:19]
	ds_store_b64 v35, v[18:19]
.LBB97_45:                              ;   in Loop: Header=BB97_7 Depth=1
	s_or_b32 exec_lo, exec_lo, s28
	s_wait_dscnt 0x0
	s_barrier_signal -1
	s_barrier_wait -1
	s_and_saveexec_b32 s28, s1
	s_cbranch_execz .LBB97_47
; %bb.46:                               ;   in Loop: Header=BB97_7 Depth=1
	ds_load_2addr_stride64_b64 v[18:21], v35 offset1:1
	s_wait_dscnt 0x0
	v_min_i64 v[18:19], v[20:21], v[18:19]
	ds_store_b64 v35, v[18:19]
.LBB97_47:                              ;   in Loop: Header=BB97_7 Depth=1
	s_or_b32 exec_lo, exec_lo, s28
	s_wait_dscnt 0x0
	s_barrier_signal -1
	s_barrier_wait -1
	s_and_saveexec_b32 s28, s3
	s_cbranch_execz .LBB97_49
; %bb.48:                               ;   in Loop: Header=BB97_7 Depth=1
	ds_load_2addr_b64 v[18:21], v35 offset1:32
	s_wait_dscnt 0x0
	v_min_i64 v[18:19], v[20:21], v[18:19]
	ds_store_b64 v35, v[18:19]
.LBB97_49:                              ;   in Loop: Header=BB97_7 Depth=1
	s_or_b32 exec_lo, exec_lo, s28
	s_wait_dscnt 0x0
	s_barrier_signal -1
	s_barrier_wait -1
	s_and_saveexec_b32 s28, s4
	s_cbranch_execz .LBB97_51
; %bb.50:                               ;   in Loop: Header=BB97_7 Depth=1
	ds_load_2addr_b64 v[18:21], v35 offset1:16
	s_wait_dscnt 0x0
	v_min_i64 v[18:19], v[20:21], v[18:19]
	ds_store_b64 v35, v[18:19]
.LBB97_51:                              ;   in Loop: Header=BB97_7 Depth=1
	s_or_b32 exec_lo, exec_lo, s28
	s_wait_dscnt 0x0
	s_barrier_signal -1
	s_barrier_wait -1
	s_and_saveexec_b32 s28, s5
	s_cbranch_execz .LBB97_53
; %bb.52:                               ;   in Loop: Header=BB97_7 Depth=1
	ds_load_2addr_b64 v[18:21], v35 offset1:8
	s_wait_dscnt 0x0
	v_min_i64 v[18:19], v[20:21], v[18:19]
	ds_store_b64 v35, v[18:19]
.LBB97_53:                              ;   in Loop: Header=BB97_7 Depth=1
	s_or_b32 exec_lo, exec_lo, s28
	s_wait_dscnt 0x0
	s_barrier_signal -1
	s_barrier_wait -1
	s_and_saveexec_b32 s28, s6
	s_cbranch_execz .LBB97_55
; %bb.54:                               ;   in Loop: Header=BB97_7 Depth=1
	ds_load_2addr_b64 v[18:21], v35 offset1:4
	s_wait_dscnt 0x0
	v_min_i64 v[18:19], v[20:21], v[18:19]
	ds_store_b64 v35, v[18:19]
.LBB97_55:                              ;   in Loop: Header=BB97_7 Depth=1
	s_or_b32 exec_lo, exec_lo, s28
	s_wait_dscnt 0x0
	s_barrier_signal -1
	s_barrier_wait -1
	s_and_saveexec_b32 s28, s7
	s_cbranch_execz .LBB97_57
; %bb.56:                               ;   in Loop: Header=BB97_7 Depth=1
	ds_load_2addr_b64 v[18:21], v35 offset1:2
	s_wait_dscnt 0x0
	v_min_i64 v[18:19], v[20:21], v[18:19]
	ds_store_b64 v35, v[18:19]
.LBB97_57:                              ;   in Loop: Header=BB97_7 Depth=1
	s_or_b32 exec_lo, exec_lo, s28
	s_wait_dscnt 0x0
	s_barrier_signal -1
	s_barrier_wait -1
	s_and_saveexec_b32 s28, s8
	s_cbranch_execz .LBB97_6
; %bb.58:                               ;   in Loop: Header=BB97_7 Depth=1
	ds_load_b128 v[18:21], v6
	s_wait_dscnt 0x0
	v_min_i64 v[18:19], v[20:21], v[18:19]
	ds_store_b64 v6, v[18:19]
	s_branch .LBB97_6
.LBB97_59:
	s_endpgm
	.section	.rodata,"a",@progbits
	.p2align	6, 0x0
	.amdhsa_kernel _ZN9rocsparseL38csr2bsr_block_per_row_multipass_kernelILj256ELj64E21rocsparse_complex_numIfEilEEv20rocsparse_direction_T3_S4_S4_S4_S4_21rocsparse_index_base_PKT1_PKT2_PKS4_S5_PS6_PS9_PS4_
		.amdhsa_group_segment_fixed_size 32772
		.amdhsa_private_segment_fixed_size 0
		.amdhsa_kernarg_size 112
		.amdhsa_user_sgpr_count 2
		.amdhsa_user_sgpr_dispatch_ptr 0
		.amdhsa_user_sgpr_queue_ptr 0
		.amdhsa_user_sgpr_kernarg_segment_ptr 1
		.amdhsa_user_sgpr_dispatch_id 0
		.amdhsa_user_sgpr_kernarg_preload_length 0
		.amdhsa_user_sgpr_kernarg_preload_offset 0
		.amdhsa_user_sgpr_private_segment_size 0
		.amdhsa_wavefront_size32 1
		.amdhsa_uses_dynamic_stack 0
		.amdhsa_enable_private_segment 0
		.amdhsa_system_sgpr_workgroup_id_x 1
		.amdhsa_system_sgpr_workgroup_id_y 0
		.amdhsa_system_sgpr_workgroup_id_z 0
		.amdhsa_system_sgpr_workgroup_info 0
		.amdhsa_system_vgpr_workitem_id 0
		.amdhsa_next_free_vgpr 52
		.amdhsa_next_free_sgpr 52
		.amdhsa_named_barrier_count 0
		.amdhsa_reserve_vcc 1
		.amdhsa_float_round_mode_32 0
		.amdhsa_float_round_mode_16_64 0
		.amdhsa_float_denorm_mode_32 3
		.amdhsa_float_denorm_mode_16_64 3
		.amdhsa_fp16_overflow 0
		.amdhsa_memory_ordered 1
		.amdhsa_forward_progress 1
		.amdhsa_inst_pref_size 23
		.amdhsa_round_robin_scheduling 0
		.amdhsa_exception_fp_ieee_invalid_op 0
		.amdhsa_exception_fp_denorm_src 0
		.amdhsa_exception_fp_ieee_div_zero 0
		.amdhsa_exception_fp_ieee_overflow 0
		.amdhsa_exception_fp_ieee_underflow 0
		.amdhsa_exception_fp_ieee_inexact 0
		.amdhsa_exception_int_div_zero 0
	.end_amdhsa_kernel
	.section	.text._ZN9rocsparseL38csr2bsr_block_per_row_multipass_kernelILj256ELj64E21rocsparse_complex_numIfEilEEv20rocsparse_direction_T3_S4_S4_S4_S4_21rocsparse_index_base_PKT1_PKT2_PKS4_S5_PS6_PS9_PS4_,"axG",@progbits,_ZN9rocsparseL38csr2bsr_block_per_row_multipass_kernelILj256ELj64E21rocsparse_complex_numIfEilEEv20rocsparse_direction_T3_S4_S4_S4_S4_21rocsparse_index_base_PKT1_PKT2_PKS4_S5_PS6_PS9_PS4_,comdat
.Lfunc_end97:
	.size	_ZN9rocsparseL38csr2bsr_block_per_row_multipass_kernelILj256ELj64E21rocsparse_complex_numIfEilEEv20rocsparse_direction_T3_S4_S4_S4_S4_21rocsparse_index_base_PKT1_PKT2_PKS4_S5_PS6_PS9_PS4_, .Lfunc_end97-_ZN9rocsparseL38csr2bsr_block_per_row_multipass_kernelILj256ELj64E21rocsparse_complex_numIfEilEEv20rocsparse_direction_T3_S4_S4_S4_S4_21rocsparse_index_base_PKT1_PKT2_PKS4_S5_PS6_PS9_PS4_
                                        ; -- End function
	.set _ZN9rocsparseL38csr2bsr_block_per_row_multipass_kernelILj256ELj64E21rocsparse_complex_numIfEilEEv20rocsparse_direction_T3_S4_S4_S4_S4_21rocsparse_index_base_PKT1_PKT2_PKS4_S5_PS6_PS9_PS4_.num_vgpr, 52
	.set _ZN9rocsparseL38csr2bsr_block_per_row_multipass_kernelILj256ELj64E21rocsparse_complex_numIfEilEEv20rocsparse_direction_T3_S4_S4_S4_S4_21rocsparse_index_base_PKT1_PKT2_PKS4_S5_PS6_PS9_PS4_.num_agpr, 0
	.set _ZN9rocsparseL38csr2bsr_block_per_row_multipass_kernelILj256ELj64E21rocsparse_complex_numIfEilEEv20rocsparse_direction_T3_S4_S4_S4_S4_21rocsparse_index_base_PKT1_PKT2_PKS4_S5_PS6_PS9_PS4_.numbered_sgpr, 52
	.set _ZN9rocsparseL38csr2bsr_block_per_row_multipass_kernelILj256ELj64E21rocsparse_complex_numIfEilEEv20rocsparse_direction_T3_S4_S4_S4_S4_21rocsparse_index_base_PKT1_PKT2_PKS4_S5_PS6_PS9_PS4_.num_named_barrier, 0
	.set _ZN9rocsparseL38csr2bsr_block_per_row_multipass_kernelILj256ELj64E21rocsparse_complex_numIfEilEEv20rocsparse_direction_T3_S4_S4_S4_S4_21rocsparse_index_base_PKT1_PKT2_PKS4_S5_PS6_PS9_PS4_.private_seg_size, 0
	.set _ZN9rocsparseL38csr2bsr_block_per_row_multipass_kernelILj256ELj64E21rocsparse_complex_numIfEilEEv20rocsparse_direction_T3_S4_S4_S4_S4_21rocsparse_index_base_PKT1_PKT2_PKS4_S5_PS6_PS9_PS4_.uses_vcc, 1
	.set _ZN9rocsparseL38csr2bsr_block_per_row_multipass_kernelILj256ELj64E21rocsparse_complex_numIfEilEEv20rocsparse_direction_T3_S4_S4_S4_S4_21rocsparse_index_base_PKT1_PKT2_PKS4_S5_PS6_PS9_PS4_.uses_flat_scratch, 0
	.set _ZN9rocsparseL38csr2bsr_block_per_row_multipass_kernelILj256ELj64E21rocsparse_complex_numIfEilEEv20rocsparse_direction_T3_S4_S4_S4_S4_21rocsparse_index_base_PKT1_PKT2_PKS4_S5_PS6_PS9_PS4_.has_dyn_sized_stack, 0
	.set _ZN9rocsparseL38csr2bsr_block_per_row_multipass_kernelILj256ELj64E21rocsparse_complex_numIfEilEEv20rocsparse_direction_T3_S4_S4_S4_S4_21rocsparse_index_base_PKT1_PKT2_PKS4_S5_PS6_PS9_PS4_.has_recursion, 0
	.set _ZN9rocsparseL38csr2bsr_block_per_row_multipass_kernelILj256ELj64E21rocsparse_complex_numIfEilEEv20rocsparse_direction_T3_S4_S4_S4_S4_21rocsparse_index_base_PKT1_PKT2_PKS4_S5_PS6_PS9_PS4_.has_indirect_call, 0
	.section	.AMDGPU.csdata,"",@progbits
; Kernel info:
; codeLenInByte = 2936
; TotalNumSgprs: 54
; NumVgprs: 52
; ScratchSize: 0
; MemoryBound: 0
; FloatMode: 240
; IeeeMode: 1
; LDSByteSize: 32772 bytes/workgroup (compile time only)
; SGPRBlocks: 0
; VGPRBlocks: 3
; NumSGPRsForWavesPerEU: 54
; NumVGPRsForWavesPerEU: 52
; NamedBarCnt: 0
; Occupancy: 16
; WaveLimiterHint : 1
; COMPUTE_PGM_RSRC2:SCRATCH_EN: 0
; COMPUTE_PGM_RSRC2:USER_SGPR: 2
; COMPUTE_PGM_RSRC2:TRAP_HANDLER: 0
; COMPUTE_PGM_RSRC2:TGID_X_EN: 1
; COMPUTE_PGM_RSRC2:TGID_Y_EN: 0
; COMPUTE_PGM_RSRC2:TGID_Z_EN: 0
; COMPUTE_PGM_RSRC2:TIDIG_COMP_CNT: 0
	.section	.text._ZN9rocsparseL21csr2bsr_65_inf_kernelILj32E21rocsparse_complex_numIfEilEEv20rocsparse_direction_T2_S4_S4_S4_S4_S4_21rocsparse_index_base_PKT0_PKT1_PKS4_S5_PS6_PS9_PS4_SF_SG_SE_,"axG",@progbits,_ZN9rocsparseL21csr2bsr_65_inf_kernelILj32E21rocsparse_complex_numIfEilEEv20rocsparse_direction_T2_S4_S4_S4_S4_S4_21rocsparse_index_base_PKT0_PKT1_PKS4_S5_PS6_PS9_PS4_SF_SG_SE_,comdat
	.globl	_ZN9rocsparseL21csr2bsr_65_inf_kernelILj32E21rocsparse_complex_numIfEilEEv20rocsparse_direction_T2_S4_S4_S4_S4_S4_21rocsparse_index_base_PKT0_PKT1_PKS4_S5_PS6_PS9_PS4_SF_SG_SE_ ; -- Begin function _ZN9rocsparseL21csr2bsr_65_inf_kernelILj32E21rocsparse_complex_numIfEilEEv20rocsparse_direction_T2_S4_S4_S4_S4_S4_21rocsparse_index_base_PKT0_PKT1_PKS4_S5_PS6_PS9_PS4_SF_SG_SE_
	.p2align	8
	.type	_ZN9rocsparseL21csr2bsr_65_inf_kernelILj32E21rocsparse_complex_numIfEilEEv20rocsparse_direction_T2_S4_S4_S4_S4_S4_21rocsparse_index_base_PKT0_PKT1_PKS4_S5_PS6_PS9_PS4_SF_SG_SE_,@function
_ZN9rocsparseL21csr2bsr_65_inf_kernelILj32E21rocsparse_complex_numIfEilEEv20rocsparse_direction_T2_S4_S4_S4_S4_S4_21rocsparse_index_base_PKT0_PKT1_PKS4_S5_PS6_PS9_PS4_SF_SG_SE_: ; @_ZN9rocsparseL21csr2bsr_65_inf_kernelILj32E21rocsparse_complex_numIfEilEEv20rocsparse_direction_T2_S4_S4_S4_S4_S4_21rocsparse_index_base_PKT0_PKT1_PKS4_S5_PS6_PS9_PS4_SF_SG_SE_
; %bb.0:
	s_clause 0x1
	s_load_b64 s[8:9], s[0:1], 0x18
	s_load_b128 s[4:7], s[0:1], 0x8
	s_bfe_u32 s10, ttmp6, 0x4000c
	s_clause 0x1
	s_load_b64 s[2:3], s[0:1], 0x78
	s_load_b32 s12, s[0:1], 0x58
	s_add_co_i32 s10, s10, 1
	s_and_b32 s11, ttmp6, 15
	s_mul_i32 s10, ttmp9, s10
	s_getreg_b32 s13, hwreg(HW_REG_IB_STS2, 6, 4)
	s_add_co_i32 s11, s11, s10
	s_cmp_eq_u32 s13, 0
	s_mov_b32 s21, 0
	s_cselect_b32 s20, ttmp9, s11
	s_mov_b64 s[22:23], 0
	s_wait_kmcnt 0x0
	v_cmp_le_i64_e64 s8, s[8:9], s[20:21]
	s_and_b32 vcc_lo, exec_lo, s8
	s_cbranch_vccnz .LBB98_2
; %bb.1:
	s_load_b64 s[8:9], s[0:1], 0x68
	s_lshl_b64 s[10:11], s[20:21], 2
	s_wait_kmcnt 0x0
	s_add_nc_u64 s[8:9], s[8:9], s[10:11]
	s_load_b32 s8, s[8:9], 0x0
	s_wait_kmcnt 0x0
	s_sub_co_i32 s22, s8, s12
	s_delay_alu instid0(SALU_CYCLE_1)
	s_ashr_i32 s23, s22, 31
.LBB98_2:
	s_clause 0x1
	s_load_b128 s[8:11], s[0:1], 0x28
	s_load_b32 s14, s[0:1], 0x38
	v_mov_b32_e32 v1, 0
	s_wait_kmcnt 0x0
	s_delay_alu instid0(VALU_DEP_1)
	v_mul_u64_e32 v[6:7], s[10:11], v[0:1]
	s_mul_u64 s[16:17], s[20:21], s[10:11]
	s_lshl_b64 s[18:19], s[10:11], 7
	s_lshl_b64 s[16:17], s[16:17], 8
	v_cmp_lt_i64_e64 s13, s[10:11], 1
	s_add_nc_u64 s[2:3], s[2:3], s[16:17]
	v_cmp_gt_i64_e64 s33, s[10:11], 0
	s_add_nc_u64 s[16:17], s[2:3], s[18:19]
	s_and_b32 vcc_lo, exec_lo, s13
	v_lshlrev_b64_e32 v[4:5], 2, v[6:7]
	s_delay_alu instid0(VALU_DEP_1)
	v_add_nc_u64_e32 v[2:3], s[2:3], v[4:5]
	v_add_nc_u64_e32 v[4:5], s[16:17], v[4:5]
	s_cbranch_vccnz .LBB98_7
; %bb.3:
	s_load_b64 s[2:3], s[0:1], 0x48
	s_mul_u64 s[16:17], s[8:9], s[20:21]
	s_delay_alu instid0(VALU_DEP_1)
	v_mov_b64_e32 v[10:11], v[4:5]
	v_add_nc_u64_e32 v[8:9], s[16:17], v[0:1]
	v_mov_b64_e32 v[12:13], v[0:1]
	v_mov_b64_e32 v[14:15], v[2:3]
	s_mov_b64 s[18:19], s[10:11]
	s_wait_kmcnt 0x0
	s_delay_alu instid0(VALU_DEP_3) | instskip(NEXT) | instid1(VALU_DEP_1)
	v_lshl_add_u64 v[8:9], v[8:9], 2, s[2:3]
	v_add_nc_u64_e32 v[8:9], 4, v[8:9]
	s_branch .LBB98_5
.LBB98_4:                               ;   in Loop: Header=BB98_5 Depth=1
	s_wait_xcnt 0x0
	s_or_b32 exec_lo, exec_lo, s2
	v_add_nc_u64_e32 v[14:15], 4, v[14:15]
	v_add_nc_u64_e32 v[8:9], 0x80, v[8:9]
	;; [unrolled: 1-line block ×4, first 2 shown]
	s_add_nc_u64 s[18:19], s[18:19], -1
	s_delay_alu instid0(SALU_CYCLE_1)
	s_cmp_eq_u64 s[18:19], 0
	s_cbranch_scc1 .LBB98_7
.LBB98_5:                               ; =>This Inner Loop Header: Depth=1
	s_delay_alu instid0(VALU_DEP_2)
	v_add_nc_u64_e32 v[16:17], s[16:17], v[12:13]
	v_cmp_gt_i64_e64 s2, s[8:9], v[12:13]
	global_store_b32 v[14:15], v1, off
	global_store_b32 v[10:11], v1, off
	v_cmp_gt_i64_e32 vcc_lo, s[4:5], v[16:17]
	s_and_b32 s3, vcc_lo, s2
	s_wait_xcnt 0x0
	s_and_saveexec_b32 s2, s3
	s_cbranch_execz .LBB98_4
; %bb.6:                                ;   in Loop: Header=BB98_5 Depth=1
	global_load_b64 v[16:17], v[8:9], off offset:-4
	s_wait_loadcnt 0x0
	v_subrev_nc_u32_e32 v16, s14, v16
	v_subrev_nc_u32_e32 v17, s14, v17
	global_store_b32 v[14:15], v16, off
	global_store_b32 v[10:11], v17, off
	s_branch .LBB98_4
.LBB98_7:
	v_cmp_lt_i64_e64 s2, s[6:7], 1
	s_and_b32 vcc_lo, exec_lo, s2
	s_cbranch_vccnz .LBB98_52
; %bb.8:
	v_mbcnt_lo_u32_b32 v10, -1, 0
	v_lshlrev_b64_e32 v[8:9], 3, v[6:7]
	s_clause 0x5
	s_load_b128 s[24:27], s[0:1], 0x80
	s_load_b64 s[28:29], s[0:1], 0x70
	s_load_b64 s[2:3], s[0:1], 0x60
	s_load_b64 s[4:5], s[0:1], 0x50
	s_load_b64 s[16:17], s[0:1], 0x40
	s_load_b32 s18, s[0:1], 0x0
	s_lshl_b64 s[30:31], s[10:11], 5
	v_xor_b32_e32 v15, 1, v10
	v_xor_b32_e32 v13, 2, v10
	;; [unrolled: 1-line block ×5, first 2 shown]
	s_wait_xcnt 0x0
	s_mul_u64 s[0:1], s[30:31], s[20:21]
	v_mov_b64_e32 v[20:21], 0
	s_lshl_b64 s[0:1], s[0:1], 3
	v_mov_b64_e32 v[18:19], 0
	v_cmp_gt_i32_e32 vcc_lo, 32, v6
	v_mov_b64_e32 v[16:17], 0
	v_mov_b32_e32 v43, 0x7c
	s_mov_b32 s19, 0
	s_mov_b32 s40, 0
	v_cndmask_b32_e32 v14, v10, v6, vcc_lo
	v_cmp_gt_i32_e32 vcc_lo, 32, v11
	s_wait_kmcnt 0x0
	s_add_nc_u64 s[20:21], s[24:25], s[0:1]
	s_add_nc_u64 s[0:1], s[26:27], s[0:1]
	v_add_nc_u64_e32 v[6:7], s[20:21], v[8:9]
	v_add_nc_u64_e32 v[8:9], s[0:1], v[8:9]
	v_cndmask_b32_e32 v11, v10, v11, vcc_lo
	v_cmp_gt_i32_e32 vcc_lo, 32, v12
	v_cmp_eq_u32_e64 s0, 31, v0
	s_lshl_b64 s[20:21], s[22:23], 3
	s_cmp_lg_u32 s18, 0
	v_dual_cndmask_b32 v12, v10, v12 :: v_dual_lshlrev_b32 v39, 2, v11
	v_cmp_gt_i32_e32 vcc_lo, 32, v13
	s_mov_b32 s15, s19
	s_mov_b32 s13, s19
	s_add_nc_u64 s[20:21], s[28:29], s[20:21]
	v_dual_cndmask_b32 v13, v10, v13 :: v_dual_lshlrev_b32 v40, 2, v12
	v_cmp_gt_i32_e32 vcc_lo, 32, v15
	v_lshlrev_b32_e32 v38, 2, v14
	s_cselect_b32 s38, -1, 0
	s_add_nc_u64 s[22:23], s[22:23], -1
	v_dual_cndmask_b32 v10, v10, v15 :: v_dual_lshlrev_b32 v41, 2, v13
	v_mov_b64_e32 v[14:15], 0
	s_lshl_b64 s[24:25], s[8:9], 3
	s_mov_b64 s[26:27], 0xffffffff
	s_lshl_b64 s[28:29], s[8:9], 8
	v_dual_lshlrev_b32 v42, 2, v10 :: v_dual_mov_b32 v10, 0
	v_lshlrev_b32_e32 v12, 3, v0
	s_ashr_i32 s30, s9, 31
	s_sub_co_i32 s39, 0, s8
	s_delay_alu instid0(VALU_DEP_2) | instskip(NEXT) | instid1(VALU_DEP_1)
	v_mov_b32_e32 v13, v10
	v_add_nc_u64_e32 v[12:13], s[2:3], v[12:13]
	s_branch .LBB98_10
.LBB98_9:                               ;   in Loop: Header=BB98_10 Depth=1
	s_wait_dscnt 0x2
	v_add_nc_u64_e32 v[20:21], 1, v[20:21]
	s_delay_alu instid0(VALU_DEP_1) | instskip(SKIP_1) | instid1(SALU_CYCLE_1)
	v_cmp_le_i64_e32 vcc_lo, s[6:7], v[20:21]
	s_or_b32 s40, vcc_lo, s40
	s_and_not1_b32 exec_lo, exec_lo, s40
	s_cbranch_execz .LBB98_52
.LBB98_10:                              ; =>This Loop Header: Depth=1
                                        ;     Child Loop BB98_14 Depth 2
                                        ;       Child Loop BB98_17 Depth 3
                                        ;     Child Loop BB98_33 Depth 2
	v_mov_b64_e32 v[22:23], s[6:7]
	s_and_not1_b32 vcc_lo, exec_lo, s33
	s_cbranch_vccnz .LBB98_23
; %bb.11:                               ;   in Loop: Header=BB98_10 Depth=1
	v_mov_b64_e32 v[22:23], s[6:7]
	s_mov_b64 s[34:35], 0
	s_branch .LBB98_14
.LBB98_12:                              ;   in Loop: Header=BB98_14 Depth=2
	s_wait_xcnt 0x0
	s_or_b32 exec_lo, exec_lo, s18
.LBB98_13:                              ;   in Loop: Header=BB98_14 Depth=2
	s_delay_alu instid0(SALU_CYCLE_1) | instskip(SKIP_1) | instid1(SALU_CYCLE_1)
	s_or_b32 exec_lo, exec_lo, s1
	s_add_nc_u64 s[34:35], s[34:35], 1
	s_cmp_eq_u64 s[34:35], s[10:11]
	s_cbranch_scc1 .LBB98_23
.LBB98_14:                              ;   Parent Loop BB98_10 Depth=1
                                        ; =>  This Loop Header: Depth=2
                                        ;       Child Loop BB98_17 Depth 3
	s_lshl_b64 s[36:37], s[34:35], 2
	v_mov_b64_e32 v[30:31], s[6:7]
	v_add_nc_u64_e32 v[24:25], s[36:37], v[2:3]
	v_add_nc_u64_e32 v[26:27], s[36:37], v[4:5]
	s_lshl_b64 s[36:37], s[34:35], 3
	s_mov_b32 s1, exec_lo
	v_add_nc_u64_e32 v[28:29], s[36:37], v[6:7]
	s_clause 0x1
	global_load_b32 v34, v[24:25], off
	global_load_b32 v11, v[26:27], off
	s_wait_xcnt 0x0
	v_add_nc_u64_e32 v[26:27], s[36:37], v[8:9]
	global_store_b64 v[26:27], v[14:15], off
	global_store_b64 v[28:29], v[30:31], off
	s_wait_loadcnt 0x0
	s_wait_xcnt 0x0
	v_cmpx_lt_i32_e64 v34, v11
	s_cbranch_execz .LBB98_13
; %bb.15:                               ;   in Loop: Header=BB98_14 Depth=2
	v_ashrrev_i32_e32 v35, 31, v34
	s_mov_b32 s18, 0
                                        ; implicit-def: $sgpr31
                                        ; implicit-def: $sgpr37
                                        ; implicit-def: $sgpr36
	s_delay_alu instid0(VALU_DEP_1)
	v_lshl_add_u64 v[36:37], v[34:35], 3, s[4:5]
	s_branch .LBB98_17
.LBB98_16:                              ;   in Loop: Header=BB98_17 Depth=3
	s_or_b32 exec_lo, exec_lo, s41
	s_delay_alu instid0(SALU_CYCLE_1) | instskip(NEXT) | instid1(SALU_CYCLE_1)
	s_and_b32 s41, exec_lo, s37
	s_or_b32 s18, s41, s18
	s_and_not1_b32 s31, s31, exec_lo
	s_and_b32 s41, s36, exec_lo
	s_delay_alu instid0(SALU_CYCLE_1)
	s_or_b32 s31, s31, s41
	s_and_not1_b32 exec_lo, exec_lo, s18
	s_cbranch_execz .LBB98_19
.LBB98_17:                              ;   Parent Loop BB98_10 Depth=1
                                        ;     Parent Loop BB98_14 Depth=2
                                        ; =>    This Inner Loop Header: Depth=3
	global_load_b64 v[30:31], v[36:37], off
	s_or_b32 s36, s36, exec_lo
	s_or_b32 s37, s37, exec_lo
	s_mov_b32 s41, exec_lo
	s_wait_loadcnt 0x0
	v_sub_nc_u64_e64 v[32:33], v[30:31], s[14:15]
	v_mov_b64_e32 v[30:31], v[34:35]
                                        ; implicit-def: $vgpr34_vgpr35
	s_wait_xcnt 0x0
	s_delay_alu instid0(VALU_DEP_2)
	v_cmpx_lt_i64_e64 v[32:33], v[20:21]
	s_cbranch_execz .LBB98_16
; %bb.18:                               ;   in Loop: Header=BB98_17 Depth=3
	s_delay_alu instid0(VALU_DEP_2) | instskip(SKIP_3) | instid1(VALU_DEP_2)
	v_add_nc_u64_e32 v[34:35], 1, v[30:31]
	v_add_nc_u64_e32 v[36:37], 8, v[36:37]
	s_and_not1_b32 s37, s37, exec_lo
	s_and_not1_b32 s36, s36, exec_lo
	v_cmp_ge_i32_e32 vcc_lo, v34, v11
	s_and_b32 s42, vcc_lo, exec_lo
	s_delay_alu instid0(SALU_CYCLE_1)
	s_or_b32 s37, s37, s42
	s_branch .LBB98_16
.LBB98_19:                              ;   in Loop: Header=BB98_14 Depth=2
	s_or_b32 exec_lo, exec_lo, s18
	v_lshl_add_u64 v[34:35], v[30:31], 3, s[16:17]
	s_xor_b32 s18, s31, -1
	s_delay_alu instid0(SALU_CYCLE_1) | instskip(NEXT) | instid1(SALU_CYCLE_1)
	s_and_saveexec_b32 s31, s18
	s_xor_b32 s18, exec_lo, s31
	s_cbranch_execz .LBB98_21
; %bb.20:                               ;   in Loop: Header=BB98_14 Depth=2
	global_load_b64 v[24:25], v[34:35], off
                                        ; implicit-def: $vgpr34_vgpr35
	s_wait_loadcnt 0x0
	global_store_b64 v[26:27], v[24:25], off
	global_store_b64 v[28:29], v[32:33], off
                                        ; implicit-def: $vgpr26_vgpr27
                                        ; implicit-def: $vgpr28_vgpr29
                                        ; implicit-def: $vgpr24_vgpr25
.LBB98_21:                              ;   in Loop: Header=BB98_14 Depth=2
	s_wait_xcnt 0x0
	s_and_not1_saveexec_b32 s18, s18
	s_cbranch_execz .LBB98_12
; %bb.22:                               ;   in Loop: Header=BB98_14 Depth=2
	global_load_b64 v[34:35], v[34:35], off
	v_min_i64 v[22:23], v[32:33], v[22:23]
	global_store_b64 v[28:29], v[32:33], off
	s_wait_loadcnt 0x0
	global_store_b64 v[26:27], v[34:35], off
	global_store_b32 v[24:25], v30, off
	s_branch .LBB98_12
.LBB98_23:                              ;   in Loop: Header=BB98_10 Depth=1
	ds_bpermute_b32 v20, v38, v22
	ds_bpermute_b32 v21, v38, v23
	s_wait_dscnt 0x0
	v_min_i64 v[20:21], v[20:21], v[22:23]
	ds_bpermute_b32 v22, v39, v20
	ds_bpermute_b32 v23, v39, v21
	s_wait_dscnt 0x0
	v_min_i64 v[20:21], v[22:23], v[20:21]
	;; [unrolled: 4-line block ×5, first 2 shown]
	s_delay_alu instid0(VALU_DEP_1) | instskip(SKIP_1) | instid1(SALU_CYCLE_1)
	v_cmp_gt_i64_e32 vcc_lo, s[6:7], v[20:21]
	s_and_b32 s1, s0, vcc_lo
	s_and_saveexec_b32 s36, s1
	s_cbranch_execz .LBB98_29
; %bb.24:                               ;   in Loop: Header=BB98_10 Depth=1
	v_or_b32_e32 v11, s9, v21
                                        ; implicit-def: $vgpr22_vgpr23
	s_mov_b32 s1, exec_lo
	s_delay_alu instid0(VALU_DEP_1)
	v_cmpx_ne_u64_e32 0, v[10:11]
	s_xor_b32 s37, exec_lo, s1
	s_cbranch_execnz .LBB98_50
; %bb.25:                               ;   in Loop: Header=BB98_10 Depth=1
	s_and_not1_saveexec_b32 s1, s37
	s_cbranch_execnz .LBB98_51
.LBB98_26:                              ;   in Loop: Header=BB98_10 Depth=1
	s_or_b32 exec_lo, exec_lo, s1
	s_delay_alu instid0(SALU_CYCLE_1) | instskip(NEXT) | instid1(VALU_DEP_1)
	s_mov_b32 s1, exec_lo
	v_cmpx_ge_i64_e64 v[22:23], v[18:19]
	s_cbranch_execz .LBB98_28
.LBB98_27:                              ;   in Loop: Header=BB98_10 Depth=1
	v_add_nc_u64_e32 v[24:25], s[12:13], v[22:23]
	v_lshl_add_u64 v[26:27], v[16:17], 3, s[20:21]
	v_add_nc_u64_e32 v[16:17], 1, v[16:17]
	v_add_nc_u64_e32 v[18:19], 1, v[22:23]
	global_store_b64 v[26:27], v[24:25], off
.LBB98_28:                              ;   in Loop: Header=BB98_10 Depth=1
	s_wait_xcnt 0x0
	s_or_b32 exec_lo, exec_lo, s1
.LBB98_29:                              ;   in Loop: Header=BB98_10 Depth=1
	s_delay_alu instid0(SALU_CYCLE_1)
	s_or_b32 exec_lo, exec_lo, s36
	ds_bpermute_b32 v20, v43, v20
	ds_bpermute_b32 v21, v43, v21
	ds_bpermute_b32 v16, v43, v16
	ds_bpermute_b32 v17, v43, v17
	s_and_not1_b32 vcc_lo, exec_lo, s33
	s_cbranch_vccnz .LBB98_9
; %bb.30:                               ;   in Loop: Header=BB98_10 Depth=1
	s_wait_dscnt 0x0
	v_dual_mov_b32 v11, v17 :: v_dual_mov_b32 v24, v16
	v_mov_b32_e32 v25, v10
	v_mov_b64_e32 v[30:31], v[12:13]
	s_mov_b64 s[34:35], s[10:11]
	s_delay_alu instid0(VALU_DEP_3) | instskip(NEXT) | instid1(VALU_DEP_1)
	v_add_nc_u64_e32 v[22:23], s[22:23], v[10:11]
	v_add_nc_u64_e32 v[26:27], v[22:23], v[24:25]
	;; [unrolled: 1-line block ×3, first 2 shown]
	s_delay_alu instid0(VALU_DEP_2) | instskip(NEXT) | instid1(VALU_DEP_2)
	v_mad_nc_u64_u32 v[28:29], s8, v26, v[0:1]
	v_mul_u64_e32 v[24:25], s[8:9], v[24:25]
	s_delay_alu instid0(VALU_DEP_2) | instskip(NEXT) | instid1(VALU_DEP_3)
	v_mad_u32 v11, s9, v26, v29
	v_mad_nc_u64_u32 v[22:23], s24, v28, s[2:3]
	s_delay_alu instid0(VALU_DEP_2) | instskip(NEXT) | instid1(VALU_DEP_2)
	v_mad_u32 v11, s8, v27, v11
	v_mad_u32 v23, s25, v28, v23
	v_mov_b64_e32 v[26:27], v[6:7]
	v_mov_b64_e32 v[28:29], v[8:9]
	s_delay_alu instid0(VALU_DEP_3)
	v_mad_u32 v23, s24, v11, v23
	s_branch .LBB98_33
.LBB98_31:                              ;   in Loop: Header=BB98_33 Depth=2
	s_or_b32 exec_lo, exec_lo, s1
	global_load_b64 v[32:33], v[28:29], off
	v_lshl_add_u64 v[34:35], v[34:35], 3, v[22:23]
	s_wait_loadcnt 0x0
	global_store_b64 v[34:35], v[32:33], off
.LBB98_32:                              ;   in Loop: Header=BB98_33 Depth=2
	s_wait_xcnt 0x0
	s_or_b32 exec_lo, exec_lo, s41
	v_add_nc_u64_e32 v[22:23], s[28:29], v[22:23]
	v_add_nc_u64_e32 v[30:31], 0x100, v[30:31]
	;; [unrolled: 1-line block ×4, first 2 shown]
	s_add_nc_u64 s[34:35], s[34:35], -1
	s_delay_alu instid0(SALU_CYCLE_1)
	s_cmp_eq_u64 s[34:35], 0
	s_cbranch_scc1 .LBB98_9
.LBB98_33:                              ;   Parent Loop BB98_10 Depth=1
                                        ; =>  This Inner Loop Header: Depth=2
	global_load_b64 v[32:33], v[26:27], off
	s_mov_b32 s41, exec_lo
	s_wait_loadcnt 0x0
	v_cmpx_gt_i64_e64 s[6:7], v[32:33]
	s_cbranch_execz .LBB98_32
; %bb.34:                               ;   in Loop: Header=BB98_33 Depth=2
	v_or_b32_e32 v44, s9, v33
                                        ; implicit-def: $vgpr34_vgpr35
	s_mov_b32 s1, exec_lo
	s_delay_alu instid0(VALU_DEP_1) | instskip(NEXT) | instid1(VALU_DEP_1)
	v_mov_b32_e32 v11, v44
	v_cmpx_ne_u64_e32 0, v[10:11]
	s_xor_b32 s42, exec_lo, s1
	s_cbranch_execz .LBB98_36
; %bb.35:                               ;   in Loop: Header=BB98_33 Depth=2
	s_mov_b32 s31, s30
	v_dual_mov_b32 v47, v10 :: v_dual_ashrrev_i32 v34, 31, v33
	s_add_nc_u64 s[36:37], s[8:9], s[30:31]
	v_mov_b32_e32 v55, v10
	s_xor_b64 s[36:37], s[36:37], s[30:31]
	s_delay_alu instid0(VALU_DEP_2) | instskip(SKIP_3) | instid1(VALU_DEP_1)
	v_mov_b32_e32 v35, v34
	s_cvt_f32_u32 s1, s36
	s_cvt_f32_u32 s18, s37
	s_sub_nc_u64 s[46:47], 0, s[36:37]
	v_add_nc_u64_e32 v[36:37], v[32:33], v[34:35]
	s_delay_alu instid0(SALU_CYCLE_1) | instskip(SKIP_1) | instid1(SALU_CYCLE_2)
	s_fmamk_f32 s1, s18, 0x4f800000, s1
	v_mov_b32_e32 v51, v10
	v_s_rcp_f32 s1, s1
	s_delay_alu instid0(VALU_DEP_2) | instskip(NEXT) | instid1(VALU_DEP_3)
	v_xor_b32_e32 v46, v36, v34
	v_xor_b32_e32 v50, v37, v34
	;; [unrolled: 1-line block ×3, first 2 shown]
	s_delay_alu instid0(TRANS32_DEP_1) | instskip(NEXT) | instid1(SALU_CYCLE_3)
	s_mul_f32 s1, s1, 0x5f7ffffc
	s_mul_f32 s18, s1, 0x2f800000
	s_delay_alu instid0(SALU_CYCLE_3) | instskip(NEXT) | instid1(SALU_CYCLE_3)
	s_trunc_f32 s18, s18
	s_fmamk_f32 s1, s18, 0xcf800000, s1
	s_cvt_u32_f32 s45, s18
	s_delay_alu instid0(SALU_CYCLE_2) | instskip(NEXT) | instid1(SALU_CYCLE_3)
	s_cvt_u32_f32 s44, s1
	s_mul_u64 s[48:49], s[46:47], s[44:45]
	s_delay_alu instid0(SALU_CYCLE_1)
	s_mul_hi_u32 s51, s44, s49
	s_mul_i32 s50, s44, s49
	s_mul_hi_u32 s18, s44, s48
	s_mul_i32 s31, s45, s48
	s_add_nc_u64 s[50:51], s[18:19], s[50:51]
	s_mul_hi_u32 s1, s45, s48
	s_mul_hi_u32 s43, s45, s49
	s_add_co_u32 s18, s50, s31
	s_add_co_ci_u32 s18, s51, s1
	s_mul_i32 s48, s45, s49
	s_add_co_ci_u32 s49, s43, 0
	s_delay_alu instid0(SALU_CYCLE_1) | instskip(NEXT) | instid1(SALU_CYCLE_1)
	s_add_nc_u64 s[48:49], s[18:19], s[48:49]
	s_add_co_u32 s44, s44, s48
	s_cselect_b32 s1, -1, 0
	s_delay_alu instid0(SALU_CYCLE_1) | instskip(SKIP_1) | instid1(SALU_CYCLE_1)
	s_cmp_lg_u32 s1, 0
	s_add_co_ci_u32 s45, s45, s49
	s_mul_u64 s[46:47], s[46:47], s[44:45]
	s_delay_alu instid0(SALU_CYCLE_1)
	s_mul_hi_u32 s49, s44, s47
	s_mul_i32 s48, s44, s47
	s_mul_hi_u32 s18, s44, s46
	s_mul_i32 s31, s45, s46
	s_add_nc_u64 s[48:49], s[18:19], s[48:49]
	s_mul_hi_u32 s1, s45, s46
	s_mul_hi_u32 s43, s45, s47
	s_add_co_u32 s18, s48, s31
	s_add_co_ci_u32 s18, s49, s1
	s_mul_i32 s46, s45, s47
	s_add_co_ci_u32 s47, s43, 0
	s_delay_alu instid0(SALU_CYCLE_1) | instskip(NEXT) | instid1(SALU_CYCLE_1)
	s_add_nc_u64 s[46:47], s[18:19], s[46:47]
	s_add_co_u32 s44, s44, s46
	s_cselect_b32 s1, -1, 0
	v_mul_hi_u32 v54, v46, s44
	s_cmp_lg_u32 s1, 0
	s_add_co_ci_u32 s18, s45, s47
	s_and_b64 s[46:47], s[44:45], s[26:27]
	v_mul_u64_e32 v[48:49], s[18:19], v[46:47]
	v_mul_u64_e32 v[36:37], s[46:47], v[50:51]
	;; [unrolled: 1-line block ×3, first 2 shown]
	s_delay_alu instid0(VALU_DEP_3) | instskip(NEXT) | instid1(VALU_DEP_1)
	v_add_nc_u64_e32 v[48:49], v[54:55], v[48:49]
	v_add_co_u32 v11, vcc_lo, v48, v36
	s_delay_alu instid0(VALU_DEP_2) | instskip(NEXT) | instid1(VALU_DEP_4)
	v_add_co_ci_u32_e32 v54, vcc_lo, v49, v37, vcc_lo
	v_add_co_ci_u32_e32 v53, vcc_lo, 0, v53, vcc_lo
	s_delay_alu instid0(VALU_DEP_1) | instskip(NEXT) | instid1(VALU_DEP_1)
	v_add_nc_u64_e32 v[36:37], v[54:55], v[52:53]
	v_mul_u64_e32 v[48:49], s[36:37], v[36:37]
	s_delay_alu instid0(VALU_DEP_1) | instskip(NEXT) | instid1(VALU_DEP_2)
	v_sub_nc_u32_e32 v11, v50, v49
	v_sub_co_u32 v35, vcc_lo, v46, v48
	s_delay_alu instid0(VALU_DEP_1) | instskip(NEXT) | instid1(VALU_DEP_3)
	v_sub_co_ci_u32_e64 v50, null, v50, v49, vcc_lo
	v_subrev_co_ci_u32_e64 v11, null, s37, v11, vcc_lo
	s_delay_alu instid0(VALU_DEP_3) | instskip(SKIP_1) | instid1(VALU_DEP_3)
	v_sub_co_u32 v45, s1, v35, s36
	v_add_nc_u64_e32 v[48:49], 1, v[36:37]
	v_subrev_co_ci_u32_e64 v11, null, 0, v11, s1
	s_delay_alu instid0(VALU_DEP_3) | instskip(SKIP_1) | instid1(VALU_DEP_3)
	v_cmp_le_u32_e32 vcc_lo, s36, v45
	v_cndmask_b32_e64 v45, 0, -1, vcc_lo
	v_cmp_le_u32_e32 vcc_lo, s37, v11
	v_cndmask_b32_e64 v46, 0, -1, vcc_lo
	;; [unrolled: 2-line block ×4, first 2 shown]
	v_cmp_eq_u32_e32 vcc_lo, s37, v11
	v_cndmask_b32_e32 v11, v46, v45, vcc_lo
	v_cmp_eq_u32_e32 vcc_lo, s37, v50
	v_add_nc_u64_e32 v[46:47], 2, v[36:37]
	v_cndmask_b32_e32 v35, v51, v35, vcc_lo
	s_delay_alu instid0(VALU_DEP_4) | instskip(NEXT) | instid1(VALU_DEP_2)
	v_cmp_ne_u32_e32 vcc_lo, 0, v11
	v_cmp_ne_u32_e64 s1, 0, v35
	s_delay_alu instid0(VALU_DEP_4) | instskip(NEXT) | instid1(VALU_DEP_1)
	v_dual_cndmask_b32 v11, v49, v47, vcc_lo :: v_dual_cndmask_b32 v35, v48, v46, vcc_lo
	v_dual_cndmask_b32 v36, v36, v35, s1 :: v_dual_mov_b32 v35, v34
	s_delay_alu instid0(VALU_DEP_1) | instskip(NEXT) | instid1(VALU_DEP_1)
	v_dual_cndmask_b32 v11, v37, v11, s1 :: v_dual_bitop2_b32 v36, v36, v34 bitop3:0x14
	v_xor_b32_e32 v37, v11, v34
	s_delay_alu instid0(VALU_DEP_1)
	v_sub_nc_u64_e32 v[34:35], v[36:37], v[34:35]
.LBB98_36:                              ;   in Loop: Header=BB98_33 Depth=2
	s_and_not1_saveexec_b32 s1, s42
	s_cbranch_execz .LBB98_38
; %bb.37:                               ;   in Loop: Header=BB98_33 Depth=2
	v_cvt_f32_u32_e32 v11, s8
	s_delay_alu instid0(VALU_DEP_1) | instskip(SKIP_1) | instid1(TRANS32_DEP_1)
	v_rcp_iflag_f32_e32 v11, v11
	v_nop
	v_mul_f32_e32 v11, 0x4f7ffffe, v11
	s_delay_alu instid0(VALU_DEP_1) | instskip(NEXT) | instid1(VALU_DEP_1)
	v_cvt_u32_f32_e32 v11, v11
	v_mul_lo_u32 v34, s39, v11
	s_delay_alu instid0(VALU_DEP_1) | instskip(NEXT) | instid1(VALU_DEP_1)
	v_mul_hi_u32 v34, v11, v34
	v_add_nc_u32_e32 v11, v11, v34
	s_delay_alu instid0(VALU_DEP_1) | instskip(NEXT) | instid1(VALU_DEP_1)
	v_mul_hi_u32 v11, v32, v11
	v_mul_lo_u32 v34, v11, s8
	s_delay_alu instid0(VALU_DEP_1) | instskip(NEXT) | instid1(VALU_DEP_1)
	v_dual_add_nc_u32 v35, 1, v11 :: v_dual_sub_nc_u32 v34, v32, v34
	v_subrev_nc_u32_e32 v36, s8, v34
	v_cmp_le_u32_e32 vcc_lo, s8, v34
	s_delay_alu instid0(VALU_DEP_2) | instskip(NEXT) | instid1(VALU_DEP_1)
	v_dual_cndmask_b32 v34, v34, v36 :: v_dual_cndmask_b32 v11, v11, v35
	v_cmp_le_u32_e32 vcc_lo, s8, v34
	s_delay_alu instid0(VALU_DEP_2) | instskip(NEXT) | instid1(VALU_DEP_1)
	v_add_nc_u32_e32 v35, 1, v11
	v_dual_cndmask_b32 v34, v11, v35 :: v_dual_mov_b32 v35, v10
.LBB98_38:                              ;   in Loop: Header=BB98_33 Depth=2
	s_or_b32 exec_lo, exec_lo, s1
	v_or_b32_e32 v11, s9, v21
                                        ; implicit-def: $vgpr36_vgpr37
	s_mov_b32 s1, exec_lo
	s_delay_alu instid0(VALU_DEP_1)
	v_cmpx_ne_u64_e32 0, v[10:11]
	s_xor_b32 s42, exec_lo, s1
	s_cbranch_execnz .LBB98_41
; %bb.39:                               ;   in Loop: Header=BB98_33 Depth=2
	s_and_not1_saveexec_b32 s1, s42
	s_cbranch_execnz .LBB98_42
.LBB98_40:                              ;   in Loop: Header=BB98_33 Depth=2
	s_or_b32 exec_lo, exec_lo, s1
	s_delay_alu instid0(VALU_DEP_1)
	v_cmp_eq_u64_e32 vcc_lo, v[34:35], v[36:37]
	s_and_b32 exec_lo, exec_lo, vcc_lo
	s_cbranch_execz .LBB98_32
	s_branch .LBB98_43
.LBB98_41:                              ;   in Loop: Header=BB98_33 Depth=2
	s_mov_b32 s31, s30
	v_dual_mov_b32 v49, v10 :: v_dual_ashrrev_i32 v36, 31, v21
	s_add_nc_u64 s[36:37], s[8:9], s[30:31]
	s_delay_alu instid0(SALU_CYCLE_1) | instskip(NEXT) | instid1(VALU_DEP_1)
	s_xor_b64 s[36:37], s[36:37], s[30:31]
	v_mov_b32_e32 v37, v36
	s_cvt_f32_u32 s1, s36
	s_cvt_f32_u32 s18, s37
	s_sub_nc_u64 s[46:47], 0, s[36:37]
	s_delay_alu instid0(VALU_DEP_1) | instskip(NEXT) | instid1(SALU_CYCLE_1)
	v_add_nc_u64_e32 v[46:47], v[20:21], v[36:37]
	s_fmamk_f32 s1, s18, 0x4f800000, s1
	v_mov_b32_e32 v53, v10
	s_delay_alu instid0(SALU_CYCLE_2) | instskip(NEXT) | instid1(VALU_DEP_2)
	v_s_rcp_f32 s1, s1
	v_xor_b32_e32 v48, v46, v36
	s_delay_alu instid0(VALU_DEP_3) | instskip(SKIP_1) | instid1(TRANS32_DEP_1)
	v_dual_mov_b32 v57, v10 :: v_dual_bitop2_b32 v52, v47, v36 bitop3:0x14
	v_xor_b32_e32 v36, s30, v36
	s_mul_f32 s1, s1, 0x5f7ffffc
	s_delay_alu instid0(SALU_CYCLE_3) | instskip(NEXT) | instid1(SALU_CYCLE_3)
	s_mul_f32 s18, s1, 0x2f800000
	s_trunc_f32 s18, s18
	s_delay_alu instid0(SALU_CYCLE_3) | instskip(SKIP_1) | instid1(SALU_CYCLE_2)
	s_fmamk_f32 s1, s18, 0xcf800000, s1
	s_cvt_u32_f32 s45, s18
	s_cvt_u32_f32 s44, s1
	s_delay_alu instid0(SALU_CYCLE_3) | instskip(NEXT) | instid1(SALU_CYCLE_1)
	s_mul_u64 s[48:49], s[46:47], s[44:45]
	s_mul_hi_u32 s51, s44, s49
	s_mul_i32 s50, s44, s49
	s_mul_hi_u32 s18, s44, s48
	s_mul_i32 s31, s45, s48
	s_add_nc_u64 s[50:51], s[18:19], s[50:51]
	s_mul_hi_u32 s1, s45, s48
	s_mul_hi_u32 s43, s45, s49
	s_add_co_u32 s18, s50, s31
	s_add_co_ci_u32 s18, s51, s1
	s_mul_i32 s48, s45, s49
	s_add_co_ci_u32 s49, s43, 0
	s_delay_alu instid0(SALU_CYCLE_1) | instskip(NEXT) | instid1(SALU_CYCLE_1)
	s_add_nc_u64 s[48:49], s[18:19], s[48:49]
	s_add_co_u32 s44, s44, s48
	s_cselect_b32 s1, -1, 0
	s_delay_alu instid0(SALU_CYCLE_1) | instskip(SKIP_1) | instid1(SALU_CYCLE_1)
	s_cmp_lg_u32 s1, 0
	s_add_co_ci_u32 s45, s45, s49
	s_mul_u64 s[46:47], s[46:47], s[44:45]
	s_delay_alu instid0(SALU_CYCLE_1)
	s_mul_hi_u32 s49, s44, s47
	s_mul_i32 s48, s44, s47
	s_mul_hi_u32 s18, s44, s46
	s_mul_i32 s31, s45, s46
	s_add_nc_u64 s[48:49], s[18:19], s[48:49]
	s_mul_hi_u32 s1, s45, s46
	s_mul_hi_u32 s43, s45, s47
	s_add_co_u32 s18, s48, s31
	s_add_co_ci_u32 s18, s49, s1
	s_mul_i32 s46, s45, s47
	s_add_co_ci_u32 s47, s43, 0
	s_delay_alu instid0(SALU_CYCLE_1) | instskip(NEXT) | instid1(SALU_CYCLE_1)
	s_add_nc_u64 s[46:47], s[18:19], s[46:47]
	s_add_co_u32 s44, s44, s46
	s_cselect_b32 s1, -1, 0
	v_mul_hi_u32 v56, v48, s44
	s_cmp_lg_u32 s1, 0
	s_add_co_ci_u32 s18, s45, s47
	s_and_b64 s[46:47], s[44:45], s[26:27]
	v_mul_u64_e32 v[50:51], s[18:19], v[48:49]
	v_mul_u64_e32 v[46:47], s[46:47], v[52:53]
	;; [unrolled: 1-line block ×3, first 2 shown]
	s_delay_alu instid0(VALU_DEP_3) | instskip(NEXT) | instid1(VALU_DEP_1)
	v_add_nc_u64_e32 v[50:51], v[56:57], v[50:51]
	v_add_co_u32 v11, vcc_lo, v50, v46
	s_delay_alu instid0(VALU_DEP_2) | instskip(NEXT) | instid1(VALU_DEP_4)
	v_add_co_ci_u32_e32 v56, vcc_lo, v51, v47, vcc_lo
	v_add_co_ci_u32_e32 v55, vcc_lo, 0, v55, vcc_lo
	s_delay_alu instid0(VALU_DEP_1) | instskip(NEXT) | instid1(VALU_DEP_1)
	v_add_nc_u64_e32 v[46:47], v[56:57], v[54:55]
	v_mul_u64_e32 v[50:51], s[36:37], v[46:47]
	s_delay_alu instid0(VALU_DEP_1) | instskip(NEXT) | instid1(VALU_DEP_2)
	v_sub_nc_u32_e32 v11, v52, v51
	v_sub_co_u32 v37, vcc_lo, v48, v50
	s_delay_alu instid0(VALU_DEP_1) | instskip(NEXT) | instid1(VALU_DEP_3)
	v_sub_co_ci_u32_e64 v52, null, v52, v51, vcc_lo
	v_subrev_co_ci_u32_e64 v11, null, s37, v11, vcc_lo
	s_delay_alu instid0(VALU_DEP_3) | instskip(SKIP_1) | instid1(VALU_DEP_3)
	v_sub_co_u32 v45, s1, v37, s36
	v_add_nc_u64_e32 v[50:51], 1, v[46:47]
	v_subrev_co_ci_u32_e64 v11, null, 0, v11, s1
	s_delay_alu instid0(VALU_DEP_3) | instskip(SKIP_1) | instid1(VALU_DEP_3)
	v_cmp_le_u32_e32 vcc_lo, s36, v45
	v_cndmask_b32_e64 v45, 0, -1, vcc_lo
	v_cmp_le_u32_e32 vcc_lo, s37, v11
	v_cndmask_b32_e64 v48, 0, -1, vcc_lo
	;; [unrolled: 2-line block ×4, first 2 shown]
	v_cmp_eq_u32_e32 vcc_lo, s37, v11
	v_cndmask_b32_e32 v11, v48, v45, vcc_lo
	v_cmp_eq_u32_e32 vcc_lo, s37, v52
	v_add_nc_u64_e32 v[48:49], 2, v[46:47]
	v_cndmask_b32_e32 v37, v53, v37, vcc_lo
	s_delay_alu instid0(VALU_DEP_4) | instskip(NEXT) | instid1(VALU_DEP_2)
	v_cmp_ne_u32_e32 vcc_lo, 0, v11
	v_cmp_ne_u32_e64 s1, 0, v37
	s_delay_alu instid0(VALU_DEP_4) | instskip(NEXT) | instid1(VALU_DEP_1)
	v_dual_cndmask_b32 v11, v51, v49, vcc_lo :: v_dual_cndmask_b32 v37, v50, v48, vcc_lo
	v_dual_cndmask_b32 v45, v46, v37, s1 :: v_dual_mov_b32 v37, v36
	s_delay_alu instid0(VALU_DEP_1) | instskip(NEXT) | instid1(VALU_DEP_1)
	v_dual_cndmask_b32 v11, v47, v11, s1 :: v_dual_bitop2_b32 v46, v45, v36 bitop3:0x14
	v_xor_b32_e32 v47, v11, v36
	s_delay_alu instid0(VALU_DEP_1)
	v_sub_nc_u64_e32 v[36:37], v[46:47], v[36:37]
	s_and_not1_saveexec_b32 s1, s42
	s_cbranch_execz .LBB98_40
.LBB98_42:                              ;   in Loop: Header=BB98_33 Depth=2
	v_cvt_f32_u32_e32 v11, s8
	s_delay_alu instid0(VALU_DEP_1) | instskip(SKIP_1) | instid1(TRANS32_DEP_1)
	v_rcp_iflag_f32_e32 v11, v11
	v_nop
	v_mul_f32_e32 v11, 0x4f7ffffe, v11
	s_delay_alu instid0(VALU_DEP_1) | instskip(NEXT) | instid1(VALU_DEP_1)
	v_cvt_u32_f32_e32 v11, v11
	v_mul_lo_u32 v36, s39, v11
	s_delay_alu instid0(VALU_DEP_1) | instskip(NEXT) | instid1(VALU_DEP_1)
	v_mul_hi_u32 v36, v11, v36
	v_add_nc_u32_e32 v11, v11, v36
	s_delay_alu instid0(VALU_DEP_1) | instskip(NEXT) | instid1(VALU_DEP_1)
	v_mul_hi_u32 v11, v20, v11
	v_mul_lo_u32 v36, v11, s8
	s_delay_alu instid0(VALU_DEP_1) | instskip(NEXT) | instid1(VALU_DEP_1)
	v_dual_add_nc_u32 v37, 1, v11 :: v_dual_sub_nc_u32 v36, v20, v36
	v_subrev_nc_u32_e32 v45, s8, v36
	v_cmp_le_u32_e32 vcc_lo, s8, v36
	s_delay_alu instid0(VALU_DEP_2) | instskip(NEXT) | instid1(VALU_DEP_4)
	v_cndmask_b32_e32 v36, v36, v45, vcc_lo
	v_cndmask_b32_e32 v11, v11, v37, vcc_lo
	s_delay_alu instid0(VALU_DEP_2) | instskip(NEXT) | instid1(VALU_DEP_2)
	v_cmp_le_u32_e32 vcc_lo, s8, v36
	v_add_nc_u32_e32 v37, 1, v11
	s_delay_alu instid0(VALU_DEP_1) | instskip(SKIP_1) | instid1(VALU_DEP_1)
	v_dual_cndmask_b32 v36, v11, v37 :: v_dual_mov_b32 v37, v10
	s_or_b32 exec_lo, exec_lo, s1
	v_cmp_eq_u64_e32 vcc_lo, v[34:35], v[36:37]
	s_and_b32 exec_lo, exec_lo, vcc_lo
	s_cbranch_execz .LBB98_32
.LBB98_43:                              ;   in Loop: Header=BB98_33 Depth=2
	s_and_b32 vcc_lo, exec_lo, s38
	s_cbranch_vccz .LBB98_45
; %bb.44:                               ;   in Loop: Header=BB98_33 Depth=2
	global_load_b64 v[36:37], v[28:29], off
	v_mul_u64_e32 v[34:35], s[8:9], v[34:35]
	s_delay_alu instid0(VALU_DEP_1) | instskip(NEXT) | instid1(VALU_DEP_1)
	v_sub_nc_u64_e32 v[34:35], v[32:33], v[34:35]
	v_add_nc_u64_e32 v[34:35], v[34:35], v[24:25]
	s_delay_alu instid0(VALU_DEP_1) | instskip(NEXT) | instid1(VALU_DEP_1)
	v_mad_nc_u64_u32 v[46:47], s24, v34, v[30:31]
	v_mad_u32 v11, s25, v34, v47
	s_delay_alu instid0(VALU_DEP_1)
	v_mad_u32 v47, s24, v35, v11
	s_wait_loadcnt 0x0
	global_store_b64 v[46:47], v[36:37], off
	s_cbranch_execnz .LBB98_32
	s_branch .LBB98_46
.LBB98_45:                              ;   in Loop: Header=BB98_33 Depth=2
.LBB98_46:                              ;   in Loop: Header=BB98_33 Depth=2
	v_mov_b32_e32 v11, v44
                                        ; implicit-def: $vgpr34_vgpr35
	s_mov_b32 s1, exec_lo
	s_wait_xcnt 0x0
	s_delay_alu instid0(VALU_DEP_1)
	v_cmpx_ne_u64_e32 0, v[10:11]
	s_xor_b32 s42, exec_lo, s1
	s_cbranch_execz .LBB98_48
; %bb.47:                               ;   in Loop: Header=BB98_33 Depth=2
	s_mov_b32 s31, s30
	v_dual_mov_b32 v37, v10 :: v_dual_ashrrev_i32 v34, 31, v33
	s_add_nc_u64 s[36:37], s[8:9], s[30:31]
	v_mov_b32_e32 v51, v10
	s_xor_b64 s[36:37], s[36:37], s[30:31]
	s_delay_alu instid0(VALU_DEP_2) | instskip(SKIP_3) | instid1(VALU_DEP_1)
	v_mov_b32_e32 v35, v34
	s_cvt_f32_u32 s1, s36
	s_cvt_f32_u32 s18, s37
	s_sub_nc_u64 s[46:47], 0, s[36:37]
	v_add_nc_u64_e32 v[32:33], v[32:33], v[34:35]
	s_delay_alu instid0(SALU_CYCLE_1) | instskip(SKIP_1) | instid1(SALU_CYCLE_2)
	s_fmamk_f32 s1, s18, 0x4f800000, s1
	v_mov_b32_e32 v47, v10
	v_s_rcp_f32 s1, s1
	s_delay_alu instid0(VALU_DEP_2) | instskip(NEXT) | instid1(VALU_DEP_3)
	v_xor_b32_e32 v36, v32, v34
	v_xor_b32_e32 v46, v33, v34
	s_delay_alu instid0(TRANS32_DEP_1) | instskip(NEXT) | instid1(SALU_CYCLE_3)
	s_mul_f32 s1, s1, 0x5f7ffffc
	s_mul_f32 s18, s1, 0x2f800000
	s_delay_alu instid0(SALU_CYCLE_3) | instskip(NEXT) | instid1(SALU_CYCLE_3)
	s_trunc_f32 s18, s18
	s_fmamk_f32 s1, s18, 0xcf800000, s1
	s_cvt_u32_f32 s45, s18
	s_delay_alu instid0(SALU_CYCLE_2) | instskip(NEXT) | instid1(SALU_CYCLE_3)
	s_cvt_u32_f32 s44, s1
	s_mul_u64 s[48:49], s[46:47], s[44:45]
	s_delay_alu instid0(SALU_CYCLE_1)
	s_mul_hi_u32 s51, s44, s49
	s_mul_i32 s50, s44, s49
	s_mul_hi_u32 s18, s44, s48
	s_mul_i32 s31, s45, s48
	s_add_nc_u64 s[50:51], s[18:19], s[50:51]
	s_mul_hi_u32 s1, s45, s48
	s_mul_hi_u32 s43, s45, s49
	s_add_co_u32 s18, s50, s31
	s_add_co_ci_u32 s18, s51, s1
	s_mul_i32 s48, s45, s49
	s_add_co_ci_u32 s49, s43, 0
	s_delay_alu instid0(SALU_CYCLE_1) | instskip(NEXT) | instid1(SALU_CYCLE_1)
	s_add_nc_u64 s[48:49], s[18:19], s[48:49]
	s_add_co_u32 s44, s44, s48
	s_cselect_b32 s1, -1, 0
	s_delay_alu instid0(SALU_CYCLE_1) | instskip(SKIP_1) | instid1(SALU_CYCLE_1)
	s_cmp_lg_u32 s1, 0
	s_add_co_ci_u32 s45, s45, s49
	s_mul_u64 s[46:47], s[46:47], s[44:45]
	s_delay_alu instid0(SALU_CYCLE_1)
	s_mul_hi_u32 s49, s44, s47
	s_mul_i32 s48, s44, s47
	s_mul_hi_u32 s18, s44, s46
	s_mul_i32 s31, s45, s46
	s_add_nc_u64 s[48:49], s[18:19], s[48:49]
	s_mul_hi_u32 s1, s45, s46
	s_mul_hi_u32 s43, s45, s47
	s_add_co_u32 s18, s48, s31
	s_add_co_ci_u32 s18, s49, s1
	s_mul_i32 s46, s45, s47
	s_add_co_ci_u32 s47, s43, 0
	s_delay_alu instid0(SALU_CYCLE_1) | instskip(NEXT) | instid1(SALU_CYCLE_1)
	s_add_nc_u64 s[46:47], s[18:19], s[46:47]
	s_add_co_u32 s44, s44, s46
	s_cselect_b32 s1, -1, 0
	v_mul_hi_u32 v50, v36, s44
	s_cmp_lg_u32 s1, 0
	s_add_co_ci_u32 s18, s45, s47
	s_and_b64 s[46:47], s[44:45], s[26:27]
	v_mul_u64_e32 v[44:45], s[18:19], v[36:37]
	v_mul_u64_e32 v[32:33], s[46:47], v[46:47]
	;; [unrolled: 1-line block ×3, first 2 shown]
	s_delay_alu instid0(VALU_DEP_3) | instskip(NEXT) | instid1(VALU_DEP_1)
	v_add_nc_u64_e32 v[44:45], v[50:51], v[44:45]
	v_add_co_u32 v11, vcc_lo, v44, v32
	s_delay_alu instid0(VALU_DEP_2) | instskip(NEXT) | instid1(VALU_DEP_4)
	v_add_co_ci_u32_e32 v50, vcc_lo, v45, v33, vcc_lo
	v_add_co_ci_u32_e32 v49, vcc_lo, 0, v49, vcc_lo
	s_delay_alu instid0(VALU_DEP_1) | instskip(NEXT) | instid1(VALU_DEP_1)
	v_add_nc_u64_e32 v[32:33], v[50:51], v[48:49]
	v_mul_u64_e32 v[32:33], s[36:37], v[32:33]
	s_delay_alu instid0(VALU_DEP_1) | instskip(NEXT) | instid1(VALU_DEP_2)
	v_sub_nc_u32_e32 v11, v46, v33
	v_sub_co_u32 v32, vcc_lo, v36, v32
	s_delay_alu instid0(VALU_DEP_1) | instskip(NEXT) | instid1(VALU_DEP_3)
	v_sub_co_ci_u32_e64 v33, null, v46, v33, vcc_lo
	v_subrev_co_ci_u32_e64 v11, null, s37, v11, vcc_lo
	s_delay_alu instid0(VALU_DEP_3) | instskip(SKIP_1) | instid1(VALU_DEP_3)
	v_sub_co_u32 v36, vcc_lo, v32, s36
	v_cmp_le_u32_e64 s1, s36, v32
	v_subrev_co_ci_u32_e64 v37, null, 0, v11, vcc_lo
	v_subrev_co_ci_u32_e64 v11, null, s37, v11, vcc_lo
	s_delay_alu instid0(VALU_DEP_3) | instskip(SKIP_2) | instid1(VALU_DEP_2)
	v_cndmask_b32_e64 v44, 0, -1, s1
	v_cmp_le_u32_e64 s1, s36, v36
	v_cmp_le_u32_e32 vcc_lo, s37, v33
	v_cndmask_b32_e64 v45, 0, -1, s1
	v_cmp_le_u32_e64 s1, s37, v37
	v_cndmask_b32_e64 v47, 0, -1, vcc_lo
	v_cmp_eq_u32_e32 vcc_lo, s37, v37
	s_delay_alu instid0(VALU_DEP_3) | instskip(SKIP_1) | instid1(VALU_DEP_2)
	v_cndmask_b32_e64 v46, 0, -1, s1
	v_cmp_eq_u32_e64 s1, s37, v33
	v_cndmask_b32_e32 v45, v46, v45, vcc_lo
	v_sub_co_u32 v46, vcc_lo, v36, s36
	s_delay_alu instid0(VALU_DEP_1) | instskip(NEXT) | instid1(VALU_DEP_3)
	v_subrev_co_ci_u32_e64 v11, null, 0, v11, vcc_lo
	v_cmp_ne_u32_e32 vcc_lo, 0, v45
	s_delay_alu instid0(VALU_DEP_2) | instskip(NEXT) | instid1(VALU_DEP_4)
	v_dual_cndmask_b32 v44, v47, v44, s1 :: v_dual_cndmask_b32 v11, v37, v11, vcc_lo
	v_cndmask_b32_e32 v36, v36, v46, vcc_lo
	s_delay_alu instid0(VALU_DEP_2) | instskip(NEXT) | instid1(VALU_DEP_2)
	v_cmp_ne_u32_e32 vcc_lo, 0, v44
	v_dual_cndmask_b32 v11, v33, v11 :: v_dual_cndmask_b32 v32, v32, v36
	s_delay_alu instid0(VALU_DEP_1) | instskip(NEXT) | instid1(VALU_DEP_2)
	v_xor_b32_e32 v33, v11, v34
	v_xor_b32_e32 v32, v32, v34
	s_delay_alu instid0(VALU_DEP_1)
	v_sub_nc_u64_e32 v[34:35], v[32:33], v[34:35]
                                        ; implicit-def: $vgpr32_vgpr33
.LBB98_48:                              ;   in Loop: Header=BB98_33 Depth=2
	s_and_not1_saveexec_b32 s1, s42
	s_cbranch_execz .LBB98_31
; %bb.49:                               ;   in Loop: Header=BB98_33 Depth=2
	v_cvt_f32_u32_e32 v11, s8
	v_mov_b32_e32 v35, v10
	s_delay_alu instid0(VALU_DEP_2) | instskip(SKIP_1) | instid1(TRANS32_DEP_1)
	v_rcp_iflag_f32_e32 v11, v11
	v_nop
	v_mul_f32_e32 v11, 0x4f7ffffe, v11
	s_delay_alu instid0(VALU_DEP_1) | instskip(NEXT) | instid1(VALU_DEP_1)
	v_cvt_u32_f32_e32 v11, v11
	v_mul_lo_u32 v33, s39, v11
	s_delay_alu instid0(VALU_DEP_1) | instskip(NEXT) | instid1(VALU_DEP_1)
	v_mul_hi_u32 v33, v11, v33
	v_add_nc_u32_e32 v11, v11, v33
	s_delay_alu instid0(VALU_DEP_1) | instskip(NEXT) | instid1(VALU_DEP_1)
	v_mul_hi_u32 v11, v32, v11
	v_mul_lo_u32 v11, v11, s8
	s_delay_alu instid0(VALU_DEP_1) | instskip(NEXT) | instid1(VALU_DEP_1)
	v_sub_nc_u32_e32 v11, v32, v11
	v_subrev_nc_u32_e32 v32, s8, v11
	v_cmp_le_u32_e32 vcc_lo, s8, v11
	s_delay_alu instid0(VALU_DEP_2) | instskip(NEXT) | instid1(VALU_DEP_1)
	v_cndmask_b32_e32 v11, v11, v32, vcc_lo
	v_subrev_nc_u32_e32 v32, s8, v11
	v_cmp_le_u32_e32 vcc_lo, s8, v11
	s_delay_alu instid0(VALU_DEP_2)
	v_cndmask_b32_e32 v34, v11, v32, vcc_lo
	s_branch .LBB98_31
.LBB98_50:                              ;   in Loop: Header=BB98_10 Depth=1
	s_mov_b32 s31, s30
	v_dual_mov_b32 v27, v10 :: v_dual_ashrrev_i32 v22, 31, v21
	s_add_nc_u64 s[34:35], s[8:9], s[30:31]
	v_mov_b32_e32 v35, v10
	s_xor_b64 s[34:35], s[34:35], s[30:31]
	s_delay_alu instid0(VALU_DEP_2) | instskip(SKIP_3) | instid1(VALU_DEP_1)
	v_mov_b32_e32 v23, v22
	s_cvt_f32_u32 s1, s34
	s_cvt_f32_u32 s18, s35
	s_sub_nc_u64 s[44:45], 0, s[34:35]
	v_add_nc_u64_e32 v[24:25], v[20:21], v[22:23]
	s_delay_alu instid0(SALU_CYCLE_1) | instskip(SKIP_1) | instid1(SALU_CYCLE_2)
	s_fmamk_f32 s1, s18, 0x4f800000, s1
	v_mov_b32_e32 v31, v10
	v_s_rcp_f32 s1, s1
	s_delay_alu instid0(VALU_DEP_2) | instskip(NEXT) | instid1(VALU_DEP_3)
	v_xor_b32_e32 v26, v24, v22
	v_xor_b32_e32 v30, v25, v22
	s_delay_alu instid0(TRANS32_DEP_1) | instskip(NEXT) | instid1(SALU_CYCLE_3)
	s_mul_f32 s1, s1, 0x5f7ffffc
	s_mul_f32 s18, s1, 0x2f800000
	s_delay_alu instid0(SALU_CYCLE_3) | instskip(NEXT) | instid1(SALU_CYCLE_3)
	s_trunc_f32 s18, s18
	s_fmamk_f32 s1, s18, 0xcf800000, s1
	s_cvt_u32_f32 s43, s18
	s_delay_alu instid0(SALU_CYCLE_2) | instskip(NEXT) | instid1(SALU_CYCLE_3)
	s_cvt_u32_f32 s42, s1
	s_mul_u64 s[46:47], s[44:45], s[42:43]
	s_delay_alu instid0(SALU_CYCLE_1)
	s_mul_hi_u32 s49, s42, s47
	s_mul_i32 s48, s42, s47
	s_mul_hi_u32 s18, s42, s46
	s_mul_i32 s31, s43, s46
	s_add_nc_u64 s[48:49], s[18:19], s[48:49]
	s_mul_hi_u32 s1, s43, s46
	s_mul_hi_u32 s41, s43, s47
	s_add_co_u32 s18, s48, s31
	s_add_co_ci_u32 s18, s49, s1
	s_mul_i32 s46, s43, s47
	s_add_co_ci_u32 s47, s41, 0
	s_delay_alu instid0(SALU_CYCLE_1) | instskip(NEXT) | instid1(SALU_CYCLE_1)
	s_add_nc_u64 s[46:47], s[18:19], s[46:47]
	s_add_co_u32 s42, s42, s46
	s_cselect_b32 s1, -1, 0
	s_delay_alu instid0(SALU_CYCLE_1) | instskip(SKIP_1) | instid1(SALU_CYCLE_1)
	s_cmp_lg_u32 s1, 0
	s_add_co_ci_u32 s43, s43, s47
	s_mul_u64 s[44:45], s[44:45], s[42:43]
	s_delay_alu instid0(SALU_CYCLE_1)
	s_mul_hi_u32 s47, s42, s45
	s_mul_i32 s46, s42, s45
	s_mul_hi_u32 s18, s42, s44
	s_mul_i32 s31, s43, s44
	s_add_nc_u64 s[46:47], s[18:19], s[46:47]
	s_mul_hi_u32 s1, s43, s44
	s_mul_hi_u32 s41, s43, s45
	s_add_co_u32 s18, s46, s31
	s_add_co_ci_u32 s18, s47, s1
	s_mul_i32 s44, s43, s45
	s_add_co_ci_u32 s45, s41, 0
	s_delay_alu instid0(SALU_CYCLE_1) | instskip(NEXT) | instid1(SALU_CYCLE_1)
	s_add_nc_u64 s[44:45], s[18:19], s[44:45]
	s_add_co_u32 s42, s42, s44
	s_cselect_b32 s1, -1, 0
	v_mul_hi_u32 v34, v26, s42
	s_cmp_lg_u32 s1, 0
	s_add_co_ci_u32 s18, s43, s45
	s_and_b64 s[44:45], s[42:43], s[26:27]
	v_mul_u64_e32 v[28:29], s[18:19], v[26:27]
	v_mul_u64_e32 v[24:25], s[44:45], v[30:31]
	;; [unrolled: 1-line block ×3, first 2 shown]
	s_delay_alu instid0(VALU_DEP_3) | instskip(NEXT) | instid1(VALU_DEP_1)
	v_add_nc_u64_e32 v[28:29], v[34:35], v[28:29]
	v_add_co_u32 v11, vcc_lo, v28, v24
	s_delay_alu instid0(VALU_DEP_2) | instskip(NEXT) | instid1(VALU_DEP_4)
	v_add_co_ci_u32_e32 v34, vcc_lo, v29, v25, vcc_lo
	v_add_co_ci_u32_e32 v33, vcc_lo, 0, v33, vcc_lo
	s_delay_alu instid0(VALU_DEP_1) | instskip(NEXT) | instid1(VALU_DEP_1)
	v_add_nc_u64_e32 v[24:25], v[34:35], v[32:33]
	v_mul_u64_e32 v[28:29], s[34:35], v[24:25]
	s_delay_alu instid0(VALU_DEP_1) | instskip(NEXT) | instid1(VALU_DEP_2)
	v_sub_nc_u32_e32 v11, v30, v29
	v_sub_co_u32 v23, vcc_lo, v26, v28
	s_delay_alu instid0(VALU_DEP_1) | instskip(NEXT) | instid1(VALU_DEP_3)
	v_sub_co_ci_u32_e64 v30, null, v30, v29, vcc_lo
	v_subrev_co_ci_u32_e64 v11, null, s35, v11, vcc_lo
	s_delay_alu instid0(VALU_DEP_3) | instskip(SKIP_1) | instid1(VALU_DEP_3)
	v_sub_co_u32 v26, s1, v23, s34
	v_add_nc_u64_e32 v[28:29], 1, v[24:25]
	v_subrev_co_ci_u32_e64 v11, null, 0, v11, s1
	s_delay_alu instid0(VALU_DEP_3) | instskip(SKIP_1) | instid1(VALU_DEP_3)
	v_cmp_le_u32_e32 vcc_lo, s34, v26
	v_cndmask_b32_e64 v26, 0, -1, vcc_lo
	v_cmp_le_u32_e32 vcc_lo, s35, v11
	v_cndmask_b32_e64 v27, 0, -1, vcc_lo
	;; [unrolled: 2-line block ×4, first 2 shown]
	v_cmp_eq_u32_e32 vcc_lo, s35, v11
	v_cndmask_b32_e32 v11, v27, v26, vcc_lo
	v_cmp_eq_u32_e32 vcc_lo, s35, v30
	v_add_nc_u64_e32 v[26:27], 2, v[24:25]
	v_cndmask_b32_e32 v23, v31, v23, vcc_lo
	s_delay_alu instid0(VALU_DEP_4) | instskip(NEXT) | instid1(VALU_DEP_2)
	v_cmp_ne_u32_e32 vcc_lo, 0, v11
	v_cmp_ne_u32_e64 s1, 0, v23
	s_delay_alu instid0(VALU_DEP_4) | instskip(NEXT) | instid1(VALU_DEP_1)
	v_dual_cndmask_b32 v11, v29, v27, vcc_lo :: v_dual_cndmask_b32 v23, v28, v26, vcc_lo
	v_dual_cndmask_b32 v11, v25, v11, s1 :: v_dual_bitop2_b32 v22, s30, v22 bitop3:0x14
	s_delay_alu instid0(VALU_DEP_1) | instskip(NEXT) | instid1(VALU_DEP_2)
	v_dual_cndmask_b32 v24, v24, v23, s1 :: v_dual_mov_b32 v23, v22
	v_xor_b32_e32 v25, v11, v22
	s_delay_alu instid0(VALU_DEP_2) | instskip(NEXT) | instid1(VALU_DEP_1)
	v_xor_b32_e32 v24, v24, v22
	v_sub_nc_u64_e32 v[22:23], v[24:25], v[22:23]
	s_and_not1_saveexec_b32 s1, s37
	s_cbranch_execz .LBB98_26
.LBB98_51:                              ;   in Loop: Header=BB98_10 Depth=1
	v_cvt_f32_u32_e32 v11, s8
	s_delay_alu instid0(VALU_DEP_1) | instskip(SKIP_1) | instid1(TRANS32_DEP_1)
	v_rcp_iflag_f32_e32 v11, v11
	v_nop
	v_mul_f32_e32 v11, 0x4f7ffffe, v11
	s_delay_alu instid0(VALU_DEP_1) | instskip(NEXT) | instid1(VALU_DEP_1)
	v_cvt_u32_f32_e32 v11, v11
	v_mul_lo_u32 v22, s39, v11
	s_delay_alu instid0(VALU_DEP_1) | instskip(NEXT) | instid1(VALU_DEP_1)
	v_mul_hi_u32 v22, v11, v22
	v_add_nc_u32_e32 v11, v11, v22
	s_delay_alu instid0(VALU_DEP_1) | instskip(NEXT) | instid1(VALU_DEP_1)
	v_mul_hi_u32 v11, v20, v11
	v_mul_lo_u32 v22, v11, s8
	s_delay_alu instid0(VALU_DEP_1) | instskip(NEXT) | instid1(VALU_DEP_1)
	v_dual_add_nc_u32 v23, 1, v11 :: v_dual_sub_nc_u32 v22, v20, v22
	v_subrev_nc_u32_e32 v24, s8, v22
	v_cmp_le_u32_e32 vcc_lo, s8, v22
	s_delay_alu instid0(VALU_DEP_2) | instskip(NEXT) | instid1(VALU_DEP_1)
	v_dual_cndmask_b32 v22, v22, v24 :: v_dual_cndmask_b32 v11, v11, v23
	v_cmp_le_u32_e32 vcc_lo, s8, v22
	s_delay_alu instid0(VALU_DEP_2) | instskip(NEXT) | instid1(VALU_DEP_1)
	v_add_nc_u32_e32 v23, 1, v11
	v_dual_cndmask_b32 v22, v11, v23 :: v_dual_mov_b32 v23, v10
	s_or_b32 exec_lo, exec_lo, s1
	s_delay_alu instid0(SALU_CYCLE_1) | instskip(NEXT) | instid1(VALU_DEP_1)
	s_mov_b32 s1, exec_lo
	v_cmpx_ge_i64_e64 v[22:23], v[18:19]
	s_cbranch_execnz .LBB98_27
	s_branch .LBB98_28
.LBB98_52:
	s_endpgm
	.section	.rodata,"a",@progbits
	.p2align	6, 0x0
	.amdhsa_kernel _ZN9rocsparseL21csr2bsr_65_inf_kernelILj32E21rocsparse_complex_numIfEilEEv20rocsparse_direction_T2_S4_S4_S4_S4_S4_21rocsparse_index_base_PKT0_PKT1_PKS4_S5_PS6_PS9_PS4_SF_SG_SE_
		.amdhsa_group_segment_fixed_size 0
		.amdhsa_private_segment_fixed_size 0
		.amdhsa_kernarg_size 144
		.amdhsa_user_sgpr_count 2
		.amdhsa_user_sgpr_dispatch_ptr 0
		.amdhsa_user_sgpr_queue_ptr 0
		.amdhsa_user_sgpr_kernarg_segment_ptr 1
		.amdhsa_user_sgpr_dispatch_id 0
		.amdhsa_user_sgpr_kernarg_preload_length 0
		.amdhsa_user_sgpr_kernarg_preload_offset 0
		.amdhsa_user_sgpr_private_segment_size 0
		.amdhsa_wavefront_size32 1
		.amdhsa_uses_dynamic_stack 0
		.amdhsa_enable_private_segment 0
		.amdhsa_system_sgpr_workgroup_id_x 1
		.amdhsa_system_sgpr_workgroup_id_y 0
		.amdhsa_system_sgpr_workgroup_id_z 0
		.amdhsa_system_sgpr_workgroup_info 0
		.amdhsa_system_vgpr_workitem_id 0
		.amdhsa_next_free_vgpr 58
		.amdhsa_next_free_sgpr 52
		.amdhsa_named_barrier_count 0
		.amdhsa_reserve_vcc 1
		.amdhsa_float_round_mode_32 0
		.amdhsa_float_round_mode_16_64 0
		.amdhsa_float_denorm_mode_32 3
		.amdhsa_float_denorm_mode_16_64 3
		.amdhsa_fp16_overflow 0
		.amdhsa_memory_ordered 1
		.amdhsa_forward_progress 1
		.amdhsa_inst_pref_size 39
		.amdhsa_round_robin_scheduling 0
		.amdhsa_exception_fp_ieee_invalid_op 0
		.amdhsa_exception_fp_denorm_src 0
		.amdhsa_exception_fp_ieee_div_zero 0
		.amdhsa_exception_fp_ieee_overflow 0
		.amdhsa_exception_fp_ieee_underflow 0
		.amdhsa_exception_fp_ieee_inexact 0
		.amdhsa_exception_int_div_zero 0
	.end_amdhsa_kernel
	.section	.text._ZN9rocsparseL21csr2bsr_65_inf_kernelILj32E21rocsparse_complex_numIfEilEEv20rocsparse_direction_T2_S4_S4_S4_S4_S4_21rocsparse_index_base_PKT0_PKT1_PKS4_S5_PS6_PS9_PS4_SF_SG_SE_,"axG",@progbits,_ZN9rocsparseL21csr2bsr_65_inf_kernelILj32E21rocsparse_complex_numIfEilEEv20rocsparse_direction_T2_S4_S4_S4_S4_S4_21rocsparse_index_base_PKT0_PKT1_PKS4_S5_PS6_PS9_PS4_SF_SG_SE_,comdat
.Lfunc_end98:
	.size	_ZN9rocsparseL21csr2bsr_65_inf_kernelILj32E21rocsparse_complex_numIfEilEEv20rocsparse_direction_T2_S4_S4_S4_S4_S4_21rocsparse_index_base_PKT0_PKT1_PKS4_S5_PS6_PS9_PS4_SF_SG_SE_, .Lfunc_end98-_ZN9rocsparseL21csr2bsr_65_inf_kernelILj32E21rocsparse_complex_numIfEilEEv20rocsparse_direction_T2_S4_S4_S4_S4_S4_21rocsparse_index_base_PKT0_PKT1_PKS4_S5_PS6_PS9_PS4_SF_SG_SE_
                                        ; -- End function
	.set _ZN9rocsparseL21csr2bsr_65_inf_kernelILj32E21rocsparse_complex_numIfEilEEv20rocsparse_direction_T2_S4_S4_S4_S4_S4_21rocsparse_index_base_PKT0_PKT1_PKS4_S5_PS6_PS9_PS4_SF_SG_SE_.num_vgpr, 58
	.set _ZN9rocsparseL21csr2bsr_65_inf_kernelILj32E21rocsparse_complex_numIfEilEEv20rocsparse_direction_T2_S4_S4_S4_S4_S4_21rocsparse_index_base_PKT0_PKT1_PKS4_S5_PS6_PS9_PS4_SF_SG_SE_.num_agpr, 0
	.set _ZN9rocsparseL21csr2bsr_65_inf_kernelILj32E21rocsparse_complex_numIfEilEEv20rocsparse_direction_T2_S4_S4_S4_S4_S4_21rocsparse_index_base_PKT0_PKT1_PKS4_S5_PS6_PS9_PS4_SF_SG_SE_.numbered_sgpr, 52
	.set _ZN9rocsparseL21csr2bsr_65_inf_kernelILj32E21rocsparse_complex_numIfEilEEv20rocsparse_direction_T2_S4_S4_S4_S4_S4_21rocsparse_index_base_PKT0_PKT1_PKS4_S5_PS6_PS9_PS4_SF_SG_SE_.num_named_barrier, 0
	.set _ZN9rocsparseL21csr2bsr_65_inf_kernelILj32E21rocsparse_complex_numIfEilEEv20rocsparse_direction_T2_S4_S4_S4_S4_S4_21rocsparse_index_base_PKT0_PKT1_PKS4_S5_PS6_PS9_PS4_SF_SG_SE_.private_seg_size, 0
	.set _ZN9rocsparseL21csr2bsr_65_inf_kernelILj32E21rocsparse_complex_numIfEilEEv20rocsparse_direction_T2_S4_S4_S4_S4_S4_21rocsparse_index_base_PKT0_PKT1_PKS4_S5_PS6_PS9_PS4_SF_SG_SE_.uses_vcc, 1
	.set _ZN9rocsparseL21csr2bsr_65_inf_kernelILj32E21rocsparse_complex_numIfEilEEv20rocsparse_direction_T2_S4_S4_S4_S4_S4_21rocsparse_index_base_PKT0_PKT1_PKS4_S5_PS6_PS9_PS4_SF_SG_SE_.uses_flat_scratch, 0
	.set _ZN9rocsparseL21csr2bsr_65_inf_kernelILj32E21rocsparse_complex_numIfEilEEv20rocsparse_direction_T2_S4_S4_S4_S4_S4_21rocsparse_index_base_PKT0_PKT1_PKS4_S5_PS6_PS9_PS4_SF_SG_SE_.has_dyn_sized_stack, 0
	.set _ZN9rocsparseL21csr2bsr_65_inf_kernelILj32E21rocsparse_complex_numIfEilEEv20rocsparse_direction_T2_S4_S4_S4_S4_S4_21rocsparse_index_base_PKT0_PKT1_PKS4_S5_PS6_PS9_PS4_SF_SG_SE_.has_recursion, 0
	.set _ZN9rocsparseL21csr2bsr_65_inf_kernelILj32E21rocsparse_complex_numIfEilEEv20rocsparse_direction_T2_S4_S4_S4_S4_S4_21rocsparse_index_base_PKT0_PKT1_PKS4_S5_PS6_PS9_PS4_SF_SG_SE_.has_indirect_call, 0
	.section	.AMDGPU.csdata,"",@progbits
; Kernel info:
; codeLenInByte = 4892
; TotalNumSgprs: 54
; NumVgprs: 58
; ScratchSize: 0
; MemoryBound: 0
; FloatMode: 240
; IeeeMode: 1
; LDSByteSize: 0 bytes/workgroup (compile time only)
; SGPRBlocks: 0
; VGPRBlocks: 3
; NumSGPRsForWavesPerEU: 54
; NumVGPRsForWavesPerEU: 58
; NamedBarCnt: 0
; Occupancy: 16
; WaveLimiterHint : 1
; COMPUTE_PGM_RSRC2:SCRATCH_EN: 0
; COMPUTE_PGM_RSRC2:USER_SGPR: 2
; COMPUTE_PGM_RSRC2:TRAP_HANDLER: 0
; COMPUTE_PGM_RSRC2:TGID_X_EN: 1
; COMPUTE_PGM_RSRC2:TGID_Y_EN: 0
; COMPUTE_PGM_RSRC2:TGID_Z_EN: 0
; COMPUTE_PGM_RSRC2:TIDIG_COMP_CNT: 0
	.section	.text._ZN9rocsparseL35csr2bsr_block_dim_equals_one_kernelILj256E21rocsparse_complex_numIfEllEEvT2_S3_S3_S3_21rocsparse_index_base_PKT0_PKT1_PKS3_S4_PS5_PS8_PS3_,"axG",@progbits,_ZN9rocsparseL35csr2bsr_block_dim_equals_one_kernelILj256E21rocsparse_complex_numIfEllEEvT2_S3_S3_S3_21rocsparse_index_base_PKT0_PKT1_PKS3_S4_PS5_PS8_PS3_,comdat
	.globl	_ZN9rocsparseL35csr2bsr_block_dim_equals_one_kernelILj256E21rocsparse_complex_numIfEllEEvT2_S3_S3_S3_21rocsparse_index_base_PKT0_PKT1_PKS3_S4_PS5_PS8_PS3_ ; -- Begin function _ZN9rocsparseL35csr2bsr_block_dim_equals_one_kernelILj256E21rocsparse_complex_numIfEllEEvT2_S3_S3_S3_21rocsparse_index_base_PKT0_PKT1_PKS3_S4_PS5_PS8_PS3_
	.p2align	8
	.type	_ZN9rocsparseL35csr2bsr_block_dim_equals_one_kernelILj256E21rocsparse_complex_numIfEllEEvT2_S3_S3_S3_21rocsparse_index_base_PKT0_PKT1_PKS3_S4_PS5_PS8_PS3_,@function
_ZN9rocsparseL35csr2bsr_block_dim_equals_one_kernelILj256E21rocsparse_complex_numIfEllEEvT2_S3_S3_S3_21rocsparse_index_base_PKT0_PKT1_PKS3_S4_PS5_PS8_PS3_: ; @_ZN9rocsparseL35csr2bsr_block_dim_equals_one_kernelILj256E21rocsparse_complex_numIfEllEEvT2_S3_S3_S3_21rocsparse_index_base_PKT0_PKT1_PKS3_S4_PS5_PS8_PS3_
; %bb.0:
	s_clause 0x1
	s_load_b64 s[2:3], s[0:1], 0x0
	s_load_b128 s[4:7], s[0:1], 0x28
	s_bfe_u32 s8, ttmp6, 0x4000c
	s_and_b32 s9, ttmp6, 15
	s_add_co_i32 s8, s8, 1
	s_getreg_b32 s10, hwreg(HW_REG_IB_STS2, 6, 4)
	s_mul_i32 s8, ttmp9, s8
	v_mov_b32_e32 v1, 0
	s_add_co_i32 s9, s9, s8
	s_cmp_eq_u32 s10, 0
	s_cselect_b32 s12, ttmp9, s9
	s_delay_alu instid0(SALU_CYCLE_1) | instskip(SKIP_2) | instid1(SALU_CYCLE_1)
	v_lshl_or_b32 v0, s12, 8, v0
	s_wait_kmcnt 0x0
	s_lshl_b64 s[2:3], s[2:3], 3
	s_add_nc_u64 s[2:3], s[6:7], s[2:3]
	s_clause 0x1
	s_load_b64 s[8:9], s[2:3], 0x0
	s_load_b64 s[10:11], s[6:7], 0x0
	s_wait_xcnt 0x0
	s_mov_b32 s7, 0
	s_mov_b32 s6, exec_lo
	s_wait_kmcnt 0x0
	s_sub_nc_u64 s[2:3], s[8:9], s[10:11]
	s_delay_alu instid0(SALU_CYCLE_1)
	v_cmpx_gt_i64_e64 s[2:3], v[0:1]
	s_cbranch_execz .LBB99_3
; %bb.1:
	s_clause 0x3
	s_load_b96 s[8:10], s[0:1], 0x38
	s_load_b64 s[16:17], s[0:1], 0x48
	s_load_b32 s6, s[0:1], 0x20
	s_load_b96 s[12:14], s[0:1], 0x58
	v_lshlrev_b64_e32 v[2:3], 3, v[0:1]
	s_wait_xcnt 0x0
	s_mov_b32 s1, s7
	s_wait_kmcnt 0x0
	s_mov_b32 s0, s10
	s_delay_alu instid0(SALU_CYCLE_1)
	s_sub_nc_u64 s[0:1], s[0:1], s[6:7]
	s_lshl_b32 s6, s14, 8
	s_mov_b32 s14, s7
	s_lshl_b64 s[10:11], s[6:7], 3
.LBB99_2:                               ; =>This Inner Loop Header: Depth=1
	v_add_nc_u64_e32 v[4:5], s[8:9], v[2:3]
	v_add_nc_u64_e32 v[6:7], s[12:13], v[2:3]
	;; [unrolled: 1-line block ×4, first 2 shown]
	global_load_b64 v[4:5], v[4:5], off
	v_cmp_le_i64_e32 vcc_lo, s[2:3], v[0:1]
	s_or_b32 s14, vcc_lo, s14
	s_wait_loadcnt 0x0
	s_wait_xcnt 0x0
	v_add_nc_u64_e32 v[4:5], s[0:1], v[4:5]
	global_store_b64 v[6:7], v[4:5], off
	global_load_b64 v[4:5], v[8:9], off
	v_add_nc_u64_e32 v[6:7], s[16:17], v[2:3]
	v_add_nc_u64_e32 v[2:3], s[10:11], v[2:3]
	s_wait_loadcnt 0x0
	global_store_b64 v[6:7], v[4:5], off
	s_wait_xcnt 0x0
	s_and_not1_b32 exec_lo, exec_lo, s14
	s_cbranch_execnz .LBB99_2
.LBB99_3:
	s_endpgm
	.section	.rodata,"a",@progbits
	.p2align	6, 0x0
	.amdhsa_kernel _ZN9rocsparseL35csr2bsr_block_dim_equals_one_kernelILj256E21rocsparse_complex_numIfEllEEvT2_S3_S3_S3_21rocsparse_index_base_PKT0_PKT1_PKS3_S4_PS5_PS8_PS3_
		.amdhsa_group_segment_fixed_size 0
		.amdhsa_private_segment_fixed_size 0
		.amdhsa_kernarg_size 352
		.amdhsa_user_sgpr_count 2
		.amdhsa_user_sgpr_dispatch_ptr 0
		.amdhsa_user_sgpr_queue_ptr 0
		.amdhsa_user_sgpr_kernarg_segment_ptr 1
		.amdhsa_user_sgpr_dispatch_id 0
		.amdhsa_user_sgpr_kernarg_preload_length 0
		.amdhsa_user_sgpr_kernarg_preload_offset 0
		.amdhsa_user_sgpr_private_segment_size 0
		.amdhsa_wavefront_size32 1
		.amdhsa_uses_dynamic_stack 0
		.amdhsa_enable_private_segment 0
		.amdhsa_system_sgpr_workgroup_id_x 1
		.amdhsa_system_sgpr_workgroup_id_y 0
		.amdhsa_system_sgpr_workgroup_id_z 0
		.amdhsa_system_sgpr_workgroup_info 0
		.amdhsa_system_vgpr_workitem_id 0
		.amdhsa_next_free_vgpr 10
		.amdhsa_next_free_sgpr 18
		.amdhsa_named_barrier_count 0
		.amdhsa_reserve_vcc 1
		.amdhsa_float_round_mode_32 0
		.amdhsa_float_round_mode_16_64 0
		.amdhsa_float_denorm_mode_32 3
		.amdhsa_float_denorm_mode_16_64 3
		.amdhsa_fp16_overflow 0
		.amdhsa_memory_ordered 1
		.amdhsa_forward_progress 1
		.amdhsa_inst_pref_size 3
		.amdhsa_round_robin_scheduling 0
		.amdhsa_exception_fp_ieee_invalid_op 0
		.amdhsa_exception_fp_denorm_src 0
		.amdhsa_exception_fp_ieee_div_zero 0
		.amdhsa_exception_fp_ieee_overflow 0
		.amdhsa_exception_fp_ieee_underflow 0
		.amdhsa_exception_fp_ieee_inexact 0
		.amdhsa_exception_int_div_zero 0
	.end_amdhsa_kernel
	.section	.text._ZN9rocsparseL35csr2bsr_block_dim_equals_one_kernelILj256E21rocsparse_complex_numIfEllEEvT2_S3_S3_S3_21rocsparse_index_base_PKT0_PKT1_PKS3_S4_PS5_PS8_PS3_,"axG",@progbits,_ZN9rocsparseL35csr2bsr_block_dim_equals_one_kernelILj256E21rocsparse_complex_numIfEllEEvT2_S3_S3_S3_21rocsparse_index_base_PKT0_PKT1_PKS3_S4_PS5_PS8_PS3_,comdat
.Lfunc_end99:
	.size	_ZN9rocsparseL35csr2bsr_block_dim_equals_one_kernelILj256E21rocsparse_complex_numIfEllEEvT2_S3_S3_S3_21rocsparse_index_base_PKT0_PKT1_PKS3_S4_PS5_PS8_PS3_, .Lfunc_end99-_ZN9rocsparseL35csr2bsr_block_dim_equals_one_kernelILj256E21rocsparse_complex_numIfEllEEvT2_S3_S3_S3_21rocsparse_index_base_PKT0_PKT1_PKS3_S4_PS5_PS8_PS3_
                                        ; -- End function
	.set _ZN9rocsparseL35csr2bsr_block_dim_equals_one_kernelILj256E21rocsparse_complex_numIfEllEEvT2_S3_S3_S3_21rocsparse_index_base_PKT0_PKT1_PKS3_S4_PS5_PS8_PS3_.num_vgpr, 10
	.set _ZN9rocsparseL35csr2bsr_block_dim_equals_one_kernelILj256E21rocsparse_complex_numIfEllEEvT2_S3_S3_S3_21rocsparse_index_base_PKT0_PKT1_PKS3_S4_PS5_PS8_PS3_.num_agpr, 0
	.set _ZN9rocsparseL35csr2bsr_block_dim_equals_one_kernelILj256E21rocsparse_complex_numIfEllEEvT2_S3_S3_S3_21rocsparse_index_base_PKT0_PKT1_PKS3_S4_PS5_PS8_PS3_.numbered_sgpr, 18
	.set _ZN9rocsparseL35csr2bsr_block_dim_equals_one_kernelILj256E21rocsparse_complex_numIfEllEEvT2_S3_S3_S3_21rocsparse_index_base_PKT0_PKT1_PKS3_S4_PS5_PS8_PS3_.num_named_barrier, 0
	.set _ZN9rocsparseL35csr2bsr_block_dim_equals_one_kernelILj256E21rocsparse_complex_numIfEllEEvT2_S3_S3_S3_21rocsparse_index_base_PKT0_PKT1_PKS3_S4_PS5_PS8_PS3_.private_seg_size, 0
	.set _ZN9rocsparseL35csr2bsr_block_dim_equals_one_kernelILj256E21rocsparse_complex_numIfEllEEvT2_S3_S3_S3_21rocsparse_index_base_PKT0_PKT1_PKS3_S4_PS5_PS8_PS3_.uses_vcc, 1
	.set _ZN9rocsparseL35csr2bsr_block_dim_equals_one_kernelILj256E21rocsparse_complex_numIfEllEEvT2_S3_S3_S3_21rocsparse_index_base_PKT0_PKT1_PKS3_S4_PS5_PS8_PS3_.uses_flat_scratch, 0
	.set _ZN9rocsparseL35csr2bsr_block_dim_equals_one_kernelILj256E21rocsparse_complex_numIfEllEEvT2_S3_S3_S3_21rocsparse_index_base_PKT0_PKT1_PKS3_S4_PS5_PS8_PS3_.has_dyn_sized_stack, 0
	.set _ZN9rocsparseL35csr2bsr_block_dim_equals_one_kernelILj256E21rocsparse_complex_numIfEllEEvT2_S3_S3_S3_21rocsparse_index_base_PKT0_PKT1_PKS3_S4_PS5_PS8_PS3_.has_recursion, 0
	.set _ZN9rocsparseL35csr2bsr_block_dim_equals_one_kernelILj256E21rocsparse_complex_numIfEllEEvT2_S3_S3_S3_21rocsparse_index_base_PKT0_PKT1_PKS3_S4_PS5_PS8_PS3_.has_indirect_call, 0
	.section	.AMDGPU.csdata,"",@progbits
; Kernel info:
; codeLenInByte = 328
; TotalNumSgprs: 20
; NumVgprs: 10
; ScratchSize: 0
; MemoryBound: 0
; FloatMode: 240
; IeeeMode: 1
; LDSByteSize: 0 bytes/workgroup (compile time only)
; SGPRBlocks: 0
; VGPRBlocks: 0
; NumSGPRsForWavesPerEU: 20
; NumVGPRsForWavesPerEU: 10
; NamedBarCnt: 0
; Occupancy: 16
; WaveLimiterHint : 0
; COMPUTE_PGM_RSRC2:SCRATCH_EN: 0
; COMPUTE_PGM_RSRC2:USER_SGPR: 2
; COMPUTE_PGM_RSRC2:TRAP_HANDLER: 0
; COMPUTE_PGM_RSRC2:TGID_X_EN: 1
; COMPUTE_PGM_RSRC2:TGID_Y_EN: 0
; COMPUTE_PGM_RSRC2:TGID_Z_EN: 0
; COMPUTE_PGM_RSRC2:TIDIG_COMP_CNT: 0
	.section	.text._ZN9rocsparseL42csr2bsr_wavefront_per_row_multipass_kernelILj256ELj16ELj4E21rocsparse_complex_numIfEllEEv20rocsparse_direction_T4_S4_S4_S4_S4_21rocsparse_index_base_PKT2_PKT3_PKS4_S5_PS6_PS9_PS4_,"axG",@progbits,_ZN9rocsparseL42csr2bsr_wavefront_per_row_multipass_kernelILj256ELj16ELj4E21rocsparse_complex_numIfEllEEv20rocsparse_direction_T4_S4_S4_S4_S4_21rocsparse_index_base_PKT2_PKT3_PKS4_S5_PS6_PS9_PS4_,comdat
	.globl	_ZN9rocsparseL42csr2bsr_wavefront_per_row_multipass_kernelILj256ELj16ELj4E21rocsparse_complex_numIfEllEEv20rocsparse_direction_T4_S4_S4_S4_S4_21rocsparse_index_base_PKT2_PKT3_PKS4_S5_PS6_PS9_PS4_ ; -- Begin function _ZN9rocsparseL42csr2bsr_wavefront_per_row_multipass_kernelILj256ELj16ELj4E21rocsparse_complex_numIfEllEEv20rocsparse_direction_T4_S4_S4_S4_S4_21rocsparse_index_base_PKT2_PKT3_PKS4_S5_PS6_PS9_PS4_
	.p2align	8
	.type	_ZN9rocsparseL42csr2bsr_wavefront_per_row_multipass_kernelILj256ELj16ELj4E21rocsparse_complex_numIfEllEEv20rocsparse_direction_T4_S4_S4_S4_S4_21rocsparse_index_base_PKT2_PKT3_PKS4_S5_PS6_PS9_PS4_,@function
_ZN9rocsparseL42csr2bsr_wavefront_per_row_multipass_kernelILj256ELj16ELj4E21rocsparse_complex_numIfEllEEv20rocsparse_direction_T4_S4_S4_S4_S4_21rocsparse_index_base_PKT2_PKT3_PKS4_S5_PS6_PS9_PS4_: ; @_ZN9rocsparseL42csr2bsr_wavefront_per_row_multipass_kernelILj256ELj16ELj4E21rocsparse_complex_numIfEllEEv20rocsparse_direction_T4_S4_S4_S4_S4_21rocsparse_index_base_PKT2_PKT3_PKS4_S5_PS6_PS9_PS4_
; %bb.0:
	s_bfe_u32 s2, ttmp6, 0x4000c
	s_clause 0x1
	s_load_b96 s[8:10], s[0:1], 0x28
	s_load_b64 s[12:13], s[0:1], 0x40
	s_add_co_i32 s2, s2, 1
	s_and_b32 s3, ttmp6, 15
	s_mul_i32 s2, ttmp9, s2
	s_getreg_b32 s4, hwreg(HW_REG_IB_STS2, 6, 4)
	s_add_co_i32 s3, s3, s2
	s_cmp_eq_u32 s4, 0
	v_dual_mov_b32 v11, 0 :: v_dual_lshrrev_b32 v32, 4, v0
	s_cselect_b32 s14, ttmp9, s3
	v_bfe_u32 v10, v0, 2, 2
	s_ashr_i32 s15, s14, 31
	v_mov_b64_e32 v[18:19], 0
	s_lshl_b64 s[2:3], s[14:15], 4
	s_mov_b32 s11, 0
	v_or_b32_e32 v1, s2, v32
	s_load_b128 s[4:7], s[0:1], 0x18
	s_wait_kmcnt 0x0
	s_delay_alu instid0(VALU_DEP_1) | instskip(NEXT) | instid1(VALU_DEP_1)
	v_mad_nc_u64_u32 v[4:5], v1, s8, v[10:11]
	v_mad_u32 v2, s3, s8, v5
	s_load_b64 s[2:3], s[0:1], 0x8
	s_delay_alu instid0(VALU_DEP_1) | instskip(SKIP_2) | instid1(VALU_DEP_2)
	v_mad_u32 v5, v1, s9, v2
	v_mov_b64_e32 v[2:3], 0
	s_wait_kmcnt 0x0
	v_cmp_gt_i64_e32 vcc_lo, s[2:3], v[4:5]
	v_cmp_gt_i64_e64 s2, s[8:9], v[10:11]
	s_and_b32 s3, s2, vcc_lo
	s_delay_alu instid0(SALU_CYCLE_1)
	s_and_saveexec_b32 s15, s3
	s_cbranch_execz .LBB100_2
; %bb.1:
	v_lshl_add_u64 v[6:7], v[4:5], 3, s[12:13]
	global_load_b64 v[6:7], v[6:7], off
	s_wait_loadcnt 0x0
	v_sub_nc_u64_e64 v[18:19], v[6:7], s[10:11]
.LBB100_2:
	s_or_b32 exec_lo, exec_lo, s15
	s_and_saveexec_b32 s15, s3
	s_cbranch_execz .LBB100_4
; %bb.3:
	v_lshl_add_u64 v[2:3], v[4:5], 3, s[12:13]
	global_load_b64 v[2:3], v[2:3], off offset:8
	s_wait_loadcnt 0x0
	v_sub_nc_u64_e64 v[2:3], v[2:3], s[10:11]
.LBB100_4:
	s_or_b32 exec_lo, exec_lo, s15
	s_load_b32 s12, s[0:1], 0x50
	v_mov_b64_e32 v[4:5], 0
	v_lshl_or_b32 v6, s14, 4, v32
	v_mov_b32_e32 v7, 0
	s_mov_b32 s3, exec_lo
	s_delay_alu instid0(VALU_DEP_1)
	v_cmpx_gt_i64_e64 s[4:5], v[6:7]
	s_cbranch_execz .LBB100_6
; %bb.5:
	s_load_b64 s[4:5], s[0:1], 0x60
	s_mov_b32 s13, 0
	s_wait_kmcnt 0x0
	v_lshl_add_u64 v[4:5], v[6:7], 3, s[4:5]
	global_load_b64 v[4:5], v[4:5], off
	s_wait_loadcnt 0x0
	v_sub_nc_u64_e64 v[4:5], v[4:5], s[12:13]
.LBB100_6:
	s_or_b32 exec_lo, exec_lo, s3
	v_cmp_lt_i64_e64 s3, s[6:7], 1
	s_and_b32 vcc_lo, exec_lo, s3
	s_cbranch_vccnz .LBB100_28
; %bb.7:
	v_dual_mov_b32 v6, 0 :: v_dual_bitop2_b32 v8, 3, v0 bitop3:0x40
	v_mul_u64_e32 v[12:13], s[8:9], v[10:11]
	v_mbcnt_lo_u32_b32 v7, -1, 0
	v_and_b32_e32 v0, 0x3f0, v0
	s_delay_alu instid0(VALU_DEP_4)
	v_dual_mov_b32 v9, v6 :: v_dual_lshlrev_b32 v1, 5, v10
	s_clause 0x3
	s_load_b64 s[20:21], s[0:1], 0x58
	s_load_b64 s[16:17], s[0:1], 0x48
	;; [unrolled: 1-line block ×3, first 2 shown]
	s_load_b32 s3, s[0:1], 0x0
	v_dual_lshlrev_b32 v20, 2, v7 :: v_dual_bitop2_b32 v16, 2, v7 bitop3:0x14
	v_mul_u64_e32 v[14:15], s[8:9], v[8:9]
	v_lshl_or_b32 v33, v0, 3, v1
	v_dual_mov_b32 v1, v6 :: v_dual_bitop2_b32 v21, 8, v7 bitop3:0x14
	v_dual_mov_b32 v11, v6 :: v_dual_bitop2_b32 v17, 1, v7 bitop3:0x14
	v_cmp_gt_i32_e32 vcc_lo, 32, v16
	s_load_b64 s[4:5], s[0:1], 0x68
	v_xor_b32_e32 v22, 4, v7
	s_wait_xcnt 0x0
	v_cmp_gt_i32_e64 s0, 32, v21
	v_dual_lshlrev_b32 v10, 3, v10 :: v_dual_lshlrev_b32 v0, 3, v8
	v_cndmask_b32_e32 v16, v7, v16, vcc_lo
	v_cmp_gt_i32_e32 vcc_lo, 32, v17
	s_delay_alu instid0(VALU_DEP_4) | instskip(SKIP_3) | instid1(VALU_DEP_3)
	v_dual_cndmask_b32 v21, v7, v21, s0 :: v_dual_bitop2_b32 v35, 12, v20 bitop3:0x54
	v_cmp_gt_i32_e64 s0, 32, v22
	v_dual_cndmask_b32 v17, v7, v17, vcc_lo :: v_dual_bitop2_b32 v34, v33, v0 bitop3:0x54
	v_cmp_gt_i64_e32 vcc_lo, s[8:9], v[8:9]
	v_dual_lshlrev_b32 v36, 2, v16 :: v_dual_cndmask_b32 v7, v7, v22, s0
	v_dual_lshlrev_b32 v38, 2, v21 :: v_dual_bitop2_b32 v40, 60, v20 bitop3:0x54
	s_wait_kmcnt 0x0
	v_lshl_add_u64 v[12:13], v[12:13], 3, s[20:21]
	s_delay_alu instid0(VALU_DEP_3) | instskip(SKIP_2) | instid1(VALU_DEP_3)
	v_dual_lshlrev_b32 v37, 2, v17 :: v_dual_lshlrev_b32 v39, 2, v7
	v_mov_b64_e32 v[16:17], 0
	s_and_b32 s24, s2, vcc_lo
	v_add_nc_u64_e32 v[0:1], v[12:13], v[0:1]
	v_mov_b64_e32 v[12:13], 0
	v_mov_b32_e32 v41, 1
	v_lshl_add_u64 v[14:15], v[14:15], 3, s[20:21]
	s_mov_b32 s1, 0
	s_cmp_lg_u32 s3, 0
	s_mul_u64 s[14:15], s[8:9], s[8:9]
	s_mov_b32 s11, s1
	v_add_nc_u64_e32 v[10:11], v[14:15], v[10:11]
	s_mov_b32 s13, s1
	s_cselect_b32 s25, -1, 0
	s_mov_b64 s[2:3], 0xffffffff
	s_ashr_i32 s20, s9, 31
	s_sub_co_i32 s26, 0, s8
	s_mov_b32 s27, 0
	s_branch .LBB100_10
.LBB100_8:                              ;   in Loop: Header=BB100_10 Depth=1
	s_wait_xcnt 0x0
	s_or_b32 exec_lo, exec_lo, s21
	s_wait_dscnt 0x0
	v_mov_b64_e32 v[20:21], 1
.LBB100_9:                              ;   in Loop: Header=BB100_10 Depth=1
	s_or_b32 exec_lo, exec_lo, s0
	ds_bpermute_b32 v16, v38, v14
	ds_bpermute_b32 v17, v38, v15
	v_add_nc_u64_e32 v[4:5], v[20:21], v[4:5]
	s_wait_storecnt_dscnt 0x0
	v_min_i64 v[14:15], v[16:17], v[14:15]
	ds_bpermute_b32 v16, v39, v14
	ds_bpermute_b32 v17, v39, v15
	s_wait_dscnt 0x0
	v_min_i64 v[14:15], v[16:17], v[14:15]
	ds_bpermute_b32 v16, v36, v14
	ds_bpermute_b32 v17, v36, v15
	s_wait_dscnt 0x0
	;; [unrolled: 4-line block ×4, first 2 shown]
	v_cmp_le_i64_e32 vcc_lo, s[6:7], v[16:17]
	s_or_b32 s27, vcc_lo, s27
	s_delay_alu instid0(SALU_CYCLE_1)
	s_and_not1_b32 exec_lo, exec_lo, s27
	s_cbranch_execz .LBB100_28
.LBB100_10:                             ; =>This Loop Header: Depth=1
                                        ;     Child Loop BB100_13 Depth 2
	v_add_nc_u64_e32 v[18:19], v[18:19], v[8:9]
	v_mov_b64_e32 v[14:15], s[6:7]
	v_mov_b64_e32 v[30:31], v[2:3]
	s_mov_b32 s28, exec_lo
	ds_store_b8 v32, v6 offset:2048
	ds_store_b64 v34, v[12:13]
	s_wait_dscnt 0x0
	v_cmpx_lt_i64_e64 v[18:19], v[2:3]
	s_cbranch_execz .LBB100_22
; %bb.11:                               ;   in Loop: Header=BB100_10 Depth=1
	v_mul_u64_e32 v[20:21], s[8:9], v[16:17]
	v_lshlrev_b64_e32 v[14:15], 3, v[18:19]
	v_mov_b64_e32 v[26:27], v[2:3]
	s_mov_b32 s29, 0
	s_delay_alu instid0(VALU_DEP_2)
	v_add_nc_u64_e32 v[22:23], s[18:19], v[14:15]
	v_add_nc_u64_e32 v[24:25], s[16:17], v[14:15]
	v_mov_b64_e32 v[14:15], s[6:7]
	s_branch .LBB100_13
.LBB100_12:                             ;   in Loop: Header=BB100_13 Depth=2
	s_wait_xcnt 0x0
	s_or_b32 exec_lo, exec_lo, s0
	v_add_nc_u64_e32 v[18:19], 4, v[18:19]
	s_xor_b32 s21, vcc_lo, -1
	v_add_nc_u64_e32 v[22:23], 32, v[22:23]
	v_add_nc_u64_e32 v[24:25], 32, v[24:25]
	v_mov_b64_e32 v[26:27], v[30:31]
	s_delay_alu instid0(VALU_DEP_4) | instskip(SKIP_1) | instid1(SALU_CYCLE_1)
	v_cmp_ge_i64_e64 s0, v[18:19], v[2:3]
	s_or_b32 s0, s21, s0
	s_and_b32 s0, exec_lo, s0
	s_delay_alu instid0(SALU_CYCLE_1) | instskip(NEXT) | instid1(SALU_CYCLE_1)
	s_or_b32 s29, s0, s29
	s_and_not1_b32 exec_lo, exec_lo, s29
	s_cbranch_execz .LBB100_21
.LBB100_13:                             ;   Parent Loop BB100_10 Depth=1
                                        ; =>  This Inner Loop Header: Depth=2
	global_load_b64 v[28:29], v[24:25], off
                                        ; implicit-def: $vgpr30_vgpr31
	s_mov_b32 s0, exec_lo
	s_wait_loadcnt 0x0
	v_sub_nc_u64_e64 v[28:29], v[28:29], s[10:11]
	s_delay_alu instid0(VALU_DEP_1) | instskip(SKIP_1) | instid1(VALU_DEP_1)
	v_or_b32_e32 v7, s9, v29
	s_wait_xcnt 0x0
	v_cmpx_ne_u64_e32 0, v[6:7]
	s_xor_b32 s30, exec_lo, s0
	s_cbranch_execz .LBB100_15
; %bb.14:                               ;   in Loop: Header=BB100_13 Depth=2
	s_mov_b32 s21, s20
	v_dual_mov_b32 v45, v6 :: v_dual_ashrrev_i32 v30, 31, v29
	s_add_nc_u64 s[22:23], s[8:9], s[20:21]
	v_mov_b32_e32 v49, v6
	s_xor_b64 s[22:23], s[22:23], s[20:21]
	s_delay_alu instid0(VALU_DEP_2)
	v_mov_b32_e32 v31, v30
	s_cvt_f32_u32 s0, s22
	s_cvt_f32_u32 s21, s23
	s_sub_nc_u64 s[36:37], 0, s[22:23]
	v_mov_b32_e32 v53, v6
	v_add_nc_u64_e32 v[42:43], v[28:29], v[30:31]
	s_fmamk_f32 s0, s21, 0x4f800000, s0
	s_delay_alu instid0(SALU_CYCLE_3) | instskip(NEXT) | instid1(VALU_DEP_1)
	v_s_rcp_f32 s0, s0
	v_xor_b32_e32 v48, v43, v30
	s_delay_alu instid0(VALU_DEP_2) | instskip(SKIP_1) | instid1(TRANS32_DEP_1)
	v_xor_b32_e32 v44, v42, v30
	v_xor_b32_e32 v30, s20, v30
	s_mul_f32 s0, s0, 0x5f7ffffc
	s_delay_alu instid0(SALU_CYCLE_3) | instskip(NEXT) | instid1(SALU_CYCLE_3)
	s_mul_f32 s21, s0, 0x2f800000
	s_trunc_f32 s21, s21
	s_delay_alu instid0(SALU_CYCLE_3) | instskip(SKIP_1) | instid1(SALU_CYCLE_2)
	s_fmamk_f32 s0, s21, 0xcf800000, s0
	s_cvt_u32_f32 s35, s21
	s_cvt_u32_f32 s34, s0
	s_delay_alu instid0(SALU_CYCLE_3) | instskip(NEXT) | instid1(SALU_CYCLE_1)
	s_mul_u64 s[38:39], s[36:37], s[34:35]
	s_mul_hi_u32 s41, s34, s39
	s_mul_i32 s40, s34, s39
	s_mul_hi_u32 s0, s34, s38
	s_mul_i32 s31, s35, s38
	s_add_nc_u64 s[40:41], s[0:1], s[40:41]
	s_mul_hi_u32 s21, s35, s38
	s_mul_hi_u32 s33, s35, s39
	s_add_co_u32 s0, s40, s31
	s_add_co_ci_u32 s0, s41, s21
	s_mul_i32 s38, s35, s39
	s_add_co_ci_u32 s39, s33, 0
	s_delay_alu instid0(SALU_CYCLE_1) | instskip(NEXT) | instid1(SALU_CYCLE_1)
	s_add_nc_u64 s[38:39], s[0:1], s[38:39]
	s_add_co_u32 s34, s34, s38
	s_cselect_b32 s0, -1, 0
	s_delay_alu instid0(SALU_CYCLE_1) | instskip(SKIP_1) | instid1(SALU_CYCLE_1)
	s_cmp_lg_u32 s0, 0
	s_add_co_ci_u32 s35, s35, s39
	s_mul_u64 s[36:37], s[36:37], s[34:35]
	s_delay_alu instid0(SALU_CYCLE_1)
	s_mul_hi_u32 s39, s34, s37
	s_mul_i32 s38, s34, s37
	s_mul_hi_u32 s0, s34, s36
	s_mul_i32 s31, s35, s36
	s_add_nc_u64 s[38:39], s[0:1], s[38:39]
	s_mul_hi_u32 s21, s35, s36
	s_mul_hi_u32 s33, s35, s37
	s_add_co_u32 s0, s38, s31
	s_add_co_ci_u32 s0, s39, s21
	s_mul_i32 s36, s35, s37
	s_add_co_ci_u32 s37, s33, 0
	s_delay_alu instid0(SALU_CYCLE_1) | instskip(NEXT) | instid1(SALU_CYCLE_1)
	s_add_nc_u64 s[36:37], s[0:1], s[36:37]
	s_add_co_u32 s34, s34, s36
	s_cselect_b32 s0, -1, 0
	v_mul_hi_u32 v52, v44, s34
	s_cmp_lg_u32 s0, 0
	s_add_co_ci_u32 s0, s35, s37
	s_and_b64 s[36:37], s[34:35], s[2:3]
	v_mul_u64_e32 v[46:47], s[0:1], v[44:45]
	v_mul_u64_e32 v[42:43], s[36:37], v[48:49]
	;; [unrolled: 1-line block ×3, first 2 shown]
	s_delay_alu instid0(VALU_DEP_3) | instskip(NEXT) | instid1(VALU_DEP_1)
	v_add_nc_u64_e32 v[46:47], v[52:53], v[46:47]
	v_add_co_u32 v7, vcc_lo, v46, v42
	s_delay_alu instid0(VALU_DEP_2) | instskip(NEXT) | instid1(VALU_DEP_4)
	v_add_co_ci_u32_e32 v52, vcc_lo, v47, v43, vcc_lo
	v_add_co_ci_u32_e32 v51, vcc_lo, 0, v51, vcc_lo
	s_delay_alu instid0(VALU_DEP_1) | instskip(NEXT) | instid1(VALU_DEP_1)
	v_add_nc_u64_e32 v[42:43], v[52:53], v[50:51]
	v_mul_u64_e32 v[46:47], s[22:23], v[42:43]
	s_delay_alu instid0(VALU_DEP_1) | instskip(NEXT) | instid1(VALU_DEP_2)
	v_sub_nc_u32_e32 v7, v48, v47
	v_sub_co_u32 v21, vcc_lo, v44, v46
	s_delay_alu instid0(VALU_DEP_1) | instskip(NEXT) | instid1(VALU_DEP_3)
	v_sub_co_ci_u32_e64 v31, null, v48, v47, vcc_lo
	v_subrev_co_ci_u32_e64 v7, null, s23, v7, vcc_lo
	s_delay_alu instid0(VALU_DEP_3) | instskip(SKIP_1) | instid1(VALU_DEP_3)
	v_sub_co_u32 v29, s0, v21, s22
	v_add_nc_u64_e32 v[46:47], 1, v[42:43]
	v_subrev_co_ci_u32_e64 v7, null, 0, v7, s0
	s_delay_alu instid0(VALU_DEP_3) | instskip(SKIP_1) | instid1(VALU_DEP_3)
	v_cmp_le_u32_e32 vcc_lo, s22, v29
	v_cndmask_b32_e64 v29, 0, -1, vcc_lo
	v_cmp_le_u32_e32 vcc_lo, s23, v7
	v_cndmask_b32_e64 v44, 0, -1, vcc_lo
	;; [unrolled: 2-line block ×4, first 2 shown]
	v_cmp_eq_u32_e32 vcc_lo, s23, v7
	v_cndmask_b32_e32 v7, v44, v29, vcc_lo
	v_cmp_eq_u32_e32 vcc_lo, s23, v31
	v_add_nc_u64_e32 v[44:45], 2, v[42:43]
	v_dual_mov_b32 v31, v30 :: v_dual_cndmask_b32 v21, v48, v21, vcc_lo
	s_delay_alu instid0(VALU_DEP_4) | instskip(NEXT) | instid1(VALU_DEP_2)
	v_cmp_ne_u32_e32 vcc_lo, 0, v7
	v_cmp_ne_u32_e64 s0, 0, v21
	s_delay_alu instid0(VALU_DEP_4) | instskip(NEXT) | instid1(VALU_DEP_1)
	v_dual_cndmask_b32 v7, v47, v45, vcc_lo :: v_dual_cndmask_b32 v21, v46, v44, vcc_lo
	v_dual_cndmask_b32 v7, v43, v7, s0 :: v_dual_cndmask_b32 v21, v42, v21, s0
	s_delay_alu instid0(VALU_DEP_1) | instskip(NEXT) | instid1(VALU_DEP_2)
	v_xor_b32_e32 v43, v7, v30
	v_xor_b32_e32 v42, v21, v30
	s_delay_alu instid0(VALU_DEP_1)
	v_sub_nc_u64_e32 v[30:31], v[42:43], v[30:31]
.LBB100_15:                             ;   in Loop: Header=BB100_13 Depth=2
	s_and_not1_saveexec_b32 s0, s30
	s_cbranch_execz .LBB100_17
; %bb.16:                               ;   in Loop: Header=BB100_13 Depth=2
	v_cvt_f32_u32_e32 v7, s8
	v_mov_b32_e32 v31, v6
	s_delay_alu instid0(VALU_DEP_2) | instskip(SKIP_1) | instid1(TRANS32_DEP_1)
	v_rcp_iflag_f32_e32 v7, v7
	v_nop
	v_mul_f32_e32 v7, 0x4f7ffffe, v7
	s_delay_alu instid0(VALU_DEP_1) | instskip(NEXT) | instid1(VALU_DEP_1)
	v_cvt_u32_f32_e32 v7, v7
	v_mul_lo_u32 v21, s26, v7
	s_delay_alu instid0(VALU_DEP_1) | instskip(NEXT) | instid1(VALU_DEP_1)
	v_mul_hi_u32 v21, v7, v21
	v_add_nc_u32_e32 v7, v7, v21
	s_delay_alu instid0(VALU_DEP_1) | instskip(NEXT) | instid1(VALU_DEP_1)
	v_mul_hi_u32 v7, v28, v7
	v_mul_lo_u32 v21, v7, s8
	s_delay_alu instid0(VALU_DEP_1) | instskip(NEXT) | instid1(VALU_DEP_1)
	v_sub_nc_u32_e32 v21, v28, v21
	v_subrev_nc_u32_e32 v30, s8, v21
	v_cmp_le_u32_e32 vcc_lo, s8, v21
	s_delay_alu instid0(VALU_DEP_2) | instskip(NEXT) | instid1(VALU_DEP_1)
	v_dual_add_nc_u32 v29, 1, v7 :: v_dual_cndmask_b32 v21, v21, v30, vcc_lo
	v_cndmask_b32_e32 v7, v7, v29, vcc_lo
	s_delay_alu instid0(VALU_DEP_2) | instskip(NEXT) | instid1(VALU_DEP_2)
	v_cmp_le_u32_e32 vcc_lo, s8, v21
	v_add_nc_u32_e32 v29, 1, v7
	s_delay_alu instid0(VALU_DEP_1)
	v_cndmask_b32_e32 v30, v7, v29, vcc_lo
.LBB100_17:                             ;   in Loop: Header=BB100_13 Depth=2
	s_or_b32 exec_lo, exec_lo, s0
	s_delay_alu instid0(VALU_DEP_1) | instskip(SKIP_2) | instid1(SALU_CYCLE_1)
	v_cmp_ne_u64_e64 s0, v[30:31], v[16:17]
	v_cmp_eq_u64_e32 vcc_lo, v[30:31], v[16:17]
	s_and_saveexec_b32 s21, s0
	s_xor_b32 s0, exec_lo, s21
; %bb.18:                               ;   in Loop: Header=BB100_13 Depth=2
	v_min_i64 v[14:15], v[30:31], v[14:15]
                                        ; implicit-def: $vgpr28_vgpr29
                                        ; implicit-def: $vgpr26_vgpr27
; %bb.19:                               ;   in Loop: Header=BB100_13 Depth=2
	s_or_saveexec_b32 s0, s0
	v_mov_b64_e32 v[30:31], v[18:19]
	s_xor_b32 exec_lo, exec_lo, s0
	s_cbranch_execz .LBB100_12
; %bb.20:                               ;   in Loop: Header=BB100_13 Depth=2
	global_load_b64 v[42:43], v[22:23], off
	v_sub_nc_u32_e32 v7, v28, v20
	v_mov_b64_e32 v[30:31], v[26:27]
	s_delay_alu instid0(VALU_DEP_2)
	v_lshl_add_u32 v7, v7, 3, v33
	ds_store_b8 v32, v41 offset:2048
	s_wait_loadcnt 0x0
	ds_store_b64 v7, v[42:43]
	s_branch .LBB100_12
.LBB100_21:                             ;   in Loop: Header=BB100_10 Depth=1
	s_or_b32 exec_lo, exec_lo, s29
.LBB100_22:                             ;   in Loop: Header=BB100_10 Depth=1
	s_delay_alu instid0(SALU_CYCLE_1)
	s_or_b32 exec_lo, exec_lo, s28
	ds_bpermute_b32 v18, v36, v30
	ds_bpermute_b32 v19, v36, v31
	s_wait_dscnt 0x0
	ds_load_u8 v7, v32 offset:2048
	s_mov_b32 s0, exec_lo
	v_min_i64 v[18:19], v[18:19], v[30:31]
	s_wait_dscnt 0x0
	v_and_b32_e32 v7, 1, v7
	ds_bpermute_b32 v20, v37, v18
	ds_bpermute_b32 v21, v37, v19
	s_wait_dscnt 0x0
	v_min_i64 v[18:19], v[20:21], v[18:19]
	v_mov_b64_e32 v[20:21], 0
	ds_bpermute_b32 v18, v35, v18
	ds_bpermute_b32 v19, v35, v19
	v_cmpx_eq_u32_e32 1, v7
	s_cbranch_execz .LBB100_9
; %bb.23:                               ;   in Loop: Header=BB100_10 Depth=1
	v_add_nc_u64_e32 v[16:17], s[12:13], v[16:17]
	v_lshl_add_u64 v[20:21], v[4:5], 3, s[4:5]
	global_store_b64 v[20:21], v[16:17], off
	s_wait_xcnt 0x0
	s_and_saveexec_b32 s21, s24
	s_cbranch_execz .LBB100_8
; %bb.24:                               ;   in Loop: Header=BB100_10 Depth=1
	v_mul_u64_e32 v[16:17], s[14:15], v[4:5]
	ds_load_b64 v[20:21], v34
	s_and_b32 vcc_lo, exec_lo, s25
	s_cbranch_vccz .LBB100_26
; %bb.25:                               ;   in Loop: Header=BB100_10 Depth=1
	v_lshl_add_u64 v[22:23], v[16:17], 3, v[10:11]
	s_wait_dscnt 0x0
	global_store_b64 v[22:23], v[20:21], off
	s_cbranch_execnz .LBB100_8
	s_branch .LBB100_27
.LBB100_26:                             ;   in Loop: Header=BB100_10 Depth=1
.LBB100_27:                             ;   in Loop: Header=BB100_10 Depth=1
	v_lshl_add_u64 v[16:17], v[16:17], 3, v[0:1]
	s_wait_dscnt 0x0
	global_store_b64 v[16:17], v[20:21], off
	s_branch .LBB100_8
.LBB100_28:
	s_endpgm
	.section	.rodata,"a",@progbits
	.p2align	6, 0x0
	.amdhsa_kernel _ZN9rocsparseL42csr2bsr_wavefront_per_row_multipass_kernelILj256ELj16ELj4E21rocsparse_complex_numIfEllEEv20rocsparse_direction_T4_S4_S4_S4_S4_21rocsparse_index_base_PKT2_PKT3_PKS4_S5_PS6_PS9_PS4_
		.amdhsa_group_segment_fixed_size 2064
		.amdhsa_private_segment_fixed_size 0
		.amdhsa_kernarg_size 112
		.amdhsa_user_sgpr_count 2
		.amdhsa_user_sgpr_dispatch_ptr 0
		.amdhsa_user_sgpr_queue_ptr 0
		.amdhsa_user_sgpr_kernarg_segment_ptr 1
		.amdhsa_user_sgpr_dispatch_id 0
		.amdhsa_user_sgpr_kernarg_preload_length 0
		.amdhsa_user_sgpr_kernarg_preload_offset 0
		.amdhsa_user_sgpr_private_segment_size 0
		.amdhsa_wavefront_size32 1
		.amdhsa_uses_dynamic_stack 0
		.amdhsa_enable_private_segment 0
		.amdhsa_system_sgpr_workgroup_id_x 1
		.amdhsa_system_sgpr_workgroup_id_y 0
		.amdhsa_system_sgpr_workgroup_id_z 0
		.amdhsa_system_sgpr_workgroup_info 0
		.amdhsa_system_vgpr_workitem_id 0
		.amdhsa_next_free_vgpr 54
		.amdhsa_next_free_sgpr 42
		.amdhsa_named_barrier_count 0
		.amdhsa_reserve_vcc 1
		.amdhsa_float_round_mode_32 0
		.amdhsa_float_round_mode_16_64 0
		.amdhsa_float_denorm_mode_32 3
		.amdhsa_float_denorm_mode_16_64 3
		.amdhsa_fp16_overflow 0
		.amdhsa_memory_ordered 1
		.amdhsa_forward_progress 1
		.amdhsa_inst_pref_size 17
		.amdhsa_round_robin_scheduling 0
		.amdhsa_exception_fp_ieee_invalid_op 0
		.amdhsa_exception_fp_denorm_src 0
		.amdhsa_exception_fp_ieee_div_zero 0
		.amdhsa_exception_fp_ieee_overflow 0
		.amdhsa_exception_fp_ieee_underflow 0
		.amdhsa_exception_fp_ieee_inexact 0
		.amdhsa_exception_int_div_zero 0
	.end_amdhsa_kernel
	.section	.text._ZN9rocsparseL42csr2bsr_wavefront_per_row_multipass_kernelILj256ELj16ELj4E21rocsparse_complex_numIfEllEEv20rocsparse_direction_T4_S4_S4_S4_S4_21rocsparse_index_base_PKT2_PKT3_PKS4_S5_PS6_PS9_PS4_,"axG",@progbits,_ZN9rocsparseL42csr2bsr_wavefront_per_row_multipass_kernelILj256ELj16ELj4E21rocsparse_complex_numIfEllEEv20rocsparse_direction_T4_S4_S4_S4_S4_21rocsparse_index_base_PKT2_PKT3_PKS4_S5_PS6_PS9_PS4_,comdat
.Lfunc_end100:
	.size	_ZN9rocsparseL42csr2bsr_wavefront_per_row_multipass_kernelILj256ELj16ELj4E21rocsparse_complex_numIfEllEEv20rocsparse_direction_T4_S4_S4_S4_S4_21rocsparse_index_base_PKT2_PKT3_PKS4_S5_PS6_PS9_PS4_, .Lfunc_end100-_ZN9rocsparseL42csr2bsr_wavefront_per_row_multipass_kernelILj256ELj16ELj4E21rocsparse_complex_numIfEllEEv20rocsparse_direction_T4_S4_S4_S4_S4_21rocsparse_index_base_PKT2_PKT3_PKS4_S5_PS6_PS9_PS4_
                                        ; -- End function
	.set _ZN9rocsparseL42csr2bsr_wavefront_per_row_multipass_kernelILj256ELj16ELj4E21rocsparse_complex_numIfEllEEv20rocsparse_direction_T4_S4_S4_S4_S4_21rocsparse_index_base_PKT2_PKT3_PKS4_S5_PS6_PS9_PS4_.num_vgpr, 54
	.set _ZN9rocsparseL42csr2bsr_wavefront_per_row_multipass_kernelILj256ELj16ELj4E21rocsparse_complex_numIfEllEEv20rocsparse_direction_T4_S4_S4_S4_S4_21rocsparse_index_base_PKT2_PKT3_PKS4_S5_PS6_PS9_PS4_.num_agpr, 0
	.set _ZN9rocsparseL42csr2bsr_wavefront_per_row_multipass_kernelILj256ELj16ELj4E21rocsparse_complex_numIfEllEEv20rocsparse_direction_T4_S4_S4_S4_S4_21rocsparse_index_base_PKT2_PKT3_PKS4_S5_PS6_PS9_PS4_.numbered_sgpr, 42
	.set _ZN9rocsparseL42csr2bsr_wavefront_per_row_multipass_kernelILj256ELj16ELj4E21rocsparse_complex_numIfEllEEv20rocsparse_direction_T4_S4_S4_S4_S4_21rocsparse_index_base_PKT2_PKT3_PKS4_S5_PS6_PS9_PS4_.num_named_barrier, 0
	.set _ZN9rocsparseL42csr2bsr_wavefront_per_row_multipass_kernelILj256ELj16ELj4E21rocsparse_complex_numIfEllEEv20rocsparse_direction_T4_S4_S4_S4_S4_21rocsparse_index_base_PKT2_PKT3_PKS4_S5_PS6_PS9_PS4_.private_seg_size, 0
	.set _ZN9rocsparseL42csr2bsr_wavefront_per_row_multipass_kernelILj256ELj16ELj4E21rocsparse_complex_numIfEllEEv20rocsparse_direction_T4_S4_S4_S4_S4_21rocsparse_index_base_PKT2_PKT3_PKS4_S5_PS6_PS9_PS4_.uses_vcc, 1
	.set _ZN9rocsparseL42csr2bsr_wavefront_per_row_multipass_kernelILj256ELj16ELj4E21rocsparse_complex_numIfEllEEv20rocsparse_direction_T4_S4_S4_S4_S4_21rocsparse_index_base_PKT2_PKT3_PKS4_S5_PS6_PS9_PS4_.uses_flat_scratch, 0
	.set _ZN9rocsparseL42csr2bsr_wavefront_per_row_multipass_kernelILj256ELj16ELj4E21rocsparse_complex_numIfEllEEv20rocsparse_direction_T4_S4_S4_S4_S4_21rocsparse_index_base_PKT2_PKT3_PKS4_S5_PS6_PS9_PS4_.has_dyn_sized_stack, 0
	.set _ZN9rocsparseL42csr2bsr_wavefront_per_row_multipass_kernelILj256ELj16ELj4E21rocsparse_complex_numIfEllEEv20rocsparse_direction_T4_S4_S4_S4_S4_21rocsparse_index_base_PKT2_PKT3_PKS4_S5_PS6_PS9_PS4_.has_recursion, 0
	.set _ZN9rocsparseL42csr2bsr_wavefront_per_row_multipass_kernelILj256ELj16ELj4E21rocsparse_complex_numIfEllEEv20rocsparse_direction_T4_S4_S4_S4_S4_21rocsparse_index_base_PKT2_PKT3_PKS4_S5_PS6_PS9_PS4_.has_indirect_call, 0
	.section	.AMDGPU.csdata,"",@progbits
; Kernel info:
; codeLenInByte = 2144
; TotalNumSgprs: 44
; NumVgprs: 54
; ScratchSize: 0
; MemoryBound: 0
; FloatMode: 240
; IeeeMode: 1
; LDSByteSize: 2064 bytes/workgroup (compile time only)
; SGPRBlocks: 0
; VGPRBlocks: 3
; NumSGPRsForWavesPerEU: 44
; NumVGPRsForWavesPerEU: 54
; NamedBarCnt: 0
; Occupancy: 16
; WaveLimiterHint : 0
; COMPUTE_PGM_RSRC2:SCRATCH_EN: 0
; COMPUTE_PGM_RSRC2:USER_SGPR: 2
; COMPUTE_PGM_RSRC2:TRAP_HANDLER: 0
; COMPUTE_PGM_RSRC2:TGID_X_EN: 1
; COMPUTE_PGM_RSRC2:TGID_Y_EN: 0
; COMPUTE_PGM_RSRC2:TGID_Z_EN: 0
; COMPUTE_PGM_RSRC2:TIDIG_COMP_CNT: 0
	.section	.text._ZN9rocsparseL42csr2bsr_wavefront_per_row_multipass_kernelILj256ELj64ELj8E21rocsparse_complex_numIfEllEEv20rocsparse_direction_T4_S4_S4_S4_S4_21rocsparse_index_base_PKT2_PKT3_PKS4_S5_PS6_PS9_PS4_,"axG",@progbits,_ZN9rocsparseL42csr2bsr_wavefront_per_row_multipass_kernelILj256ELj64ELj8E21rocsparse_complex_numIfEllEEv20rocsparse_direction_T4_S4_S4_S4_S4_21rocsparse_index_base_PKT2_PKT3_PKS4_S5_PS6_PS9_PS4_,comdat
	.globl	_ZN9rocsparseL42csr2bsr_wavefront_per_row_multipass_kernelILj256ELj64ELj8E21rocsparse_complex_numIfEllEEv20rocsparse_direction_T4_S4_S4_S4_S4_21rocsparse_index_base_PKT2_PKT3_PKS4_S5_PS6_PS9_PS4_ ; -- Begin function _ZN9rocsparseL42csr2bsr_wavefront_per_row_multipass_kernelILj256ELj64ELj8E21rocsparse_complex_numIfEllEEv20rocsparse_direction_T4_S4_S4_S4_S4_21rocsparse_index_base_PKT2_PKT3_PKS4_S5_PS6_PS9_PS4_
	.p2align	8
	.type	_ZN9rocsparseL42csr2bsr_wavefront_per_row_multipass_kernelILj256ELj64ELj8E21rocsparse_complex_numIfEllEEv20rocsparse_direction_T4_S4_S4_S4_S4_21rocsparse_index_base_PKT2_PKT3_PKS4_S5_PS6_PS9_PS4_,@function
_ZN9rocsparseL42csr2bsr_wavefront_per_row_multipass_kernelILj256ELj64ELj8E21rocsparse_complex_numIfEllEEv20rocsparse_direction_T4_S4_S4_S4_S4_21rocsparse_index_base_PKT2_PKT3_PKS4_S5_PS6_PS9_PS4_: ; @_ZN9rocsparseL42csr2bsr_wavefront_per_row_multipass_kernelILj256ELj64ELj8E21rocsparse_complex_numIfEllEEv20rocsparse_direction_T4_S4_S4_S4_S4_21rocsparse_index_base_PKT2_PKT3_PKS4_S5_PS6_PS9_PS4_
; %bb.0:
	s_bfe_u32 s2, ttmp6, 0x4000c
	s_clause 0x1
	s_load_b96 s[8:10], s[0:1], 0x28
	s_load_b64 s[12:13], s[0:1], 0x40
	s_add_co_i32 s2, s2, 1
	s_and_b32 s3, ttmp6, 15
	s_mul_i32 s2, ttmp9, s2
	s_getreg_b32 s4, hwreg(HW_REG_IB_STS2, 6, 4)
	s_add_co_i32 s3, s3, s2
	s_cmp_eq_u32 s4, 0
	v_dual_mov_b32 v11, 0 :: v_dual_lshrrev_b32 v32, 6, v0
	s_cselect_b32 s14, ttmp9, s3
	v_bfe_u32 v10, v0, 3, 3
	s_ashr_i32 s15, s14, 31
	v_mov_b64_e32 v[18:19], 0
	s_lshl_b64 s[2:3], s[14:15], 2
	s_mov_b32 s11, 0
	v_or_b32_e32 v1, s2, v32
	s_load_b128 s[4:7], s[0:1], 0x18
	s_wait_kmcnt 0x0
	s_delay_alu instid0(VALU_DEP_1) | instskip(NEXT) | instid1(VALU_DEP_1)
	v_mad_nc_u64_u32 v[4:5], v1, s8, v[10:11]
	v_mad_u32 v2, s3, s8, v5
	s_load_b64 s[2:3], s[0:1], 0x8
	s_delay_alu instid0(VALU_DEP_1) | instskip(SKIP_2) | instid1(VALU_DEP_2)
	v_mad_u32 v5, v1, s9, v2
	v_mov_b64_e32 v[2:3], 0
	s_wait_kmcnt 0x0
	v_cmp_gt_i64_e32 vcc_lo, s[2:3], v[4:5]
	v_cmp_gt_i64_e64 s2, s[8:9], v[10:11]
	s_and_b32 s3, s2, vcc_lo
	s_delay_alu instid0(SALU_CYCLE_1)
	s_and_saveexec_b32 s15, s3
	s_cbranch_execz .LBB101_2
; %bb.1:
	v_lshl_add_u64 v[6:7], v[4:5], 3, s[12:13]
	global_load_b64 v[6:7], v[6:7], off
	s_wait_loadcnt 0x0
	v_sub_nc_u64_e64 v[18:19], v[6:7], s[10:11]
.LBB101_2:
	s_or_b32 exec_lo, exec_lo, s15
	s_and_saveexec_b32 s15, s3
	s_cbranch_execz .LBB101_4
; %bb.3:
	v_lshl_add_u64 v[2:3], v[4:5], 3, s[12:13]
	global_load_b64 v[2:3], v[2:3], off offset:8
	s_wait_loadcnt 0x0
	v_sub_nc_u64_e64 v[2:3], v[2:3], s[10:11]
.LBB101_4:
	s_or_b32 exec_lo, exec_lo, s15
	s_load_b32 s12, s[0:1], 0x50
	v_mov_b64_e32 v[4:5], 0
	v_lshl_or_b32 v6, s14, 2, v32
	v_mov_b32_e32 v7, 0
	s_mov_b32 s3, exec_lo
	s_delay_alu instid0(VALU_DEP_1)
	v_cmpx_gt_i64_e64 s[4:5], v[6:7]
	s_cbranch_execz .LBB101_6
; %bb.5:
	s_load_b64 s[4:5], s[0:1], 0x60
	s_mov_b32 s13, 0
	s_wait_kmcnt 0x0
	v_lshl_add_u64 v[4:5], v[6:7], 3, s[4:5]
	global_load_b64 v[4:5], v[4:5], off
	s_wait_loadcnt 0x0
	v_sub_nc_u64_e64 v[4:5], v[4:5], s[12:13]
.LBB101_6:
	s_or_b32 exec_lo, exec_lo, s3
	v_cmp_lt_i64_e64 s3, s[6:7], 1
	s_and_b32 vcc_lo, exec_lo, s3
	s_cbranch_vccnz .LBB101_28
; %bb.7:
	v_dual_mov_b32 v6, 0 :: v_dual_bitop2_b32 v8, 7, v0 bitop3:0x40
	v_and_b32_e32 v1, 0x3c0, v0
	v_mbcnt_lo_u32_b32 v16, -1, 0
	v_mul_u64_e32 v[12:13], s[8:9], v[10:11]
	s_delay_alu instid0(VALU_DEP_4)
	v_dual_mov_b32 v9, v6 :: v_dual_lshlrev_b32 v7, 6, v10
	s_clause 0x4
	s_load_b64 s[4:5], s[0:1], 0x68
	s_load_b64 s[20:21], s[0:1], 0x58
	;; [unrolled: 1-line block ×4, first 2 shown]
	s_load_b32 s3, s[0:1], 0x0
	v_dual_lshlrev_b32 v0, 3, v10 :: v_dual_lshlrev_b32 v10, 3, v8
	v_lshl_or_b32 v33, v1, 3, v7
	v_dual_mov_b32 v1, v6 :: v_dual_bitop2_b32 v7, 4, v16 bitop3:0x14
	v_mul_u64_e32 v[14:15], s[8:9], v[8:9]
	v_lshl_or_b32 v34, v16, 2, 28
	v_bfrev_b32_e32 v42, 0.5
	s_delay_alu instid0(VALU_DEP_4)
	v_cmp_gt_i32_e32 vcc_lo, 32, v7
	v_xor_b32_e32 v11, 2, v16
	s_wait_xcnt 0x0
	s_mov_b32 s1, 0
	s_mul_u64 s[14:15], s[8:9], s[8:9]
	s_mov_b32 s11, s1
	v_cndmask_b32_e32 v7, v16, v7, vcc_lo
	v_cmp_gt_i32_e64 s0, 32, v11
	v_xor_b32_e32 v17, 1, v16
	v_cmp_gt_i64_e32 vcc_lo, s[8:9], v[8:9]
	s_delay_alu instid0(VALU_DEP_4) | instskip(NEXT) | instid1(VALU_DEP_4)
	v_dual_lshlrev_b32 v36, 2, v7 :: v_dual_bitop2_b32 v21, 16, v16 bitop3:0x14
	v_cndmask_b32_e64 v11, v16, v11, s0
	s_delay_alu instid0(VALU_DEP_4) | instskip(SKIP_4) | instid1(VALU_DEP_3)
	v_cmp_gt_i32_e64 s0, 32, v17
	v_or_b32_e32 v20, 32, v16
	v_or_b32_e32 v35, v33, v10
	s_and_b32 s24, s2, vcc_lo
	v_dual_lshlrev_b32 v37, 2, v11 :: v_dual_cndmask_b32 v17, v16, v17, s0
	v_cmp_gt_i32_e32 vcc_lo, 32, v20
	s_wait_kmcnt 0x0
	v_lshl_add_u64 v[12:13], v[12:13], 3, s[20:21]
	v_mov_b32_e32 v11, v6
	s_cmp_lg_u32 s3, 0
	v_dual_cndmask_b32 v17, v16, v20 :: v_dual_lshlrev_b32 v38, 2, v17
	v_cmp_gt_i32_e32 vcc_lo, 32, v21
	v_xor_b32_e32 v7, 8, v16
	v_add_nc_u64_e32 v[10:11], v[12:13], v[10:11]
	v_mov_b64_e32 v[12:13], 0
	s_mov_b32 s13, s1
	v_cndmask_b32_e32 v20, v16, v21, vcc_lo
	v_cmp_gt_i32_e32 vcc_lo, 32, v7
	v_lshl_add_u64 v[14:15], v[14:15], 3, s[20:21]
	s_cselect_b32 s25, -1, 0
	s_delay_alu instid0(VALU_DEP_3) | instskip(SKIP_1) | instid1(VALU_DEP_3)
	v_dual_mov_b32 v43, 1 :: v_dual_lshlrev_b32 v40, 2, v20
	v_cndmask_b32_e32 v7, v16, v7, vcc_lo
	v_add_nc_u64_e32 v[0:1], v[14:15], v[0:1]
	v_lshlrev_b32_e32 v39, 2, v17
	v_mov_b64_e32 v[16:17], 0
	s_mov_b64 s[2:3], 0xffffffff
	v_lshlrev_b32_e32 v41, 2, v7
	s_ashr_i32 s20, s9, 31
	s_sub_co_i32 s26, 0, s8
	s_mov_b32 s27, 0
	s_branch .LBB101_10
.LBB101_8:                              ;   in Loop: Header=BB101_10 Depth=1
	s_wait_xcnt 0x0
	s_or_b32 exec_lo, exec_lo, s21
	s_wait_dscnt 0x0
	v_mov_b64_e32 v[20:21], 1
.LBB101_9:                              ;   in Loop: Header=BB101_10 Depth=1
	s_or_b32 exec_lo, exec_lo, s0
	ds_bpermute_b32 v16, v39, v14
	ds_bpermute_b32 v17, v39, v15
	v_add_nc_u64_e32 v[4:5], v[20:21], v[4:5]
	s_wait_storecnt_dscnt 0x0
	v_min_i64 v[14:15], v[16:17], v[14:15]
	ds_bpermute_b32 v16, v40, v14
	ds_bpermute_b32 v17, v40, v15
	s_wait_dscnt 0x0
	v_min_i64 v[14:15], v[16:17], v[14:15]
	ds_bpermute_b32 v16, v41, v14
	ds_bpermute_b32 v17, v41, v15
	s_wait_dscnt 0x0
	;; [unrolled: 4-line block ×6, first 2 shown]
	v_cmp_le_i64_e32 vcc_lo, s[6:7], v[16:17]
	s_or_b32 s27, vcc_lo, s27
	s_delay_alu instid0(SALU_CYCLE_1)
	s_and_not1_b32 exec_lo, exec_lo, s27
	s_cbranch_execz .LBB101_28
.LBB101_10:                             ; =>This Loop Header: Depth=1
                                        ;     Child Loop BB101_13 Depth 2
	v_add_nc_u64_e32 v[18:19], v[18:19], v[8:9]
	v_mov_b64_e32 v[14:15], s[6:7]
	v_mov_b64_e32 v[30:31], v[2:3]
	s_mov_b32 s28, exec_lo
	ds_store_b8 v32, v6 offset:2048
	ds_store_b64 v35, v[12:13]
	s_wait_dscnt 0x0
	v_cmpx_lt_i64_e64 v[18:19], v[2:3]
	s_cbranch_execz .LBB101_22
; %bb.11:                               ;   in Loop: Header=BB101_10 Depth=1
	v_mul_u64_e32 v[20:21], s[8:9], v[16:17]
	v_lshlrev_b64_e32 v[14:15], 3, v[18:19]
	v_mov_b64_e32 v[26:27], v[2:3]
	s_mov_b32 s29, 0
	s_delay_alu instid0(VALU_DEP_2)
	v_add_nc_u64_e32 v[22:23], s[18:19], v[14:15]
	v_add_nc_u64_e32 v[24:25], s[16:17], v[14:15]
	v_mov_b64_e32 v[14:15], s[6:7]
	s_branch .LBB101_13
.LBB101_12:                             ;   in Loop: Header=BB101_13 Depth=2
	s_wait_xcnt 0x0
	s_or_b32 exec_lo, exec_lo, s0
	v_add_nc_u64_e32 v[18:19], 8, v[18:19]
	s_xor_b32 s21, vcc_lo, -1
	v_add_nc_u64_e32 v[22:23], 64, v[22:23]
	v_add_nc_u64_e32 v[24:25], 64, v[24:25]
	v_mov_b64_e32 v[26:27], v[30:31]
	s_delay_alu instid0(VALU_DEP_4) | instskip(SKIP_1) | instid1(SALU_CYCLE_1)
	v_cmp_ge_i64_e64 s0, v[18:19], v[2:3]
	s_or_b32 s0, s21, s0
	s_and_b32 s0, exec_lo, s0
	s_delay_alu instid0(SALU_CYCLE_1) | instskip(NEXT) | instid1(SALU_CYCLE_1)
	s_or_b32 s29, s0, s29
	s_and_not1_b32 exec_lo, exec_lo, s29
	s_cbranch_execz .LBB101_21
.LBB101_13:                             ;   Parent Loop BB101_10 Depth=1
                                        ; =>  This Inner Loop Header: Depth=2
	global_load_b64 v[28:29], v[24:25], off
                                        ; implicit-def: $vgpr30_vgpr31
	s_mov_b32 s0, exec_lo
	s_wait_loadcnt 0x0
	v_sub_nc_u64_e64 v[28:29], v[28:29], s[10:11]
	s_delay_alu instid0(VALU_DEP_1) | instskip(SKIP_1) | instid1(VALU_DEP_1)
	v_or_b32_e32 v7, s9, v29
	s_wait_xcnt 0x0
	v_cmpx_ne_u64_e32 0, v[6:7]
	s_xor_b32 s30, exec_lo, s0
	s_cbranch_execz .LBB101_15
; %bb.14:                               ;   in Loop: Header=BB101_13 Depth=2
	s_mov_b32 s21, s20
	v_dual_mov_b32 v47, v6 :: v_dual_ashrrev_i32 v30, 31, v29
	s_add_nc_u64 s[22:23], s[8:9], s[20:21]
	v_mov_b32_e32 v55, v6
	s_xor_b64 s[22:23], s[22:23], s[20:21]
	s_delay_alu instid0(VALU_DEP_2) | instskip(SKIP_3) | instid1(VALU_DEP_1)
	v_mov_b32_e32 v31, v30
	s_cvt_f32_u32 s0, s22
	s_cvt_f32_u32 s21, s23
	s_sub_nc_u64 s[36:37], 0, s[22:23]
	v_add_nc_u64_e32 v[44:45], v[28:29], v[30:31]
	s_delay_alu instid0(SALU_CYCLE_1) | instskip(SKIP_1) | instid1(SALU_CYCLE_2)
	s_fmamk_f32 s0, s21, 0x4f800000, s0
	v_mov_b32_e32 v51, v6
	v_s_rcp_f32 s0, s0
	s_delay_alu instid0(VALU_DEP_2) | instskip(NEXT) | instid1(VALU_DEP_3)
	v_xor_b32_e32 v46, v44, v30
	v_xor_b32_e32 v50, v45, v30
	v_xor_b32_e32 v30, s20, v30
	s_delay_alu instid0(TRANS32_DEP_1) | instskip(NEXT) | instid1(SALU_CYCLE_3)
	s_mul_f32 s0, s0, 0x5f7ffffc
	s_mul_f32 s21, s0, 0x2f800000
	s_delay_alu instid0(SALU_CYCLE_3) | instskip(NEXT) | instid1(SALU_CYCLE_3)
	s_trunc_f32 s21, s21
	s_fmamk_f32 s0, s21, 0xcf800000, s0
	s_cvt_u32_f32 s35, s21
	s_delay_alu instid0(SALU_CYCLE_2) | instskip(NEXT) | instid1(SALU_CYCLE_3)
	s_cvt_u32_f32 s34, s0
	s_mul_u64 s[38:39], s[36:37], s[34:35]
	s_delay_alu instid0(SALU_CYCLE_1)
	s_mul_hi_u32 s41, s34, s39
	s_mul_i32 s40, s34, s39
	s_mul_hi_u32 s0, s34, s38
	s_mul_i32 s31, s35, s38
	s_add_nc_u64 s[40:41], s[0:1], s[40:41]
	s_mul_hi_u32 s21, s35, s38
	s_mul_hi_u32 s33, s35, s39
	s_add_co_u32 s0, s40, s31
	s_add_co_ci_u32 s0, s41, s21
	s_mul_i32 s38, s35, s39
	s_add_co_ci_u32 s39, s33, 0
	s_delay_alu instid0(SALU_CYCLE_1) | instskip(NEXT) | instid1(SALU_CYCLE_1)
	s_add_nc_u64 s[38:39], s[0:1], s[38:39]
	s_add_co_u32 s34, s34, s38
	s_cselect_b32 s0, -1, 0
	s_delay_alu instid0(SALU_CYCLE_1) | instskip(SKIP_1) | instid1(SALU_CYCLE_1)
	s_cmp_lg_u32 s0, 0
	s_add_co_ci_u32 s35, s35, s39
	s_mul_u64 s[36:37], s[36:37], s[34:35]
	s_delay_alu instid0(SALU_CYCLE_1)
	s_mul_hi_u32 s39, s34, s37
	s_mul_i32 s38, s34, s37
	s_mul_hi_u32 s0, s34, s36
	s_mul_i32 s31, s35, s36
	s_add_nc_u64 s[38:39], s[0:1], s[38:39]
	s_mul_hi_u32 s21, s35, s36
	s_mul_hi_u32 s33, s35, s37
	s_add_co_u32 s0, s38, s31
	s_add_co_ci_u32 s0, s39, s21
	s_mul_i32 s36, s35, s37
	s_add_co_ci_u32 s37, s33, 0
	s_delay_alu instid0(SALU_CYCLE_1) | instskip(NEXT) | instid1(SALU_CYCLE_1)
	s_add_nc_u64 s[36:37], s[0:1], s[36:37]
	s_add_co_u32 s34, s34, s36
	s_cselect_b32 s0, -1, 0
	v_mul_hi_u32 v54, v46, s34
	s_cmp_lg_u32 s0, 0
	s_add_co_ci_u32 s0, s35, s37
	s_and_b64 s[36:37], s[34:35], s[2:3]
	v_mul_u64_e32 v[48:49], s[0:1], v[46:47]
	v_mul_u64_e32 v[44:45], s[36:37], v[50:51]
	;; [unrolled: 1-line block ×3, first 2 shown]
	s_delay_alu instid0(VALU_DEP_3) | instskip(NEXT) | instid1(VALU_DEP_1)
	v_add_nc_u64_e32 v[48:49], v[54:55], v[48:49]
	v_add_co_u32 v7, vcc_lo, v48, v44
	s_delay_alu instid0(VALU_DEP_2) | instskip(NEXT) | instid1(VALU_DEP_4)
	v_add_co_ci_u32_e32 v54, vcc_lo, v49, v45, vcc_lo
	v_add_co_ci_u32_e32 v53, vcc_lo, 0, v53, vcc_lo
	s_delay_alu instid0(VALU_DEP_1) | instskip(NEXT) | instid1(VALU_DEP_1)
	v_add_nc_u64_e32 v[44:45], v[54:55], v[52:53]
	v_mul_u64_e32 v[48:49], s[22:23], v[44:45]
	s_delay_alu instid0(VALU_DEP_1) | instskip(NEXT) | instid1(VALU_DEP_2)
	v_sub_nc_u32_e32 v7, v50, v49
	v_sub_co_u32 v21, vcc_lo, v46, v48
	s_delay_alu instid0(VALU_DEP_1) | instskip(NEXT) | instid1(VALU_DEP_3)
	v_sub_co_ci_u32_e64 v31, null, v50, v49, vcc_lo
	v_subrev_co_ci_u32_e64 v7, null, s23, v7, vcc_lo
	s_delay_alu instid0(VALU_DEP_3) | instskip(SKIP_1) | instid1(VALU_DEP_3)
	v_sub_co_u32 v29, s0, v21, s22
	v_add_nc_u64_e32 v[48:49], 1, v[44:45]
	v_subrev_co_ci_u32_e64 v7, null, 0, v7, s0
	s_delay_alu instid0(VALU_DEP_3) | instskip(SKIP_1) | instid1(VALU_DEP_3)
	v_cmp_le_u32_e32 vcc_lo, s22, v29
	v_cndmask_b32_e64 v29, 0, -1, vcc_lo
	v_cmp_le_u32_e32 vcc_lo, s23, v7
	v_cndmask_b32_e64 v46, 0, -1, vcc_lo
	;; [unrolled: 2-line block ×4, first 2 shown]
	v_cmp_eq_u32_e32 vcc_lo, s23, v7
	v_cndmask_b32_e32 v7, v46, v29, vcc_lo
	v_cmp_eq_u32_e32 vcc_lo, s23, v31
	v_add_nc_u64_e32 v[46:47], 2, v[44:45]
	v_mov_b32_e32 v31, v30
	v_cndmask_b32_e32 v21, v50, v21, vcc_lo
	v_cmp_ne_u32_e32 vcc_lo, 0, v7
	s_delay_alu instid0(VALU_DEP_2) | instskip(SKIP_1) | instid1(VALU_DEP_1)
	v_cmp_ne_u32_e64 s0, 0, v21
	v_dual_cndmask_b32 v7, v49, v47, vcc_lo :: v_dual_cndmask_b32 v21, v48, v46, vcc_lo
	v_dual_cndmask_b32 v7, v45, v7, s0 :: v_dual_cndmask_b32 v21, v44, v21, s0
	s_delay_alu instid0(VALU_DEP_1) | instskip(NEXT) | instid1(VALU_DEP_2)
	v_xor_b32_e32 v45, v7, v30
	v_xor_b32_e32 v44, v21, v30
	s_delay_alu instid0(VALU_DEP_1)
	v_sub_nc_u64_e32 v[30:31], v[44:45], v[30:31]
.LBB101_15:                             ;   in Loop: Header=BB101_13 Depth=2
	s_and_not1_saveexec_b32 s0, s30
	s_cbranch_execz .LBB101_17
; %bb.16:                               ;   in Loop: Header=BB101_13 Depth=2
	v_cvt_f32_u32_e32 v7, s8
	v_mov_b32_e32 v31, v6
	s_delay_alu instid0(VALU_DEP_2) | instskip(SKIP_1) | instid1(TRANS32_DEP_1)
	v_rcp_iflag_f32_e32 v7, v7
	v_nop
	v_mul_f32_e32 v7, 0x4f7ffffe, v7
	s_delay_alu instid0(VALU_DEP_1) | instskip(NEXT) | instid1(VALU_DEP_1)
	v_cvt_u32_f32_e32 v7, v7
	v_mul_lo_u32 v21, s26, v7
	s_delay_alu instid0(VALU_DEP_1) | instskip(NEXT) | instid1(VALU_DEP_1)
	v_mul_hi_u32 v21, v7, v21
	v_add_nc_u32_e32 v7, v7, v21
	s_delay_alu instid0(VALU_DEP_1) | instskip(NEXT) | instid1(VALU_DEP_1)
	v_mul_hi_u32 v7, v28, v7
	v_mul_lo_u32 v21, v7, s8
	s_delay_alu instid0(VALU_DEP_1) | instskip(NEXT) | instid1(VALU_DEP_1)
	v_sub_nc_u32_e32 v21, v28, v21
	v_subrev_nc_u32_e32 v30, s8, v21
	v_cmp_le_u32_e32 vcc_lo, s8, v21
	s_delay_alu instid0(VALU_DEP_2) | instskip(NEXT) | instid1(VALU_DEP_1)
	v_dual_add_nc_u32 v29, 1, v7 :: v_dual_cndmask_b32 v21, v21, v30, vcc_lo
	v_cndmask_b32_e32 v7, v7, v29, vcc_lo
	s_delay_alu instid0(VALU_DEP_2) | instskip(NEXT) | instid1(VALU_DEP_2)
	v_cmp_le_u32_e32 vcc_lo, s8, v21
	v_add_nc_u32_e32 v29, 1, v7
	s_delay_alu instid0(VALU_DEP_1)
	v_cndmask_b32_e32 v30, v7, v29, vcc_lo
.LBB101_17:                             ;   in Loop: Header=BB101_13 Depth=2
	s_or_b32 exec_lo, exec_lo, s0
	s_delay_alu instid0(VALU_DEP_1) | instskip(SKIP_2) | instid1(SALU_CYCLE_1)
	v_cmp_ne_u64_e64 s0, v[30:31], v[16:17]
	v_cmp_eq_u64_e32 vcc_lo, v[30:31], v[16:17]
	s_and_saveexec_b32 s21, s0
	s_xor_b32 s0, exec_lo, s21
; %bb.18:                               ;   in Loop: Header=BB101_13 Depth=2
	v_min_i64 v[14:15], v[30:31], v[14:15]
                                        ; implicit-def: $vgpr28_vgpr29
                                        ; implicit-def: $vgpr26_vgpr27
; %bb.19:                               ;   in Loop: Header=BB101_13 Depth=2
	s_or_saveexec_b32 s0, s0
	v_mov_b64_e32 v[30:31], v[18:19]
	s_xor_b32 exec_lo, exec_lo, s0
	s_cbranch_execz .LBB101_12
; %bb.20:                               ;   in Loop: Header=BB101_13 Depth=2
	global_load_b64 v[44:45], v[22:23], off
	v_sub_nc_u32_e32 v7, v28, v20
	v_mov_b64_e32 v[30:31], v[26:27]
	s_delay_alu instid0(VALU_DEP_2)
	v_lshl_add_u32 v7, v7, 3, v33
	ds_store_b8 v32, v43 offset:2048
	s_wait_loadcnt 0x0
	ds_store_b64 v7, v[44:45]
	s_branch .LBB101_12
.LBB101_21:                             ;   in Loop: Header=BB101_10 Depth=1
	s_or_b32 exec_lo, exec_lo, s29
.LBB101_22:                             ;   in Loop: Header=BB101_10 Depth=1
	s_delay_alu instid0(SALU_CYCLE_1)
	s_or_b32 exec_lo, exec_lo, s28
	ds_bpermute_b32 v18, v36, v30
	ds_bpermute_b32 v19, v36, v31
	s_wait_dscnt 0x0
	ds_load_u8 v7, v32 offset:2048
	s_mov_b32 s0, exec_lo
	v_min_i64 v[18:19], v[18:19], v[30:31]
	s_wait_dscnt 0x0
	v_and_b32_e32 v7, 1, v7
	ds_bpermute_b32 v20, v37, v18
	ds_bpermute_b32 v21, v37, v19
	s_wait_dscnt 0x0
	v_min_i64 v[18:19], v[20:21], v[18:19]
	ds_bpermute_b32 v20, v38, v18
	ds_bpermute_b32 v21, v38, v19
	s_wait_dscnt 0x0
	v_min_i64 v[18:19], v[20:21], v[18:19]
	v_mov_b64_e32 v[20:21], 0
	ds_bpermute_b32 v18, v34, v18
	ds_bpermute_b32 v19, v34, v19
	v_cmpx_eq_u32_e32 1, v7
	s_cbranch_execz .LBB101_9
; %bb.23:                               ;   in Loop: Header=BB101_10 Depth=1
	v_add_nc_u64_e32 v[16:17], s[12:13], v[16:17]
	v_lshl_add_u64 v[20:21], v[4:5], 3, s[4:5]
	global_store_b64 v[20:21], v[16:17], off
	s_wait_xcnt 0x0
	s_and_saveexec_b32 s21, s24
	s_cbranch_execz .LBB101_8
; %bb.24:                               ;   in Loop: Header=BB101_10 Depth=1
	v_mul_u64_e32 v[16:17], s[14:15], v[4:5]
	ds_load_b64 v[20:21], v35
	s_and_b32 vcc_lo, exec_lo, s25
	s_cbranch_vccz .LBB101_26
; %bb.25:                               ;   in Loop: Header=BB101_10 Depth=1
	v_lshl_add_u64 v[22:23], v[16:17], 3, v[0:1]
	s_wait_dscnt 0x0
	global_store_b64 v[22:23], v[20:21], off
	s_cbranch_execnz .LBB101_8
	s_branch .LBB101_27
.LBB101_26:                             ;   in Loop: Header=BB101_10 Depth=1
.LBB101_27:                             ;   in Loop: Header=BB101_10 Depth=1
	v_lshl_add_u64 v[16:17], v[16:17], 3, v[10:11]
	s_wait_dscnt 0x0
	global_store_b64 v[16:17], v[20:21], off
	s_branch .LBB101_8
.LBB101_28:
	s_endpgm
	.section	.rodata,"a",@progbits
	.p2align	6, 0x0
	.amdhsa_kernel _ZN9rocsparseL42csr2bsr_wavefront_per_row_multipass_kernelILj256ELj64ELj8E21rocsparse_complex_numIfEllEEv20rocsparse_direction_T4_S4_S4_S4_S4_21rocsparse_index_base_PKT2_PKT3_PKS4_S5_PS6_PS9_PS4_
		.amdhsa_group_segment_fixed_size 2052
		.amdhsa_private_segment_fixed_size 0
		.amdhsa_kernarg_size 112
		.amdhsa_user_sgpr_count 2
		.amdhsa_user_sgpr_dispatch_ptr 0
		.amdhsa_user_sgpr_queue_ptr 0
		.amdhsa_user_sgpr_kernarg_segment_ptr 1
		.amdhsa_user_sgpr_dispatch_id 0
		.amdhsa_user_sgpr_kernarg_preload_length 0
		.amdhsa_user_sgpr_kernarg_preload_offset 0
		.amdhsa_user_sgpr_private_segment_size 0
		.amdhsa_wavefront_size32 1
		.amdhsa_uses_dynamic_stack 0
		.amdhsa_enable_private_segment 0
		.amdhsa_system_sgpr_workgroup_id_x 1
		.amdhsa_system_sgpr_workgroup_id_y 0
		.amdhsa_system_sgpr_workgroup_id_z 0
		.amdhsa_system_sgpr_workgroup_info 0
		.amdhsa_system_vgpr_workitem_id 0
		.amdhsa_next_free_vgpr 56
		.amdhsa_next_free_sgpr 42
		.amdhsa_named_barrier_count 0
		.amdhsa_reserve_vcc 1
		.amdhsa_float_round_mode_32 0
		.amdhsa_float_round_mode_16_64 0
		.amdhsa_float_denorm_mode_32 3
		.amdhsa_float_denorm_mode_16_64 3
		.amdhsa_fp16_overflow 0
		.amdhsa_memory_ordered 1
		.amdhsa_forward_progress 1
		.amdhsa_inst_pref_size 18
		.amdhsa_round_robin_scheduling 0
		.amdhsa_exception_fp_ieee_invalid_op 0
		.amdhsa_exception_fp_denorm_src 0
		.amdhsa_exception_fp_ieee_div_zero 0
		.amdhsa_exception_fp_ieee_overflow 0
		.amdhsa_exception_fp_ieee_underflow 0
		.amdhsa_exception_fp_ieee_inexact 0
		.amdhsa_exception_int_div_zero 0
	.end_amdhsa_kernel
	.section	.text._ZN9rocsparseL42csr2bsr_wavefront_per_row_multipass_kernelILj256ELj64ELj8E21rocsparse_complex_numIfEllEEv20rocsparse_direction_T4_S4_S4_S4_S4_21rocsparse_index_base_PKT2_PKT3_PKS4_S5_PS6_PS9_PS4_,"axG",@progbits,_ZN9rocsparseL42csr2bsr_wavefront_per_row_multipass_kernelILj256ELj64ELj8E21rocsparse_complex_numIfEllEEv20rocsparse_direction_T4_S4_S4_S4_S4_21rocsparse_index_base_PKT2_PKT3_PKS4_S5_PS6_PS9_PS4_,comdat
.Lfunc_end101:
	.size	_ZN9rocsparseL42csr2bsr_wavefront_per_row_multipass_kernelILj256ELj64ELj8E21rocsparse_complex_numIfEllEEv20rocsparse_direction_T4_S4_S4_S4_S4_21rocsparse_index_base_PKT2_PKT3_PKS4_S5_PS6_PS9_PS4_, .Lfunc_end101-_ZN9rocsparseL42csr2bsr_wavefront_per_row_multipass_kernelILj256ELj64ELj8E21rocsparse_complex_numIfEllEEv20rocsparse_direction_T4_S4_S4_S4_S4_21rocsparse_index_base_PKT2_PKT3_PKS4_S5_PS6_PS9_PS4_
                                        ; -- End function
	.set _ZN9rocsparseL42csr2bsr_wavefront_per_row_multipass_kernelILj256ELj64ELj8E21rocsparse_complex_numIfEllEEv20rocsparse_direction_T4_S4_S4_S4_S4_21rocsparse_index_base_PKT2_PKT3_PKS4_S5_PS6_PS9_PS4_.num_vgpr, 56
	.set _ZN9rocsparseL42csr2bsr_wavefront_per_row_multipass_kernelILj256ELj64ELj8E21rocsparse_complex_numIfEllEEv20rocsparse_direction_T4_S4_S4_S4_S4_21rocsparse_index_base_PKT2_PKT3_PKS4_S5_PS6_PS9_PS4_.num_agpr, 0
	.set _ZN9rocsparseL42csr2bsr_wavefront_per_row_multipass_kernelILj256ELj64ELj8E21rocsparse_complex_numIfEllEEv20rocsparse_direction_T4_S4_S4_S4_S4_21rocsparse_index_base_PKT2_PKT3_PKS4_S5_PS6_PS9_PS4_.numbered_sgpr, 42
	.set _ZN9rocsparseL42csr2bsr_wavefront_per_row_multipass_kernelILj256ELj64ELj8E21rocsparse_complex_numIfEllEEv20rocsparse_direction_T4_S4_S4_S4_S4_21rocsparse_index_base_PKT2_PKT3_PKS4_S5_PS6_PS9_PS4_.num_named_barrier, 0
	.set _ZN9rocsparseL42csr2bsr_wavefront_per_row_multipass_kernelILj256ELj64ELj8E21rocsparse_complex_numIfEllEEv20rocsparse_direction_T4_S4_S4_S4_S4_21rocsparse_index_base_PKT2_PKT3_PKS4_S5_PS6_PS9_PS4_.private_seg_size, 0
	.set _ZN9rocsparseL42csr2bsr_wavefront_per_row_multipass_kernelILj256ELj64ELj8E21rocsparse_complex_numIfEllEEv20rocsparse_direction_T4_S4_S4_S4_S4_21rocsparse_index_base_PKT2_PKT3_PKS4_S5_PS6_PS9_PS4_.uses_vcc, 1
	.set _ZN9rocsparseL42csr2bsr_wavefront_per_row_multipass_kernelILj256ELj64ELj8E21rocsparse_complex_numIfEllEEv20rocsparse_direction_T4_S4_S4_S4_S4_21rocsparse_index_base_PKT2_PKT3_PKS4_S5_PS6_PS9_PS4_.uses_flat_scratch, 0
	.set _ZN9rocsparseL42csr2bsr_wavefront_per_row_multipass_kernelILj256ELj64ELj8E21rocsparse_complex_numIfEllEEv20rocsparse_direction_T4_S4_S4_S4_S4_21rocsparse_index_base_PKT2_PKT3_PKS4_S5_PS6_PS9_PS4_.has_dyn_sized_stack, 0
	.set _ZN9rocsparseL42csr2bsr_wavefront_per_row_multipass_kernelILj256ELj64ELj8E21rocsparse_complex_numIfEllEEv20rocsparse_direction_T4_S4_S4_S4_S4_21rocsparse_index_base_PKT2_PKT3_PKS4_S5_PS6_PS9_PS4_.has_recursion, 0
	.set _ZN9rocsparseL42csr2bsr_wavefront_per_row_multipass_kernelILj256ELj64ELj8E21rocsparse_complex_numIfEllEEv20rocsparse_direction_T4_S4_S4_S4_S4_21rocsparse_index_base_PKT2_PKT3_PKS4_S5_PS6_PS9_PS4_.has_indirect_call, 0
	.section	.AMDGPU.csdata,"",@progbits
; Kernel info:
; codeLenInByte = 2248
; TotalNumSgprs: 44
; NumVgprs: 56
; ScratchSize: 0
; MemoryBound: 0
; FloatMode: 240
; IeeeMode: 1
; LDSByteSize: 2052 bytes/workgroup (compile time only)
; SGPRBlocks: 0
; VGPRBlocks: 3
; NumSGPRsForWavesPerEU: 44
; NumVGPRsForWavesPerEU: 56
; NamedBarCnt: 0
; Occupancy: 16
; WaveLimiterHint : 0
; COMPUTE_PGM_RSRC2:SCRATCH_EN: 0
; COMPUTE_PGM_RSRC2:USER_SGPR: 2
; COMPUTE_PGM_RSRC2:TRAP_HANDLER: 0
; COMPUTE_PGM_RSRC2:TGID_X_EN: 1
; COMPUTE_PGM_RSRC2:TGID_Y_EN: 0
; COMPUTE_PGM_RSRC2:TGID_Z_EN: 0
; COMPUTE_PGM_RSRC2:TIDIG_COMP_CNT: 0
	.section	.text._ZN9rocsparseL42csr2bsr_wavefront_per_row_multipass_kernelILj256ELj32ELj8E21rocsparse_complex_numIfEllEEv20rocsparse_direction_T4_S4_S4_S4_S4_21rocsparse_index_base_PKT2_PKT3_PKS4_S5_PS6_PS9_PS4_,"axG",@progbits,_ZN9rocsparseL42csr2bsr_wavefront_per_row_multipass_kernelILj256ELj32ELj8E21rocsparse_complex_numIfEllEEv20rocsparse_direction_T4_S4_S4_S4_S4_21rocsparse_index_base_PKT2_PKT3_PKS4_S5_PS6_PS9_PS4_,comdat
	.globl	_ZN9rocsparseL42csr2bsr_wavefront_per_row_multipass_kernelILj256ELj32ELj8E21rocsparse_complex_numIfEllEEv20rocsparse_direction_T4_S4_S4_S4_S4_21rocsparse_index_base_PKT2_PKT3_PKS4_S5_PS6_PS9_PS4_ ; -- Begin function _ZN9rocsparseL42csr2bsr_wavefront_per_row_multipass_kernelILj256ELj32ELj8E21rocsparse_complex_numIfEllEEv20rocsparse_direction_T4_S4_S4_S4_S4_21rocsparse_index_base_PKT2_PKT3_PKS4_S5_PS6_PS9_PS4_
	.p2align	8
	.type	_ZN9rocsparseL42csr2bsr_wavefront_per_row_multipass_kernelILj256ELj32ELj8E21rocsparse_complex_numIfEllEEv20rocsparse_direction_T4_S4_S4_S4_S4_21rocsparse_index_base_PKT2_PKT3_PKS4_S5_PS6_PS9_PS4_,@function
_ZN9rocsparseL42csr2bsr_wavefront_per_row_multipass_kernelILj256ELj32ELj8E21rocsparse_complex_numIfEllEEv20rocsparse_direction_T4_S4_S4_S4_S4_21rocsparse_index_base_PKT2_PKT3_PKS4_S5_PS6_PS9_PS4_: ; @_ZN9rocsparseL42csr2bsr_wavefront_per_row_multipass_kernelILj256ELj32ELj8E21rocsparse_complex_numIfEllEEv20rocsparse_direction_T4_S4_S4_S4_S4_21rocsparse_index_base_PKT2_PKT3_PKS4_S5_PS6_PS9_PS4_
; %bb.0:
	s_bfe_u32 s2, ttmp6, 0x4000c
	s_clause 0x1
	s_load_b96 s[8:10], s[0:1], 0x28
	s_load_b64 s[12:13], s[0:1], 0x40
	s_add_co_i32 s2, s2, 1
	s_and_b32 s3, ttmp6, 15
	s_mul_i32 s2, ttmp9, s2
	s_getreg_b32 s4, hwreg(HW_REG_IB_STS2, 6, 4)
	s_add_co_i32 s3, s3, s2
	s_cmp_eq_u32 s4, 0
	v_dual_mov_b32 v9, 0 :: v_dual_lshrrev_b32 v36, 5, v0
	s_cselect_b32 s14, ttmp9, s3
	v_bfe_u32 v8, v0, 2, 3
	s_ashr_i32 s15, s14, 31
	v_mov_b64_e32 v[22:23], 0
	s_lshl_b64 s[2:3], s[14:15], 3
	s_mov_b32 s11, 0
	v_or_b32_e32 v1, s2, v36
	s_load_b128 s[4:7], s[0:1], 0x18
	s_wait_kmcnt 0x0
	s_delay_alu instid0(VALU_DEP_1) | instskip(NEXT) | instid1(VALU_DEP_1)
	v_mad_nc_u64_u32 v[4:5], v1, s8, v[8:9]
	v_mad_u32 v2, s3, s8, v5
	s_load_b64 s[2:3], s[0:1], 0x8
	s_delay_alu instid0(VALU_DEP_1) | instskip(SKIP_2) | instid1(VALU_DEP_2)
	v_mad_u32 v5, v1, s9, v2
	v_mov_b64_e32 v[2:3], 0
	s_wait_kmcnt 0x0
	v_cmp_gt_i64_e32 vcc_lo, s[2:3], v[4:5]
	v_cmp_gt_i64_e64 s2, s[8:9], v[8:9]
	s_and_b32 s3, s2, vcc_lo
	s_delay_alu instid0(SALU_CYCLE_1)
	s_and_saveexec_b32 s15, s3
	s_cbranch_execz .LBB102_2
; %bb.1:
	v_lshl_add_u64 v[6:7], v[4:5], 3, s[12:13]
	global_load_b64 v[6:7], v[6:7], off
	s_wait_loadcnt 0x0
	v_sub_nc_u64_e64 v[22:23], v[6:7], s[10:11]
.LBB102_2:
	s_or_b32 exec_lo, exec_lo, s15
	s_and_saveexec_b32 s15, s3
	s_cbranch_execz .LBB102_4
; %bb.3:
	v_lshl_add_u64 v[2:3], v[4:5], 3, s[12:13]
	global_load_b64 v[2:3], v[2:3], off offset:8
	s_wait_loadcnt 0x0
	v_sub_nc_u64_e64 v[2:3], v[2:3], s[10:11]
.LBB102_4:
	s_or_b32 exec_lo, exec_lo, s15
	s_load_b32 s12, s[0:1], 0x50
	v_mov_b64_e32 v[4:5], 0
	v_lshl_or_b32 v6, s14, 3, v36
	v_mov_b32_e32 v7, 0
	s_mov_b32 s3, exec_lo
	s_delay_alu instid0(VALU_DEP_1)
	v_cmpx_gt_i64_e64 s[4:5], v[6:7]
	s_cbranch_execz .LBB102_6
; %bb.5:
	s_load_b64 s[4:5], s[0:1], 0x60
	s_mov_b32 s13, 0
	s_wait_kmcnt 0x0
	v_lshl_add_u64 v[4:5], v[6:7], 3, s[4:5]
	global_load_b64 v[4:5], v[4:5], off
	s_wait_loadcnt 0x0
	v_sub_nc_u64_e64 v[4:5], v[4:5], s[12:13]
.LBB102_6:
	s_or_b32 exec_lo, exec_lo, s3
	v_cmp_lt_i64_e64 s3, s[6:7], 1
	s_and_b32 vcc_lo, exec_lo, s3
	s_cbranch_vccnz .LBB102_33
; %bb.7:
	s_clause 0x1
	s_load_b64 s[20:21], s[0:1], 0x58
	s_load_b64 s[4:5], s[0:1], 0x68
	v_mbcnt_lo_u32_b32 v7, -1, 0
	v_dual_lshlrev_b32 v10, 3, v8 :: v_dual_mov_b32 v6, 0
	v_lshlrev_b32_e32 v1, 6, v8
	v_and_b32_e32 v0, 3, v0
	s_delay_alu instid0(VALU_DEP_4) | instskip(NEXT) | instid1(VALU_DEP_4)
	v_xor_b32_e32 v13, 1, v7
	v_dual_mov_b32 v11, v6 :: v_dual_bitop2_b32 v12, 2, v7 bitop3:0x14
	v_mul_u64_e32 v[14:15], s[8:9], v[8:9]
	v_lshl_or_b32 v37, v36, 9, v1
	v_mov_b32_e32 v1, v6
	s_delay_alu instid0(VALU_DEP_4)
	v_cmp_gt_i32_e32 vcc_lo, 32, v12
	v_dual_mov_b32 v17, v6 :: v_dual_bitop2_b32 v16, 4, v0 bitop3:0x54
	v_xor_b32_e32 v20, 4, v7
	v_xor_b32_e32 v18, 16, v7
	s_clause 0x2
	s_load_b64 s[16:17], s[0:1], 0x48
	s_load_b64 s[18:19], s[0:1], 0x38
	s_load_b32 s22, s[0:1], 0x0
	v_lshl_or_b32 v41, v7, 2, 12
	s_wait_kmcnt 0x0
	v_add_nc_u64_e32 v[8:9], s[20:21], v[10:11]
	v_cndmask_b32_e32 v10, v7, v12, vcc_lo
	v_cmp_gt_i32_e32 vcc_lo, 32, v13
	v_cmp_gt_u64_e64 s0, s[8:9], v[16:17]
	v_lshl_or_b32 v38, v0, 3, v37
	s_mov_b32 s3, 0
	s_mul_u64 s[14:15], s[8:9], s[8:9]
	v_dual_cndmask_b32 v11, v7, v13, vcc_lo :: v_dual_lshlrev_b32 v39, 2, v10
	v_mul_u64_e32 v[12:13], s[8:9], v[16:17]
	v_cmp_gt_i32_e32 vcc_lo, 32, v18
	v_xor_b32_e32 v19, 8, v7
	s_delay_alu instid0(VALU_DEP_4)
	v_lshlrev_b32_e32 v40, 2, v11
	v_mul_u64_e32 v[10:11], s[8:9], v[0:1]
	v_mov_b64_e32 v[16:17], 0
	v_cndmask_b32_e32 v18, v7, v18, vcc_lo
	v_cmp_gt_i32_e32 vcc_lo, 32, v19
	v_mov_b32_e32 v46, 1
	s_cmp_lg_u32 s22, 0
	s_mov_b32 s11, s3
	v_dual_cndmask_b32 v19, v7, v19 :: v_dual_lshlrev_b32 v42, 2, v18
	v_cmp_gt_i32_e32 vcc_lo, 32, v20
	v_lshl_add_u64 v[14:15], v[14:15], 3, s[20:21]
	s_mov_b32 s13, s3
	v_mov_b32_e32 v45, 0x7c
	v_dual_lshlrev_b32 v43, 2, v19 :: v_dual_cndmask_b32 v7, v7, v20, vcc_lo
	v_cmp_gt_u64_e32 vcc_lo, s[8:9], v[0:1]
	v_mov_b64_e32 v[20:21], 0
	s_cselect_b32 s1, -1, 0
	s_mov_b64 s[20:21], 0xffffffff
	v_lshlrev_b32_e32 v44, 2, v7
	s_and_b32 s27, s2, s0
	s_ashr_i32 s22, s9, 31
	s_and_b32 s26, s2, vcc_lo
	s_sub_co_i32 s28, 0, s8
	s_mov_b32 s29, 0
	s_branch .LBB102_10
.LBB102_8:                              ;   in Loop: Header=BB102_10 Depth=1
	s_wait_xcnt 0x0
	s_or_b32 exec_lo, exec_lo, s2
	v_mov_b64_e32 v[24:25], 1
.LBB102_9:                              ;   in Loop: Header=BB102_10 Depth=1
	s_or_b32 exec_lo, exec_lo, s0
	ds_bpermute_b32 v20, v42, v18
	ds_bpermute_b32 v21, v42, v19
	v_add_nc_u64_e32 v[4:5], v[24:25], v[4:5]
	s_wait_storecnt_dscnt 0x0
	v_min_i64 v[18:19], v[20:21], v[18:19]
	ds_bpermute_b32 v20, v43, v18
	ds_bpermute_b32 v21, v43, v19
	s_wait_dscnt 0x0
	v_min_i64 v[18:19], v[20:21], v[18:19]
	ds_bpermute_b32 v20, v44, v18
	ds_bpermute_b32 v21, v44, v19
	s_wait_dscnt 0x0
	;; [unrolled: 4-line block ×5, first 2 shown]
	v_cmp_le_i64_e32 vcc_lo, s[6:7], v[20:21]
	s_or_b32 s29, vcc_lo, s29
	s_delay_alu instid0(SALU_CYCLE_1)
	s_and_not1_b32 exec_lo, exec_lo, s29
	s_cbranch_execz .LBB102_33
.LBB102_10:                             ; =>This Loop Header: Depth=1
                                        ;     Child Loop BB102_13 Depth 2
	v_add_nc_u64_e32 v[22:23], v[22:23], v[0:1]
	v_mov_b64_e32 v[18:19], s[6:7]
	v_mov_b64_e32 v[34:35], v[2:3]
	s_mov_b32 s30, exec_lo
	ds_store_b8 v36, v6 offset:4096
	ds_store_2addr_b64 v38, v[16:17], v[16:17] offset1:4
	s_wait_dscnt 0x0
	v_cmpx_lt_i64_e64 v[22:23], v[2:3]
	s_cbranch_execz .LBB102_22
; %bb.11:                               ;   in Loop: Header=BB102_10 Depth=1
	v_mul_u64_e32 v[24:25], s[8:9], v[20:21]
	v_lshlrev_b64_e32 v[18:19], 3, v[22:23]
	v_mov_b64_e32 v[30:31], v[2:3]
	s_mov_b32 s31, 0
	s_delay_alu instid0(VALU_DEP_2)
	v_add_nc_u64_e32 v[26:27], s[18:19], v[18:19]
	v_add_nc_u64_e32 v[28:29], s[16:17], v[18:19]
	v_mov_b64_e32 v[18:19], s[6:7]
	s_branch .LBB102_13
.LBB102_12:                             ;   in Loop: Header=BB102_13 Depth=2
	s_wait_xcnt 0x0
	s_or_b32 exec_lo, exec_lo, s0
	v_add_nc_u64_e32 v[22:23], 4, v[22:23]
	s_xor_b32 s2, vcc_lo, -1
	v_add_nc_u64_e32 v[26:27], 32, v[26:27]
	v_add_nc_u64_e32 v[28:29], 32, v[28:29]
	v_mov_b64_e32 v[30:31], v[34:35]
	s_delay_alu instid0(VALU_DEP_4) | instskip(SKIP_1) | instid1(SALU_CYCLE_1)
	v_cmp_ge_i64_e64 s0, v[22:23], v[2:3]
	s_or_b32 s0, s2, s0
	s_and_b32 s0, exec_lo, s0
	s_delay_alu instid0(SALU_CYCLE_1) | instskip(NEXT) | instid1(SALU_CYCLE_1)
	s_or_b32 s31, s0, s31
	s_and_not1_b32 exec_lo, exec_lo, s31
	s_cbranch_execz .LBB102_21
.LBB102_13:                             ;   Parent Loop BB102_10 Depth=1
                                        ; =>  This Inner Loop Header: Depth=2
	global_load_b64 v[32:33], v[28:29], off
                                        ; implicit-def: $vgpr34_vgpr35
	s_mov_b32 s0, exec_lo
	s_wait_loadcnt 0x0
	v_sub_nc_u64_e64 v[32:33], v[32:33], s[10:11]
	s_delay_alu instid0(VALU_DEP_1) | instskip(SKIP_1) | instid1(VALU_DEP_1)
	v_or_b32_e32 v7, s9, v33
	s_wait_xcnt 0x0
	v_cmpx_ne_u64_e32 0, v[6:7]
	s_xor_b32 s33, exec_lo, s0
	s_cbranch_execz .LBB102_15
; %bb.14:                               ;   in Loop: Header=BB102_13 Depth=2
	s_mov_b32 s23, s22
	v_dual_mov_b32 v51, v6 :: v_dual_ashrrev_i32 v34, 31, v33
	s_add_nc_u64 s[24:25], s[8:9], s[22:23]
	v_mov_b32_e32 v59, v6
	s_xor_b64 s[24:25], s[24:25], s[22:23]
	s_delay_alu instid0(VALU_DEP_2) | instskip(SKIP_3) | instid1(VALU_DEP_1)
	v_mov_b32_e32 v35, v34
	s_cvt_f32_u32 s0, s24
	s_cvt_f32_u32 s2, s25
	s_sub_nc_u64 s[36:37], 0, s[24:25]
	v_add_nc_u64_e32 v[48:49], v[32:33], v[34:35]
	s_delay_alu instid0(SALU_CYCLE_1) | instskip(SKIP_1) | instid1(SALU_CYCLE_2)
	s_fmamk_f32 s0, s2, 0x4f800000, s0
	v_mov_b32_e32 v55, v6
	v_s_rcp_f32 s0, s0
	s_delay_alu instid0(VALU_DEP_2) | instskip(NEXT) | instid1(VALU_DEP_3)
	v_xor_b32_e32 v50, v48, v34
	v_xor_b32_e32 v54, v49, v34
	s_delay_alu instid0(TRANS32_DEP_1) | instskip(NEXT) | instid1(SALU_CYCLE_3)
	s_mul_f32 s0, s0, 0x5f7ffffc
	s_mul_f32 s2, s0, 0x2f800000
	s_delay_alu instid0(SALU_CYCLE_3) | instskip(NEXT) | instid1(SALU_CYCLE_3)
	s_trunc_f32 s2, s2
	s_fmamk_f32 s0, s2, 0xcf800000, s0
	s_cvt_u32_f32 s35, s2
	s_delay_alu instid0(SALU_CYCLE_2) | instskip(NEXT) | instid1(SALU_CYCLE_3)
	s_cvt_u32_f32 s34, s0
	s_mul_u64 s[38:39], s[36:37], s[34:35]
	s_delay_alu instid0(SALU_CYCLE_1)
	s_mul_hi_u32 s41, s34, s39
	s_mul_i32 s40, s34, s39
	s_mul_hi_u32 s2, s34, s38
	s_mul_i32 s23, s35, s38
	s_add_nc_u64 s[40:41], s[2:3], s[40:41]
	s_mul_hi_u32 s0, s35, s38
	s_mul_hi_u32 s42, s35, s39
	s_add_co_u32 s2, s40, s23
	s_add_co_ci_u32 s2, s41, s0
	s_mul_i32 s38, s35, s39
	s_add_co_ci_u32 s39, s42, 0
	s_delay_alu instid0(SALU_CYCLE_1) | instskip(NEXT) | instid1(SALU_CYCLE_1)
	s_add_nc_u64 s[38:39], s[2:3], s[38:39]
	s_add_co_u32 s34, s34, s38
	s_cselect_b32 s0, -1, 0
	s_delay_alu instid0(SALU_CYCLE_1) | instskip(SKIP_1) | instid1(SALU_CYCLE_1)
	s_cmp_lg_u32 s0, 0
	s_add_co_ci_u32 s35, s35, s39
	s_mul_u64 s[36:37], s[36:37], s[34:35]
	s_delay_alu instid0(SALU_CYCLE_1)
	s_mul_hi_u32 s39, s34, s37
	s_mul_i32 s38, s34, s37
	s_mul_hi_u32 s2, s34, s36
	s_mul_i32 s23, s35, s36
	s_add_nc_u64 s[38:39], s[2:3], s[38:39]
	s_mul_hi_u32 s0, s35, s36
	s_mul_hi_u32 s40, s35, s37
	s_add_co_u32 s2, s38, s23
	s_add_co_ci_u32 s2, s39, s0
	s_mul_i32 s36, s35, s37
	s_add_co_ci_u32 s37, s40, 0
	s_delay_alu instid0(SALU_CYCLE_1) | instskip(NEXT) | instid1(SALU_CYCLE_1)
	s_add_nc_u64 s[36:37], s[2:3], s[36:37]
	s_add_co_u32 s0, s34, s36
	s_cselect_b32 s2, -1, 0
	v_mul_hi_u32 v58, v50, s0
	s_cmp_lg_u32 s2, 0
	s_add_co_ci_u32 s2, s35, s37
	s_and_b64 s[34:35], s[0:1], s[20:21]
	v_mul_u64_e32 v[52:53], s[2:3], v[50:51]
	v_mul_u64_e32 v[48:49], s[34:35], v[54:55]
	;; [unrolled: 1-line block ×3, first 2 shown]
	s_delay_alu instid0(VALU_DEP_3) | instskip(NEXT) | instid1(VALU_DEP_1)
	v_add_nc_u64_e32 v[52:53], v[58:59], v[52:53]
	v_add_co_u32 v7, vcc_lo, v52, v48
	s_delay_alu instid0(VALU_DEP_2) | instskip(NEXT) | instid1(VALU_DEP_4)
	v_add_co_ci_u32_e32 v58, vcc_lo, v53, v49, vcc_lo
	v_add_co_ci_u32_e32 v57, vcc_lo, 0, v57, vcc_lo
	s_delay_alu instid0(VALU_DEP_1) | instskip(NEXT) | instid1(VALU_DEP_1)
	v_add_nc_u64_e32 v[48:49], v[58:59], v[56:57]
	v_mul_u64_e32 v[52:53], s[24:25], v[48:49]
	s_delay_alu instid0(VALU_DEP_1) | instskip(SKIP_1) | instid1(VALU_DEP_3)
	v_sub_co_u32 v25, vcc_lo, v50, v52
	v_add_nc_u64_e32 v[50:51], 2, v[48:49]
	v_sub_nc_u32_e32 v7, v54, v53
	v_sub_co_ci_u32_e64 v35, null, v54, v53, vcc_lo
	s_delay_alu instid0(VALU_DEP_4) | instskip(NEXT) | instid1(VALU_DEP_3)
	v_sub_co_u32 v33, s0, v25, s24
	v_subrev_co_ci_u32_e64 v7, null, s25, v7, vcc_lo
	v_add_nc_u64_e32 v[52:53], 1, v[48:49]
	s_delay_alu instid0(VALU_DEP_3) | instskip(NEXT) | instid1(VALU_DEP_3)
	v_cmp_le_u32_e32 vcc_lo, s24, v33
	v_subrev_co_ci_u32_e64 v7, null, 0, v7, s0
	v_cndmask_b32_e64 v33, 0, -1, vcc_lo
	s_delay_alu instid0(VALU_DEP_2)
	v_cmp_le_u32_e32 vcc_lo, s25, v7
	v_cndmask_b32_e64 v47, 0, -1, vcc_lo
	v_cmp_le_u32_e32 vcc_lo, s24, v25
	v_cndmask_b32_e64 v25, 0, -1, vcc_lo
	;; [unrolled: 2-line block ×3, first 2 shown]
	v_cmp_eq_u32_e32 vcc_lo, s25, v7
	v_cndmask_b32_e32 v7, v47, v33, vcc_lo
	v_cmp_eq_u32_e32 vcc_lo, s25, v35
	s_delay_alu instid0(VALU_DEP_4) | instskip(NEXT) | instid1(VALU_DEP_3)
	v_cndmask_b32_e32 v25, v54, v25, vcc_lo
	v_cmp_ne_u32_e32 vcc_lo, 0, v7
	v_cndmask_b32_e32 v7, v53, v51, vcc_lo
	s_delay_alu instid0(VALU_DEP_3) | instskip(SKIP_1) | instid1(VALU_DEP_2)
	v_cmp_ne_u32_e64 s0, 0, v25
	v_cndmask_b32_e32 v25, v52, v50, vcc_lo
	v_dual_cndmask_b32 v7, v49, v7, s0 :: v_dual_bitop2_b32 v34, s22, v34 bitop3:0x14
	s_delay_alu instid0(VALU_DEP_1) | instskip(NEXT) | instid1(VALU_DEP_2)
	v_dual_cndmask_b32 v25, v48, v25, s0 :: v_dual_mov_b32 v35, v34
	v_xor_b32_e32 v49, v7, v34
	s_delay_alu instid0(VALU_DEP_2) | instskip(NEXT) | instid1(VALU_DEP_1)
	v_xor_b32_e32 v48, v25, v34
	v_sub_nc_u64_e32 v[34:35], v[48:49], v[34:35]
.LBB102_15:                             ;   in Loop: Header=BB102_13 Depth=2
	s_and_not1_saveexec_b32 s0, s33
	s_cbranch_execz .LBB102_17
; %bb.16:                               ;   in Loop: Header=BB102_13 Depth=2
	v_cvt_f32_u32_e32 v7, s8
	v_mov_b32_e32 v35, v6
	s_delay_alu instid0(VALU_DEP_2) | instskip(SKIP_1) | instid1(TRANS32_DEP_1)
	v_rcp_iflag_f32_e32 v7, v7
	v_nop
	v_mul_f32_e32 v7, 0x4f7ffffe, v7
	s_delay_alu instid0(VALU_DEP_1) | instskip(NEXT) | instid1(VALU_DEP_1)
	v_cvt_u32_f32_e32 v7, v7
	v_mul_lo_u32 v25, s28, v7
	s_delay_alu instid0(VALU_DEP_1) | instskip(NEXT) | instid1(VALU_DEP_1)
	v_mul_hi_u32 v25, v7, v25
	v_add_nc_u32_e32 v7, v7, v25
	s_delay_alu instid0(VALU_DEP_1) | instskip(NEXT) | instid1(VALU_DEP_1)
	v_mul_hi_u32 v7, v32, v7
	v_mul_lo_u32 v25, v7, s8
	s_delay_alu instid0(VALU_DEP_1) | instskip(NEXT) | instid1(VALU_DEP_1)
	v_sub_nc_u32_e32 v25, v32, v25
	v_subrev_nc_u32_e32 v34, s8, v25
	v_cmp_le_u32_e32 vcc_lo, s8, v25
	s_delay_alu instid0(VALU_DEP_2) | instskip(NEXT) | instid1(VALU_DEP_1)
	v_dual_add_nc_u32 v33, 1, v7 :: v_dual_cndmask_b32 v25, v25, v34, vcc_lo
	v_cndmask_b32_e32 v7, v7, v33, vcc_lo
	s_delay_alu instid0(VALU_DEP_2) | instskip(NEXT) | instid1(VALU_DEP_2)
	v_cmp_le_u32_e32 vcc_lo, s8, v25
	v_add_nc_u32_e32 v33, 1, v7
	s_delay_alu instid0(VALU_DEP_1)
	v_cndmask_b32_e32 v34, v7, v33, vcc_lo
.LBB102_17:                             ;   in Loop: Header=BB102_13 Depth=2
	s_or_b32 exec_lo, exec_lo, s0
	s_delay_alu instid0(VALU_DEP_1) | instskip(SKIP_2) | instid1(SALU_CYCLE_1)
	v_cmp_ne_u64_e64 s0, v[34:35], v[20:21]
	v_cmp_eq_u64_e32 vcc_lo, v[34:35], v[20:21]
	s_and_saveexec_b32 s2, s0
	s_xor_b32 s0, exec_lo, s2
; %bb.18:                               ;   in Loop: Header=BB102_13 Depth=2
	v_min_i64 v[18:19], v[34:35], v[18:19]
                                        ; implicit-def: $vgpr32_vgpr33
                                        ; implicit-def: $vgpr30_vgpr31
; %bb.19:                               ;   in Loop: Header=BB102_13 Depth=2
	s_or_saveexec_b32 s0, s0
	v_mov_b64_e32 v[34:35], v[22:23]
	s_xor_b32 exec_lo, exec_lo, s0
	s_cbranch_execz .LBB102_12
; %bb.20:                               ;   in Loop: Header=BB102_13 Depth=2
	global_load_b64 v[48:49], v[26:27], off
	v_sub_nc_u32_e32 v7, v32, v24
	v_mov_b64_e32 v[34:35], v[30:31]
	s_delay_alu instid0(VALU_DEP_2)
	v_lshl_add_u32 v7, v7, 3, v37
	ds_store_b8 v36, v46 offset:4096
	s_wait_loadcnt 0x0
	ds_store_b64 v7, v[48:49]
	s_branch .LBB102_12
.LBB102_21:                             ;   in Loop: Header=BB102_10 Depth=1
	s_or_b32 exec_lo, exec_lo, s31
.LBB102_22:                             ;   in Loop: Header=BB102_10 Depth=1
	s_delay_alu instid0(SALU_CYCLE_1)
	s_or_b32 exec_lo, exec_lo, s30
	ds_bpermute_b32 v22, v39, v34
	ds_bpermute_b32 v23, v39, v35
	s_wait_dscnt 0x0
	ds_load_u8 v7, v36 offset:4096
	s_mov_b32 s0, exec_lo
	v_min_i64 v[22:23], v[22:23], v[34:35]
	s_wait_dscnt 0x0
	v_and_b32_e32 v7, 1, v7
	ds_bpermute_b32 v24, v40, v22
	ds_bpermute_b32 v25, v40, v23
	s_wait_dscnt 0x0
	v_min_i64 v[22:23], v[24:25], v[22:23]
	v_mov_b64_e32 v[24:25], 0
	ds_bpermute_b32 v22, v41, v22
	ds_bpermute_b32 v23, v41, v23
	v_cmpx_eq_u32_e32 1, v7
	s_cbranch_execz .LBB102_9
; %bb.23:                               ;   in Loop: Header=BB102_10 Depth=1
	v_mul_u64_e32 v[24:25], s[14:15], v[4:5]
	v_add_nc_u64_e32 v[28:29], s[12:13], v[20:21]
	s_delay_alu instid0(VALU_DEP_2) | instskip(NEXT) | instid1(VALU_DEP_1)
	v_lshlrev_b64_e32 v[26:27], 3, v[24:25]
	v_add_nc_u64_e32 v[24:25], v[8:9], v[26:27]
	v_add_nc_u64_e32 v[20:21], v[14:15], v[26:27]
	v_lshl_add_u64 v[26:27], v[4:5], 3, s[4:5]
	global_store_b64 v[26:27], v[28:29], off
	s_wait_xcnt 0x0
	s_and_saveexec_b32 s2, s26
	s_cbranch_execz .LBB102_27
; %bb.24:                               ;   in Loop: Header=BB102_10 Depth=1
	ds_load_b64 v[26:27], v38
	s_and_b32 vcc_lo, exec_lo, s1
	s_cbranch_vccz .LBB102_30
; %bb.25:                               ;   in Loop: Header=BB102_10 Depth=1
	v_lshl_add_u64 v[28:29], v[10:11], 3, v[24:25]
	s_wait_dscnt 0x0
	global_store_b64 v[28:29], v[26:27], off
	s_cbranch_execnz .LBB102_27
.LBB102_26:                             ;   in Loop: Header=BB102_10 Depth=1
	s_wait_xcnt 0x0
	v_dual_mov_b32 v29, v6 :: v_dual_lshlrev_b32 v28, 3, v0
	s_delay_alu instid0(VALU_DEP_1)
	v_add_nc_u64_e32 v[28:29], v[20:21], v[28:29]
	s_wait_dscnt 0x0
	global_store_b64 v[28:29], v[26:27], off
.LBB102_27:                             ;   in Loop: Header=BB102_10 Depth=1
	s_wait_xcnt 0x0
	s_or_b32 exec_lo, exec_lo, s2
	s_and_saveexec_b32 s2, s27
	s_cbranch_execz .LBB102_8
; %bb.28:                               ;   in Loop: Header=BB102_10 Depth=1
	s_and_not1_b32 vcc_lo, exec_lo, s1
	s_cbranch_vccnz .LBB102_31
; %bb.29:                               ;   in Loop: Header=BB102_10 Depth=1
	s_wait_dscnt 0x0
	ds_load_b64 v[26:27], v38 offset:32
	v_lshl_add_u64 v[24:25], v[12:13], 3, v[24:25]
	s_wait_dscnt 0x0
	global_store_b64 v[24:25], v[26:27], off
	s_cbranch_execnz .LBB102_8
	s_branch .LBB102_32
.LBB102_30:                             ;   in Loop: Header=BB102_10 Depth=1
	s_branch .LBB102_26
.LBB102_31:                             ;   in Loop: Header=BB102_10 Depth=1
.LBB102_32:                             ;   in Loop: Header=BB102_10 Depth=1
	s_wait_xcnt 0x0
	ds_load_b64 v[24:25], v38 offset:32
	s_wait_dscnt 0x1
	v_dual_mov_b32 v27, v6 :: v_dual_lshlrev_b32 v26, 3, v0
	s_delay_alu instid0(VALU_DEP_1)
	v_add_nc_u64_e32 v[20:21], v[20:21], v[26:27]
	s_wait_dscnt 0x0
	global_store_b64 v[20:21], v[24:25], off offset:32
	s_branch .LBB102_8
.LBB102_33:
	s_endpgm
	.section	.rodata,"a",@progbits
	.p2align	6, 0x0
	.amdhsa_kernel _ZN9rocsparseL42csr2bsr_wavefront_per_row_multipass_kernelILj256ELj32ELj8E21rocsparse_complex_numIfEllEEv20rocsparse_direction_T4_S4_S4_S4_S4_21rocsparse_index_base_PKT2_PKT3_PKS4_S5_PS6_PS9_PS4_
		.amdhsa_group_segment_fixed_size 4104
		.amdhsa_private_segment_fixed_size 0
		.amdhsa_kernarg_size 112
		.amdhsa_user_sgpr_count 2
		.amdhsa_user_sgpr_dispatch_ptr 0
		.amdhsa_user_sgpr_queue_ptr 0
		.amdhsa_user_sgpr_kernarg_segment_ptr 1
		.amdhsa_user_sgpr_dispatch_id 0
		.amdhsa_user_sgpr_kernarg_preload_length 0
		.amdhsa_user_sgpr_kernarg_preload_offset 0
		.amdhsa_user_sgpr_private_segment_size 0
		.amdhsa_wavefront_size32 1
		.amdhsa_uses_dynamic_stack 0
		.amdhsa_enable_private_segment 0
		.amdhsa_system_sgpr_workgroup_id_x 1
		.amdhsa_system_sgpr_workgroup_id_y 0
		.amdhsa_system_sgpr_workgroup_id_z 0
		.amdhsa_system_sgpr_workgroup_info 0
		.amdhsa_system_vgpr_workitem_id 0
		.amdhsa_next_free_vgpr 60
		.amdhsa_next_free_sgpr 43
		.amdhsa_named_barrier_count 0
		.amdhsa_reserve_vcc 1
		.amdhsa_float_round_mode_32 0
		.amdhsa_float_round_mode_16_64 0
		.amdhsa_float_denorm_mode_32 3
		.amdhsa_float_denorm_mode_16_64 3
		.amdhsa_fp16_overflow 0
		.amdhsa_memory_ordered 1
		.amdhsa_forward_progress 1
		.amdhsa_inst_pref_size 18
		.amdhsa_round_robin_scheduling 0
		.amdhsa_exception_fp_ieee_invalid_op 0
		.amdhsa_exception_fp_denorm_src 0
		.amdhsa_exception_fp_ieee_div_zero 0
		.amdhsa_exception_fp_ieee_overflow 0
		.amdhsa_exception_fp_ieee_underflow 0
		.amdhsa_exception_fp_ieee_inexact 0
		.amdhsa_exception_int_div_zero 0
	.end_amdhsa_kernel
	.section	.text._ZN9rocsparseL42csr2bsr_wavefront_per_row_multipass_kernelILj256ELj32ELj8E21rocsparse_complex_numIfEllEEv20rocsparse_direction_T4_S4_S4_S4_S4_21rocsparse_index_base_PKT2_PKT3_PKS4_S5_PS6_PS9_PS4_,"axG",@progbits,_ZN9rocsparseL42csr2bsr_wavefront_per_row_multipass_kernelILj256ELj32ELj8E21rocsparse_complex_numIfEllEEv20rocsparse_direction_T4_S4_S4_S4_S4_21rocsparse_index_base_PKT2_PKT3_PKS4_S5_PS6_PS9_PS4_,comdat
.Lfunc_end102:
	.size	_ZN9rocsparseL42csr2bsr_wavefront_per_row_multipass_kernelILj256ELj32ELj8E21rocsparse_complex_numIfEllEEv20rocsparse_direction_T4_S4_S4_S4_S4_21rocsparse_index_base_PKT2_PKT3_PKS4_S5_PS6_PS9_PS4_, .Lfunc_end102-_ZN9rocsparseL42csr2bsr_wavefront_per_row_multipass_kernelILj256ELj32ELj8E21rocsparse_complex_numIfEllEEv20rocsparse_direction_T4_S4_S4_S4_S4_21rocsparse_index_base_PKT2_PKT3_PKS4_S5_PS6_PS9_PS4_
                                        ; -- End function
	.set _ZN9rocsparseL42csr2bsr_wavefront_per_row_multipass_kernelILj256ELj32ELj8E21rocsparse_complex_numIfEllEEv20rocsparse_direction_T4_S4_S4_S4_S4_21rocsparse_index_base_PKT2_PKT3_PKS4_S5_PS6_PS9_PS4_.num_vgpr, 60
	.set _ZN9rocsparseL42csr2bsr_wavefront_per_row_multipass_kernelILj256ELj32ELj8E21rocsparse_complex_numIfEllEEv20rocsparse_direction_T4_S4_S4_S4_S4_21rocsparse_index_base_PKT2_PKT3_PKS4_S5_PS6_PS9_PS4_.num_agpr, 0
	.set _ZN9rocsparseL42csr2bsr_wavefront_per_row_multipass_kernelILj256ELj32ELj8E21rocsparse_complex_numIfEllEEv20rocsparse_direction_T4_S4_S4_S4_S4_21rocsparse_index_base_PKT2_PKT3_PKS4_S5_PS6_PS9_PS4_.numbered_sgpr, 43
	.set _ZN9rocsparseL42csr2bsr_wavefront_per_row_multipass_kernelILj256ELj32ELj8E21rocsparse_complex_numIfEllEEv20rocsparse_direction_T4_S4_S4_S4_S4_21rocsparse_index_base_PKT2_PKT3_PKS4_S5_PS6_PS9_PS4_.num_named_barrier, 0
	.set _ZN9rocsparseL42csr2bsr_wavefront_per_row_multipass_kernelILj256ELj32ELj8E21rocsparse_complex_numIfEllEEv20rocsparse_direction_T4_S4_S4_S4_S4_21rocsparse_index_base_PKT2_PKT3_PKS4_S5_PS6_PS9_PS4_.private_seg_size, 0
	.set _ZN9rocsparseL42csr2bsr_wavefront_per_row_multipass_kernelILj256ELj32ELj8E21rocsparse_complex_numIfEllEEv20rocsparse_direction_T4_S4_S4_S4_S4_21rocsparse_index_base_PKT2_PKT3_PKS4_S5_PS6_PS9_PS4_.uses_vcc, 1
	.set _ZN9rocsparseL42csr2bsr_wavefront_per_row_multipass_kernelILj256ELj32ELj8E21rocsparse_complex_numIfEllEEv20rocsparse_direction_T4_S4_S4_S4_S4_21rocsparse_index_base_PKT2_PKT3_PKS4_S5_PS6_PS9_PS4_.uses_flat_scratch, 0
	.set _ZN9rocsparseL42csr2bsr_wavefront_per_row_multipass_kernelILj256ELj32ELj8E21rocsparse_complex_numIfEllEEv20rocsparse_direction_T4_S4_S4_S4_S4_21rocsparse_index_base_PKT2_PKT3_PKS4_S5_PS6_PS9_PS4_.has_dyn_sized_stack, 0
	.set _ZN9rocsparseL42csr2bsr_wavefront_per_row_multipass_kernelILj256ELj32ELj8E21rocsparse_complex_numIfEllEEv20rocsparse_direction_T4_S4_S4_S4_S4_21rocsparse_index_base_PKT2_PKT3_PKS4_S5_PS6_PS9_PS4_.has_recursion, 0
	.set _ZN9rocsparseL42csr2bsr_wavefront_per_row_multipass_kernelILj256ELj32ELj8E21rocsparse_complex_numIfEllEEv20rocsparse_direction_T4_S4_S4_S4_S4_21rocsparse_index_base_PKT2_PKT3_PKS4_S5_PS6_PS9_PS4_.has_indirect_call, 0
	.section	.AMDGPU.csdata,"",@progbits
; Kernel info:
; codeLenInByte = 2300
; TotalNumSgprs: 45
; NumVgprs: 60
; ScratchSize: 0
; MemoryBound: 0
; FloatMode: 240
; IeeeMode: 1
; LDSByteSize: 4104 bytes/workgroup (compile time only)
; SGPRBlocks: 0
; VGPRBlocks: 3
; NumSGPRsForWavesPerEU: 45
; NumVGPRsForWavesPerEU: 60
; NamedBarCnt: 0
; Occupancy: 16
; WaveLimiterHint : 0
; COMPUTE_PGM_RSRC2:SCRATCH_EN: 0
; COMPUTE_PGM_RSRC2:USER_SGPR: 2
; COMPUTE_PGM_RSRC2:TRAP_HANDLER: 0
; COMPUTE_PGM_RSRC2:TGID_X_EN: 1
; COMPUTE_PGM_RSRC2:TGID_Y_EN: 0
; COMPUTE_PGM_RSRC2:TGID_Z_EN: 0
; COMPUTE_PGM_RSRC2:TIDIG_COMP_CNT: 0
	.section	.text._ZN9rocsparseL42csr2bsr_wavefront_per_row_multipass_kernelILj256ELj64ELj16E21rocsparse_complex_numIfEllEEv20rocsparse_direction_T4_S4_S4_S4_S4_21rocsparse_index_base_PKT2_PKT3_PKS4_S5_PS6_PS9_PS4_,"axG",@progbits,_ZN9rocsparseL42csr2bsr_wavefront_per_row_multipass_kernelILj256ELj64ELj16E21rocsparse_complex_numIfEllEEv20rocsparse_direction_T4_S4_S4_S4_S4_21rocsparse_index_base_PKT2_PKT3_PKS4_S5_PS6_PS9_PS4_,comdat
	.globl	_ZN9rocsparseL42csr2bsr_wavefront_per_row_multipass_kernelILj256ELj64ELj16E21rocsparse_complex_numIfEllEEv20rocsparse_direction_T4_S4_S4_S4_S4_21rocsparse_index_base_PKT2_PKT3_PKS4_S5_PS6_PS9_PS4_ ; -- Begin function _ZN9rocsparseL42csr2bsr_wavefront_per_row_multipass_kernelILj256ELj64ELj16E21rocsparse_complex_numIfEllEEv20rocsparse_direction_T4_S4_S4_S4_S4_21rocsparse_index_base_PKT2_PKT3_PKS4_S5_PS6_PS9_PS4_
	.p2align	8
	.type	_ZN9rocsparseL42csr2bsr_wavefront_per_row_multipass_kernelILj256ELj64ELj16E21rocsparse_complex_numIfEllEEv20rocsparse_direction_T4_S4_S4_S4_S4_21rocsparse_index_base_PKT2_PKT3_PKS4_S5_PS6_PS9_PS4_,@function
_ZN9rocsparseL42csr2bsr_wavefront_per_row_multipass_kernelILj256ELj64ELj16E21rocsparse_complex_numIfEllEEv20rocsparse_direction_T4_S4_S4_S4_S4_21rocsparse_index_base_PKT2_PKT3_PKS4_S5_PS6_PS9_PS4_: ; @_ZN9rocsparseL42csr2bsr_wavefront_per_row_multipass_kernelILj256ELj64ELj16E21rocsparse_complex_numIfEllEEv20rocsparse_direction_T4_S4_S4_S4_S4_21rocsparse_index_base_PKT2_PKT3_PKS4_S5_PS6_PS9_PS4_
; %bb.0:
	s_bfe_u32 s2, ttmp6, 0x4000c
	s_clause 0x1
	s_load_b96 s[8:10], s[0:1], 0x28
	s_load_b64 s[12:13], s[0:1], 0x40
	s_add_co_i32 s2, s2, 1
	s_and_b32 s3, ttmp6, 15
	s_mul_i32 s2, ttmp9, s2
	s_getreg_b32 s4, hwreg(HW_REG_IB_STS2, 6, 4)
	s_add_co_i32 s3, s3, s2
	s_cmp_eq_u32 s4, 0
	v_dual_mov_b32 v9, 0 :: v_dual_lshrrev_b32 v40, 6, v0
	s_cselect_b32 s14, ttmp9, s3
	v_bfe_u32 v8, v0, 2, 4
	s_ashr_i32 s15, s14, 31
	v_mov_b64_e32 v[24:25], 0
	s_lshl_b64 s[2:3], s[14:15], 2
	s_mov_b32 s11, 0
	v_or_b32_e32 v1, s2, v40
	s_load_b128 s[4:7], s[0:1], 0x18
	s_wait_kmcnt 0x0
	s_delay_alu instid0(VALU_DEP_1) | instskip(NEXT) | instid1(VALU_DEP_1)
	v_mad_nc_u64_u32 v[4:5], v1, s8, v[8:9]
	v_mad_u32 v2, s3, s8, v5
	s_load_b64 s[2:3], s[0:1], 0x8
	s_delay_alu instid0(VALU_DEP_1) | instskip(SKIP_2) | instid1(VALU_DEP_2)
	v_mad_u32 v5, v1, s9, v2
	v_mov_b64_e32 v[2:3], 0
	s_wait_kmcnt 0x0
	v_cmp_gt_i64_e32 vcc_lo, s[2:3], v[4:5]
	v_cmp_gt_i64_e64 s2, s[8:9], v[8:9]
	s_and_b32 s3, s2, vcc_lo
	s_delay_alu instid0(SALU_CYCLE_1)
	s_and_saveexec_b32 s15, s3
	s_cbranch_execz .LBB103_2
; %bb.1:
	v_lshl_add_u64 v[6:7], v[4:5], 3, s[12:13]
	global_load_b64 v[6:7], v[6:7], off
	s_wait_loadcnt 0x0
	v_sub_nc_u64_e64 v[24:25], v[6:7], s[10:11]
.LBB103_2:
	s_or_b32 exec_lo, exec_lo, s15
	s_and_saveexec_b32 s15, s3
	s_cbranch_execz .LBB103_4
; %bb.3:
	v_lshl_add_u64 v[2:3], v[4:5], 3, s[12:13]
	global_load_b64 v[2:3], v[2:3], off offset:8
	s_wait_loadcnt 0x0
	v_sub_nc_u64_e64 v[2:3], v[2:3], s[10:11]
.LBB103_4:
	s_or_b32 exec_lo, exec_lo, s15
	s_load_b32 s12, s[0:1], 0x50
	v_mov_b64_e32 v[4:5], 0
	v_lshl_or_b32 v6, s14, 2, v40
	v_mov_b32_e32 v7, 0
	s_mov_b32 s3, exec_lo
	s_delay_alu instid0(VALU_DEP_1)
	v_cmpx_gt_i64_e64 s[4:5], v[6:7]
	s_cbranch_execz .LBB103_6
; %bb.5:
	s_load_b64 s[4:5], s[0:1], 0x60
	s_mov_b32 s13, 0
	s_wait_kmcnt 0x0
	v_lshl_add_u64 v[4:5], v[6:7], 3, s[4:5]
	global_load_b64 v[4:5], v[4:5], off
	s_wait_loadcnt 0x0
	v_sub_nc_u64_e64 v[4:5], v[4:5], s[12:13]
.LBB103_6:
	s_or_b32 exec_lo, exec_lo, s3
	v_cmp_lt_i64_e64 s3, s[6:7], 1
	s_and_b32 vcc_lo, exec_lo, s3
	s_cbranch_vccnz .LBB103_43
; %bb.7:
	v_mbcnt_lo_u32_b32 v7, -1, 0
	s_clause 0x1
	s_load_b64 s[22:23], s[0:1], 0x58
	s_load_b64 s[4:5], s[0:1], 0x68
	v_dual_lshlrev_b32 v1, 7, v8 :: v_dual_lshlrev_b32 v10, 3, v8
	v_dual_mov_b32 v6, 0 :: v_dual_bitop2_b32 v12, 2, v7 bitop3:0x14
	v_and_b32_e32 v0, 3, v0
	v_mul_u64_e32 v[18:19], s[8:9], v[8:9]
	s_delay_alu instid0(VALU_DEP_4) | instskip(NEXT) | instid1(VALU_DEP_4)
	v_lshl_or_b32 v41, v40, 11, v1
	v_mov_b32_e32 v11, v6
	v_cmp_gt_i32_e32 vcc_lo, 32, v12
	v_xor_b32_e32 v13, 1, v7
	v_dual_mov_b32 v23, v6 :: v_dual_bitop2_b32 v22, 8, v0 bitop3:0x54
	v_dual_mov_b32 v27, v6 :: v_dual_bitop2_b32 v26, 12, v0 bitop3:0x54
	v_cndmask_b32_e32 v12, v7, v12, vcc_lo
	s_delay_alu instid0(VALU_DEP_4) | instskip(NEXT) | instid1(VALU_DEP_4)
	v_cmp_gt_i32_e32 vcc_lo, 32, v13
	v_mul_u64_e32 v[14:15], s[8:9], v[22:23]
	s_clause 0x2
	s_load_b64 s[18:19], s[0:1], 0x48
	s_load_b64 s[20:21], s[0:1], 0x38
	s_load_b32 s3, s[0:1], 0x0
	s_wait_kmcnt 0x0
	v_add_nc_u64_e32 v[8:9], s[22:23], v[10:11]
	v_dual_mov_b32 v1, v6 :: v_dual_cndmask_b32 v10, v7, v13
	v_lshlrev_b32_e32 v43, 2, v12
	v_mul_u64_e32 v[16:17], s[8:9], v[26:27]
	v_mov_b32_e32 v21, v6
	v_lshl_or_b32 v45, v7, 2, 12
	v_dual_lshlrev_b32 v44, 2, v10 :: v_dual_bitop2_b32 v10, 32, v7 bitop3:0x54
	v_cmp_gt_u64_e64 s1, s[8:9], v[22:23]
	v_lshl_or_b32 v42, v0, 3, v41
	v_bfrev_b32_e32 v50, 0.5
	v_mov_b32_e32 v51, 1
	v_cmp_gt_i32_e32 vcc_lo, 32, v10
	s_mov_b32 s17, 0
	v_or_b32_e32 v20, 4, v0
	s_mul_u64 s[14:15], s[8:9], s[8:9]
	s_mov_b32 s11, s17
	v_dual_cndmask_b32 v28, v7, v10, vcc_lo :: v_dual_bitop2_b32 v29, 16, v7 bitop3:0x14
	v_mul_u64_e32 v[10:11], s[8:9], v[0:1]
	v_mul_u64_e32 v[12:13], s[8:9], v[20:21]
	s_cmp_lg_u32 s3, 0
	s_delay_alu instid0(VALU_DEP_3)
	v_lshlrev_b32_e32 v46, 2, v28
	v_cmp_gt_i32_e32 vcc_lo, 32, v29
	v_xor_b32_e32 v30, 8, v7
	v_cmp_gt_u64_e64 s0, s[8:9], v[20:21]
	v_cmp_gt_u64_e64 s3, s[8:9], v[26:27]
	v_mov_b64_e32 v[26:27], 0
	v_dual_cndmask_b32 v29, v7, v29, vcc_lo :: v_dual_bitop2_b32 v31, 4, v7 bitop3:0x14
	v_cmp_gt_i32_e32 vcc_lo, 32, v30
	v_mov_b64_e32 v[20:21], 0
	v_lshl_add_u64 v[18:19], v[18:19], 3, s[22:23]
	s_delay_alu instid0(VALU_DEP_4)
	v_lshlrev_b32_e32 v47, 2, v29
	s_mov_b32 s13, s17
	v_cndmask_b32_e32 v28, v7, v30, vcc_lo
	v_cmp_gt_i32_e32 vcc_lo, 32, v31
	s_cselect_b32 s26, -1, 0
	s_and_b32 s28, s2, s0
	s_and_b32 s1, s2, s1
	s_mov_b64 s[22:23], 0xffffffff
	v_cndmask_b32_e32 v7, v7, v31, vcc_lo
	v_cmp_gt_u64_e32 vcc_lo, s[8:9], v[0:1]
	v_lshlrev_b32_e32 v48, 2, v28
	s_and_b32 s29, s2, s3
	s_sub_co_i32 s30, 0, s8
	v_lshlrev_b32_e32 v49, 2, v7
	s_mov_b32 s31, 0
	s_and_b32 s27, s2, vcc_lo
	s_ashr_i32 s2, s9, 31
	s_branch .LBB103_10
.LBB103_8:                              ;   in Loop: Header=BB103_10 Depth=1
	s_wait_xcnt 0x0
	s_or_b32 exec_lo, exec_lo, s3
	v_mov_b64_e32 v[28:29], 1
.LBB103_9:                              ;   in Loop: Header=BB103_10 Depth=1
	s_or_b32 exec_lo, exec_lo, s0
	ds_bpermute_b32 v26, v46, v22
	ds_bpermute_b32 v27, v46, v23
	v_add_nc_u64_e32 v[4:5], v[28:29], v[4:5]
	s_wait_storecnt_dscnt 0x0
	v_min_i64 v[22:23], v[26:27], v[22:23]
	ds_bpermute_b32 v26, v47, v22
	ds_bpermute_b32 v27, v47, v23
	s_wait_dscnt 0x0
	v_min_i64 v[22:23], v[26:27], v[22:23]
	ds_bpermute_b32 v26, v48, v22
	ds_bpermute_b32 v27, v48, v23
	s_wait_dscnt 0x0
	v_min_i64 v[22:23], v[26:27], v[22:23]
	ds_bpermute_b32 v26, v49, v22
	ds_bpermute_b32 v27, v49, v23
	s_wait_dscnt 0x0
	v_min_i64 v[22:23], v[26:27], v[22:23]
	ds_bpermute_b32 v26, v43, v22
	ds_bpermute_b32 v27, v43, v23
	s_wait_dscnt 0x0
	v_min_i64 v[22:23], v[26:27], v[22:23]
	ds_bpermute_b32 v26, v44, v22
	ds_bpermute_b32 v27, v44, v23
	s_wait_dscnt 0x0
	v_min_i64 v[22:23], v[26:27], v[22:23]
	ds_bpermute_b32 v26, v50, v22
	ds_bpermute_b32 v27, v50, v23
	s_wait_dscnt 0x0
	v_cmp_le_i64_e32 vcc_lo, s[6:7], v[26:27]
	s_or_b32 s31, vcc_lo, s31
	s_delay_alu instid0(SALU_CYCLE_1)
	s_and_not1_b32 exec_lo, exec_lo, s31
	s_cbranch_execz .LBB103_43
.LBB103_10:                             ; =>This Loop Header: Depth=1
                                        ;     Child Loop BB103_13 Depth 2
	v_add_nc_u64_e32 v[24:25], v[24:25], v[0:1]
	v_mov_b64_e32 v[22:23], s[6:7]
	v_mov_b64_e32 v[38:39], v[2:3]
	s_mov_b32 s33, exec_lo
	ds_store_b8 v40, v6 offset:8192
	ds_store_2addr_b64 v42, v[20:21], v[20:21] offset1:4
	ds_store_2addr_b64 v42, v[20:21], v[20:21] offset0:8 offset1:12
	s_wait_dscnt 0x0
	v_cmpx_lt_i64_e64 v[24:25], v[2:3]
	s_cbranch_execz .LBB103_22
; %bb.11:                               ;   in Loop: Header=BB103_10 Depth=1
	v_mul_u64_e32 v[28:29], s[8:9], v[26:27]
	v_lshlrev_b64_e32 v[22:23], 3, v[24:25]
	v_mov_b64_e32 v[34:35], v[2:3]
	s_mov_b32 s34, 0
	s_delay_alu instid0(VALU_DEP_2)
	v_add_nc_u64_e32 v[30:31], s[20:21], v[22:23]
	v_add_nc_u64_e32 v[32:33], s[18:19], v[22:23]
	v_mov_b64_e32 v[22:23], s[6:7]
	s_branch .LBB103_13
.LBB103_12:                             ;   in Loop: Header=BB103_13 Depth=2
	s_wait_xcnt 0x0
	s_or_b32 exec_lo, exec_lo, s0
	v_add_nc_u64_e32 v[24:25], 4, v[24:25]
	s_xor_b32 s3, vcc_lo, -1
	v_add_nc_u64_e32 v[30:31], 32, v[30:31]
	v_add_nc_u64_e32 v[32:33], 32, v[32:33]
	v_mov_b64_e32 v[34:35], v[38:39]
	s_delay_alu instid0(VALU_DEP_4) | instskip(SKIP_1) | instid1(SALU_CYCLE_1)
	v_cmp_ge_i64_e64 s0, v[24:25], v[2:3]
	s_or_b32 s0, s3, s0
	s_and_b32 s0, exec_lo, s0
	s_delay_alu instid0(SALU_CYCLE_1) | instskip(NEXT) | instid1(SALU_CYCLE_1)
	s_or_b32 s34, s0, s34
	s_and_not1_b32 exec_lo, exec_lo, s34
	s_cbranch_execz .LBB103_21
.LBB103_13:                             ;   Parent Loop BB103_10 Depth=1
                                        ; =>  This Inner Loop Header: Depth=2
	global_load_b64 v[36:37], v[32:33], off
                                        ; implicit-def: $vgpr38_vgpr39
	s_mov_b32 s0, exec_lo
	s_wait_loadcnt 0x0
	v_sub_nc_u64_e64 v[36:37], v[36:37], s[10:11]
	s_delay_alu instid0(VALU_DEP_1) | instskip(SKIP_1) | instid1(VALU_DEP_1)
	v_or_b32_e32 v7, s9, v37
	s_wait_xcnt 0x0
	v_cmpx_ne_u64_e32 0, v[6:7]
	s_xor_b32 s35, exec_lo, s0
	s_cbranch_execz .LBB103_15
; %bb.14:                               ;   in Loop: Header=BB103_13 Depth=2
	s_mov_b32 s3, s2
	v_dual_mov_b32 v55, v6 :: v_dual_ashrrev_i32 v38, 31, v37
	s_add_nc_u64 s[24:25], s[8:9], s[2:3]
	v_mov_b32_e32 v63, v6
	s_xor_b64 s[24:25], s[24:25], s[2:3]
	s_delay_alu instid0(VALU_DEP_2) | instskip(SKIP_3) | instid1(VALU_DEP_1)
	v_mov_b32_e32 v39, v38
	s_cvt_f32_u32 s0, s24
	s_cvt_f32_u32 s3, s25
	s_sub_nc_u64 s[38:39], 0, s[24:25]
	v_add_nc_u64_e32 v[52:53], v[36:37], v[38:39]
	s_delay_alu instid0(SALU_CYCLE_1) | instskip(SKIP_1) | instid1(SALU_CYCLE_2)
	s_fmamk_f32 s0, s3, 0x4f800000, s0
	v_mov_b32_e32 v59, v6
	v_s_rcp_f32 s0, s0
	s_delay_alu instid0(VALU_DEP_2) | instskip(NEXT) | instid1(VALU_DEP_3)
	v_xor_b32_e32 v54, v52, v38
	v_xor_b32_e32 v58, v53, v38
	v_xor_b32_e32 v38, s2, v38
	s_delay_alu instid0(TRANS32_DEP_1) | instskip(NEXT) | instid1(SALU_CYCLE_3)
	s_mul_f32 s0, s0, 0x5f7ffffc
	s_mul_f32 s3, s0, 0x2f800000
	s_delay_alu instid0(SALU_CYCLE_3) | instskip(NEXT) | instid1(SALU_CYCLE_3)
	s_trunc_f32 s3, s3
	s_fmamk_f32 s0, s3, 0xcf800000, s0
	s_cvt_u32_f32 s37, s3
	s_delay_alu instid0(SALU_CYCLE_2) | instskip(NEXT) | instid1(SALU_CYCLE_3)
	s_cvt_u32_f32 s36, s0
	s_mul_u64 s[40:41], s[38:39], s[36:37]
	s_delay_alu instid0(SALU_CYCLE_1)
	s_mul_hi_u32 s43, s36, s41
	s_mul_i32 s42, s36, s41
	s_mul_hi_u32 s16, s36, s40
	s_mul_i32 s3, s37, s40
	s_add_nc_u64 s[42:43], s[16:17], s[42:43]
	s_mul_hi_u32 s0, s37, s40
	s_mul_hi_u32 s44, s37, s41
	s_add_co_u32 s3, s42, s3
	s_add_co_ci_u32 s16, s43, s0
	s_mul_i32 s40, s37, s41
	s_add_co_ci_u32 s41, s44, 0
	s_delay_alu instid0(SALU_CYCLE_1) | instskip(NEXT) | instid1(SALU_CYCLE_1)
	s_add_nc_u64 s[40:41], s[16:17], s[40:41]
	s_add_co_u32 s36, s36, s40
	s_cselect_b32 s0, -1, 0
	s_delay_alu instid0(SALU_CYCLE_1) | instskip(SKIP_1) | instid1(SALU_CYCLE_1)
	s_cmp_lg_u32 s0, 0
	s_add_co_ci_u32 s37, s37, s41
	s_mul_u64 s[38:39], s[38:39], s[36:37]
	s_delay_alu instid0(SALU_CYCLE_1)
	s_mul_hi_u32 s41, s36, s39
	s_mul_i32 s40, s36, s39
	s_mul_hi_u32 s16, s36, s38
	s_mul_i32 s3, s37, s38
	s_add_nc_u64 s[40:41], s[16:17], s[40:41]
	s_mul_hi_u32 s0, s37, s38
	s_mul_hi_u32 s42, s37, s39
	s_add_co_u32 s3, s40, s3
	s_add_co_ci_u32 s16, s41, s0
	s_mul_i32 s38, s37, s39
	s_add_co_ci_u32 s39, s42, 0
	s_delay_alu instid0(SALU_CYCLE_1) | instskip(NEXT) | instid1(SALU_CYCLE_1)
	s_add_nc_u64 s[38:39], s[16:17], s[38:39]
	s_add_co_u32 s0, s36, s38
	s_cselect_b32 s3, -1, 0
	v_mul_hi_u32 v62, v54, s0
	s_cmp_lg_u32 s3, 0
	s_add_co_ci_u32 s16, s37, s39
	s_and_b64 s[36:37], s[0:1], s[22:23]
	v_mul_u64_e32 v[56:57], s[16:17], v[54:55]
	v_mul_u64_e32 v[52:53], s[36:37], v[58:59]
	v_mul_u64_e32 v[60:61], s[16:17], v[58:59]
	s_delay_alu instid0(VALU_DEP_3) | instskip(NEXT) | instid1(VALU_DEP_1)
	v_add_nc_u64_e32 v[56:57], v[62:63], v[56:57]
	v_add_co_u32 v7, vcc_lo, v56, v52
	s_delay_alu instid0(VALU_DEP_2) | instskip(NEXT) | instid1(VALU_DEP_4)
	v_add_co_ci_u32_e32 v62, vcc_lo, v57, v53, vcc_lo
	v_add_co_ci_u32_e32 v61, vcc_lo, 0, v61, vcc_lo
	s_delay_alu instid0(VALU_DEP_1) | instskip(NEXT) | instid1(VALU_DEP_1)
	v_add_nc_u64_e32 v[52:53], v[62:63], v[60:61]
	v_mul_u64_e32 v[56:57], s[24:25], v[52:53]
	s_delay_alu instid0(VALU_DEP_1) | instskip(NEXT) | instid1(VALU_DEP_2)
	v_sub_nc_u32_e32 v7, v58, v57
	v_sub_co_u32 v29, vcc_lo, v54, v56
	s_delay_alu instid0(VALU_DEP_1) | instskip(NEXT) | instid1(VALU_DEP_3)
	v_sub_co_ci_u32_e64 v39, null, v58, v57, vcc_lo
	v_subrev_co_ci_u32_e64 v7, null, s25, v7, vcc_lo
	s_delay_alu instid0(VALU_DEP_3) | instskip(SKIP_1) | instid1(VALU_DEP_3)
	v_sub_co_u32 v37, s0, v29, s24
	v_add_nc_u64_e32 v[56:57], 1, v[52:53]
	v_subrev_co_ci_u32_e64 v7, null, 0, v7, s0
	s_delay_alu instid0(VALU_DEP_3) | instskip(SKIP_1) | instid1(VALU_DEP_3)
	v_cmp_le_u32_e32 vcc_lo, s24, v37
	v_cndmask_b32_e64 v37, 0, -1, vcc_lo
	v_cmp_le_u32_e32 vcc_lo, s25, v7
	v_cndmask_b32_e64 v54, 0, -1, vcc_lo
	;; [unrolled: 2-line block ×4, first 2 shown]
	v_cmp_eq_u32_e32 vcc_lo, s25, v7
	v_cndmask_b32_e32 v7, v54, v37, vcc_lo
	v_cmp_eq_u32_e32 vcc_lo, s25, v39
	v_add_nc_u64_e32 v[54:55], 2, v[52:53]
	v_mov_b32_e32 v39, v38
	v_cndmask_b32_e32 v29, v58, v29, vcc_lo
	v_cmp_ne_u32_e32 vcc_lo, 0, v7
	s_delay_alu instid0(VALU_DEP_2) | instskip(SKIP_1) | instid1(VALU_DEP_1)
	v_cmp_ne_u32_e64 s0, 0, v29
	v_dual_cndmask_b32 v7, v57, v55, vcc_lo :: v_dual_cndmask_b32 v29, v56, v54, vcc_lo
	v_dual_cndmask_b32 v7, v53, v7, s0 :: v_dual_cndmask_b32 v29, v52, v29, s0
	s_delay_alu instid0(VALU_DEP_1) | instskip(NEXT) | instid1(VALU_DEP_2)
	v_xor_b32_e32 v53, v7, v38
	v_xor_b32_e32 v52, v29, v38
	s_delay_alu instid0(VALU_DEP_1)
	v_sub_nc_u64_e32 v[38:39], v[52:53], v[38:39]
.LBB103_15:                             ;   in Loop: Header=BB103_13 Depth=2
	s_and_not1_saveexec_b32 s0, s35
	s_cbranch_execz .LBB103_17
; %bb.16:                               ;   in Loop: Header=BB103_13 Depth=2
	v_cvt_f32_u32_e32 v7, s8
	v_mov_b32_e32 v39, v6
	s_delay_alu instid0(VALU_DEP_2) | instskip(SKIP_1) | instid1(TRANS32_DEP_1)
	v_rcp_iflag_f32_e32 v7, v7
	v_nop
	v_mul_f32_e32 v7, 0x4f7ffffe, v7
	s_delay_alu instid0(VALU_DEP_1) | instskip(NEXT) | instid1(VALU_DEP_1)
	v_cvt_u32_f32_e32 v7, v7
	v_mul_lo_u32 v29, s30, v7
	s_delay_alu instid0(VALU_DEP_1) | instskip(NEXT) | instid1(VALU_DEP_1)
	v_mul_hi_u32 v29, v7, v29
	v_add_nc_u32_e32 v7, v7, v29
	s_delay_alu instid0(VALU_DEP_1) | instskip(NEXT) | instid1(VALU_DEP_1)
	v_mul_hi_u32 v7, v36, v7
	v_mul_lo_u32 v29, v7, s8
	s_delay_alu instid0(VALU_DEP_1) | instskip(NEXT) | instid1(VALU_DEP_1)
	v_sub_nc_u32_e32 v29, v36, v29
	v_subrev_nc_u32_e32 v38, s8, v29
	v_cmp_le_u32_e32 vcc_lo, s8, v29
	s_delay_alu instid0(VALU_DEP_2) | instskip(NEXT) | instid1(VALU_DEP_1)
	v_dual_add_nc_u32 v37, 1, v7 :: v_dual_cndmask_b32 v29, v29, v38, vcc_lo
	v_cndmask_b32_e32 v7, v7, v37, vcc_lo
	s_delay_alu instid0(VALU_DEP_2) | instskip(NEXT) | instid1(VALU_DEP_2)
	v_cmp_le_u32_e32 vcc_lo, s8, v29
	v_add_nc_u32_e32 v37, 1, v7
	s_delay_alu instid0(VALU_DEP_1)
	v_cndmask_b32_e32 v38, v7, v37, vcc_lo
.LBB103_17:                             ;   in Loop: Header=BB103_13 Depth=2
	s_or_b32 exec_lo, exec_lo, s0
	s_delay_alu instid0(VALU_DEP_1) | instskip(SKIP_2) | instid1(SALU_CYCLE_1)
	v_cmp_ne_u64_e64 s0, v[38:39], v[26:27]
	v_cmp_eq_u64_e32 vcc_lo, v[38:39], v[26:27]
	s_and_saveexec_b32 s3, s0
	s_xor_b32 s0, exec_lo, s3
; %bb.18:                               ;   in Loop: Header=BB103_13 Depth=2
	v_min_i64 v[22:23], v[38:39], v[22:23]
                                        ; implicit-def: $vgpr36_vgpr37
                                        ; implicit-def: $vgpr34_vgpr35
; %bb.19:                               ;   in Loop: Header=BB103_13 Depth=2
	s_or_saveexec_b32 s0, s0
	v_mov_b64_e32 v[38:39], v[24:25]
	s_xor_b32 exec_lo, exec_lo, s0
	s_cbranch_execz .LBB103_12
; %bb.20:                               ;   in Loop: Header=BB103_13 Depth=2
	global_load_b64 v[52:53], v[30:31], off
	v_sub_nc_u32_e32 v7, v36, v28
	v_mov_b64_e32 v[38:39], v[34:35]
	s_delay_alu instid0(VALU_DEP_2)
	v_lshl_add_u32 v7, v7, 3, v41
	ds_store_b8 v40, v51 offset:8192
	s_wait_loadcnt 0x0
	ds_store_b64 v7, v[52:53]
	s_branch .LBB103_12
.LBB103_21:                             ;   in Loop: Header=BB103_10 Depth=1
	s_or_b32 exec_lo, exec_lo, s34
.LBB103_22:                             ;   in Loop: Header=BB103_10 Depth=1
	s_delay_alu instid0(SALU_CYCLE_1)
	s_or_b32 exec_lo, exec_lo, s33
	ds_bpermute_b32 v24, v43, v38
	ds_bpermute_b32 v25, v43, v39
	s_wait_dscnt 0x0
	ds_load_u8 v7, v40 offset:8192
	s_mov_b32 s0, exec_lo
	v_min_i64 v[24:25], v[24:25], v[38:39]
	s_wait_dscnt 0x0
	v_and_b32_e32 v7, 1, v7
	ds_bpermute_b32 v28, v44, v24
	ds_bpermute_b32 v29, v44, v25
	s_wait_dscnt 0x0
	v_min_i64 v[24:25], v[28:29], v[24:25]
	v_mov_b64_e32 v[28:29], 0
	ds_bpermute_b32 v24, v45, v24
	ds_bpermute_b32 v25, v45, v25
	v_cmpx_eq_u32_e32 1, v7
	s_cbranch_execz .LBB103_9
; %bb.23:                               ;   in Loop: Header=BB103_10 Depth=1
	v_mul_u64_e32 v[28:29], s[14:15], v[4:5]
	v_add_nc_u64_e32 v[32:33], s[12:13], v[26:27]
	s_delay_alu instid0(VALU_DEP_2) | instskip(NEXT) | instid1(VALU_DEP_1)
	v_lshlrev_b64_e32 v[30:31], 3, v[28:29]
	v_add_nc_u64_e32 v[28:29], v[8:9], v[30:31]
	v_add_nc_u64_e32 v[26:27], v[18:19], v[30:31]
	v_lshl_add_u64 v[30:31], v[4:5], 3, s[4:5]
	global_store_b64 v[30:31], v[32:33], off
	s_wait_xcnt 0x0
	s_and_saveexec_b32 s3, s27
	s_cbranch_execz .LBB103_27
; %bb.24:                               ;   in Loop: Header=BB103_10 Depth=1
	ds_load_b64 v[30:31], v42
	s_and_b32 vcc_lo, exec_lo, s26
	s_cbranch_vccz .LBB103_38
; %bb.25:                               ;   in Loop: Header=BB103_10 Depth=1
	v_lshl_add_u64 v[32:33], v[10:11], 3, v[28:29]
	s_wait_dscnt 0x0
	global_store_b64 v[32:33], v[30:31], off
	s_cbranch_execnz .LBB103_27
.LBB103_26:                             ;   in Loop: Header=BB103_10 Depth=1
	s_wait_xcnt 0x0
	v_dual_mov_b32 v33, v6 :: v_dual_lshlrev_b32 v32, 3, v0
	s_delay_alu instid0(VALU_DEP_1)
	v_add_nc_u64_e32 v[32:33], v[26:27], v[32:33]
	s_wait_dscnt 0x0
	global_store_b64 v[32:33], v[30:31], off
.LBB103_27:                             ;   in Loop: Header=BB103_10 Depth=1
	s_wait_xcnt 0x0
	s_or_b32 exec_lo, exec_lo, s3
	s_and_saveexec_b32 s3, s28
	s_cbranch_execz .LBB103_31
; %bb.28:                               ;   in Loop: Header=BB103_10 Depth=1
	s_and_not1_b32 vcc_lo, exec_lo, s26
	s_cbranch_vccnz .LBB103_39
; %bb.29:                               ;   in Loop: Header=BB103_10 Depth=1
	s_wait_dscnt 0x0
	ds_load_b64 v[30:31], v42 offset:32
	v_lshl_add_u64 v[32:33], v[12:13], 3, v[28:29]
	s_wait_dscnt 0x0
	global_store_b64 v[32:33], v[30:31], off
	s_cbranch_execnz .LBB103_31
.LBB103_30:                             ;   in Loop: Header=BB103_10 Depth=1
	s_wait_dscnt 0x0
	s_wait_xcnt 0x0
	ds_load_b64 v[30:31], v42 offset:32
	v_dual_mov_b32 v33, v6 :: v_dual_lshlrev_b32 v32, 3, v0
	s_delay_alu instid0(VALU_DEP_1)
	v_add_nc_u64_e32 v[32:33], v[26:27], v[32:33]
	s_wait_dscnt 0x0
	global_store_b64 v[32:33], v[30:31], off offset:32
.LBB103_31:                             ;   in Loop: Header=BB103_10 Depth=1
	s_wait_xcnt 0x0
	s_or_b32 exec_lo, exec_lo, s3
	s_and_saveexec_b32 s3, s1
	s_cbranch_execz .LBB103_35
; %bb.32:                               ;   in Loop: Header=BB103_10 Depth=1
	s_and_not1_b32 vcc_lo, exec_lo, s26
	s_cbranch_vccnz .LBB103_40
; %bb.33:                               ;   in Loop: Header=BB103_10 Depth=1
	s_wait_dscnt 0x0
	ds_load_b64 v[30:31], v42 offset:64
	v_lshl_add_u64 v[32:33], v[14:15], 3, v[28:29]
	s_wait_dscnt 0x0
	global_store_b64 v[32:33], v[30:31], off
	s_cbranch_execnz .LBB103_35
.LBB103_34:                             ;   in Loop: Header=BB103_10 Depth=1
	s_wait_dscnt 0x0
	s_wait_xcnt 0x0
	ds_load_b64 v[30:31], v42 offset:64
	v_dual_mov_b32 v33, v6 :: v_dual_lshlrev_b32 v32, 3, v0
	s_delay_alu instid0(VALU_DEP_1)
	v_add_nc_u64_e32 v[32:33], v[26:27], v[32:33]
	s_wait_dscnt 0x0
	global_store_b64 v[32:33], v[30:31], off offset:64
.LBB103_35:                             ;   in Loop: Header=BB103_10 Depth=1
	s_wait_xcnt 0x0
	s_or_b32 exec_lo, exec_lo, s3
	s_and_saveexec_b32 s3, s29
	s_cbranch_execz .LBB103_8
; %bb.36:                               ;   in Loop: Header=BB103_10 Depth=1
	s_and_not1_b32 vcc_lo, exec_lo, s26
	s_cbranch_vccnz .LBB103_41
; %bb.37:                               ;   in Loop: Header=BB103_10 Depth=1
	s_wait_dscnt 0x0
	ds_load_b64 v[30:31], v42 offset:96
	v_lshl_add_u64 v[28:29], v[16:17], 3, v[28:29]
	s_wait_dscnt 0x0
	global_store_b64 v[28:29], v[30:31], off
	s_cbranch_execnz .LBB103_8
	s_branch .LBB103_42
.LBB103_38:                             ;   in Loop: Header=BB103_10 Depth=1
	s_branch .LBB103_26
.LBB103_39:                             ;   in Loop: Header=BB103_10 Depth=1
	s_branch .LBB103_30
.LBB103_40:                             ;   in Loop: Header=BB103_10 Depth=1
	s_branch .LBB103_34
.LBB103_41:                             ;   in Loop: Header=BB103_10 Depth=1
.LBB103_42:                             ;   in Loop: Header=BB103_10 Depth=1
	s_wait_xcnt 0x0
	ds_load_b64 v[28:29], v42 offset:96
	s_wait_dscnt 0x1
	v_dual_mov_b32 v31, v6 :: v_dual_lshlrev_b32 v30, 3, v0
	s_delay_alu instid0(VALU_DEP_1)
	v_add_nc_u64_e32 v[26:27], v[26:27], v[30:31]
	s_wait_dscnt 0x0
	global_store_b64 v[26:27], v[28:29], off offset:96
	s_branch .LBB103_8
.LBB103_43:
	s_endpgm
	.section	.rodata,"a",@progbits
	.p2align	6, 0x0
	.amdhsa_kernel _ZN9rocsparseL42csr2bsr_wavefront_per_row_multipass_kernelILj256ELj64ELj16E21rocsparse_complex_numIfEllEEv20rocsparse_direction_T4_S4_S4_S4_S4_21rocsparse_index_base_PKT2_PKT3_PKS4_S5_PS6_PS9_PS4_
		.amdhsa_group_segment_fixed_size 8196
		.amdhsa_private_segment_fixed_size 0
		.amdhsa_kernarg_size 112
		.amdhsa_user_sgpr_count 2
		.amdhsa_user_sgpr_dispatch_ptr 0
		.amdhsa_user_sgpr_queue_ptr 0
		.amdhsa_user_sgpr_kernarg_segment_ptr 1
		.amdhsa_user_sgpr_dispatch_id 0
		.amdhsa_user_sgpr_kernarg_preload_length 0
		.amdhsa_user_sgpr_kernarg_preload_offset 0
		.amdhsa_user_sgpr_private_segment_size 0
		.amdhsa_wavefront_size32 1
		.amdhsa_uses_dynamic_stack 0
		.amdhsa_enable_private_segment 0
		.amdhsa_system_sgpr_workgroup_id_x 1
		.amdhsa_system_sgpr_workgroup_id_y 0
		.amdhsa_system_sgpr_workgroup_id_z 0
		.amdhsa_system_sgpr_workgroup_info 0
		.amdhsa_system_vgpr_workitem_id 0
		.amdhsa_next_free_vgpr 64
		.amdhsa_next_free_sgpr 45
		.amdhsa_named_barrier_count 0
		.amdhsa_reserve_vcc 1
		.amdhsa_float_round_mode_32 0
		.amdhsa_float_round_mode_16_64 0
		.amdhsa_float_denorm_mode_32 3
		.amdhsa_float_denorm_mode_16_64 3
		.amdhsa_fp16_overflow 0
		.amdhsa_memory_ordered 1
		.amdhsa_forward_progress 1
		.amdhsa_inst_pref_size 21
		.amdhsa_round_robin_scheduling 0
		.amdhsa_exception_fp_ieee_invalid_op 0
		.amdhsa_exception_fp_denorm_src 0
		.amdhsa_exception_fp_ieee_div_zero 0
		.amdhsa_exception_fp_ieee_overflow 0
		.amdhsa_exception_fp_ieee_underflow 0
		.amdhsa_exception_fp_ieee_inexact 0
		.amdhsa_exception_int_div_zero 0
	.end_amdhsa_kernel
	.section	.text._ZN9rocsparseL42csr2bsr_wavefront_per_row_multipass_kernelILj256ELj64ELj16E21rocsparse_complex_numIfEllEEv20rocsparse_direction_T4_S4_S4_S4_S4_21rocsparse_index_base_PKT2_PKT3_PKS4_S5_PS6_PS9_PS4_,"axG",@progbits,_ZN9rocsparseL42csr2bsr_wavefront_per_row_multipass_kernelILj256ELj64ELj16E21rocsparse_complex_numIfEllEEv20rocsparse_direction_T4_S4_S4_S4_S4_21rocsparse_index_base_PKT2_PKT3_PKS4_S5_PS6_PS9_PS4_,comdat
.Lfunc_end103:
	.size	_ZN9rocsparseL42csr2bsr_wavefront_per_row_multipass_kernelILj256ELj64ELj16E21rocsparse_complex_numIfEllEEv20rocsparse_direction_T4_S4_S4_S4_S4_21rocsparse_index_base_PKT2_PKT3_PKS4_S5_PS6_PS9_PS4_, .Lfunc_end103-_ZN9rocsparseL42csr2bsr_wavefront_per_row_multipass_kernelILj256ELj64ELj16E21rocsparse_complex_numIfEllEEv20rocsparse_direction_T4_S4_S4_S4_S4_21rocsparse_index_base_PKT2_PKT3_PKS4_S5_PS6_PS9_PS4_
                                        ; -- End function
	.set _ZN9rocsparseL42csr2bsr_wavefront_per_row_multipass_kernelILj256ELj64ELj16E21rocsparse_complex_numIfEllEEv20rocsparse_direction_T4_S4_S4_S4_S4_21rocsparse_index_base_PKT2_PKT3_PKS4_S5_PS6_PS9_PS4_.num_vgpr, 64
	.set _ZN9rocsparseL42csr2bsr_wavefront_per_row_multipass_kernelILj256ELj64ELj16E21rocsparse_complex_numIfEllEEv20rocsparse_direction_T4_S4_S4_S4_S4_21rocsparse_index_base_PKT2_PKT3_PKS4_S5_PS6_PS9_PS4_.num_agpr, 0
	.set _ZN9rocsparseL42csr2bsr_wavefront_per_row_multipass_kernelILj256ELj64ELj16E21rocsparse_complex_numIfEllEEv20rocsparse_direction_T4_S4_S4_S4_S4_21rocsparse_index_base_PKT2_PKT3_PKS4_S5_PS6_PS9_PS4_.numbered_sgpr, 45
	.set _ZN9rocsparseL42csr2bsr_wavefront_per_row_multipass_kernelILj256ELj64ELj16E21rocsparse_complex_numIfEllEEv20rocsparse_direction_T4_S4_S4_S4_S4_21rocsparse_index_base_PKT2_PKT3_PKS4_S5_PS6_PS9_PS4_.num_named_barrier, 0
	.set _ZN9rocsparseL42csr2bsr_wavefront_per_row_multipass_kernelILj256ELj64ELj16E21rocsparse_complex_numIfEllEEv20rocsparse_direction_T4_S4_S4_S4_S4_21rocsparse_index_base_PKT2_PKT3_PKS4_S5_PS6_PS9_PS4_.private_seg_size, 0
	.set _ZN9rocsparseL42csr2bsr_wavefront_per_row_multipass_kernelILj256ELj64ELj16E21rocsparse_complex_numIfEllEEv20rocsparse_direction_T4_S4_S4_S4_S4_21rocsparse_index_base_PKT2_PKT3_PKS4_S5_PS6_PS9_PS4_.uses_vcc, 1
	.set _ZN9rocsparseL42csr2bsr_wavefront_per_row_multipass_kernelILj256ELj64ELj16E21rocsparse_complex_numIfEllEEv20rocsparse_direction_T4_S4_S4_S4_S4_21rocsparse_index_base_PKT2_PKT3_PKS4_S5_PS6_PS9_PS4_.uses_flat_scratch, 0
	.set _ZN9rocsparseL42csr2bsr_wavefront_per_row_multipass_kernelILj256ELj64ELj16E21rocsparse_complex_numIfEllEEv20rocsparse_direction_T4_S4_S4_S4_S4_21rocsparse_index_base_PKT2_PKT3_PKS4_S5_PS6_PS9_PS4_.has_dyn_sized_stack, 0
	.set _ZN9rocsparseL42csr2bsr_wavefront_per_row_multipass_kernelILj256ELj64ELj16E21rocsparse_complex_numIfEllEEv20rocsparse_direction_T4_S4_S4_S4_S4_21rocsparse_index_base_PKT2_PKT3_PKS4_S5_PS6_PS9_PS4_.has_recursion, 0
	.set _ZN9rocsparseL42csr2bsr_wavefront_per_row_multipass_kernelILj256ELj64ELj16E21rocsparse_complex_numIfEllEEv20rocsparse_direction_T4_S4_S4_S4_S4_21rocsparse_index_base_PKT2_PKT3_PKS4_S5_PS6_PS9_PS4_.has_indirect_call, 0
	.section	.AMDGPU.csdata,"",@progbits
; Kernel info:
; codeLenInByte = 2636
; TotalNumSgprs: 47
; NumVgprs: 64
; ScratchSize: 0
; MemoryBound: 0
; FloatMode: 240
; IeeeMode: 1
; LDSByteSize: 8196 bytes/workgroup (compile time only)
; SGPRBlocks: 0
; VGPRBlocks: 3
; NumSGPRsForWavesPerEU: 47
; NumVGPRsForWavesPerEU: 64
; NamedBarCnt: 0
; Occupancy: 16
; WaveLimiterHint : 0
; COMPUTE_PGM_RSRC2:SCRATCH_EN: 0
; COMPUTE_PGM_RSRC2:USER_SGPR: 2
; COMPUTE_PGM_RSRC2:TRAP_HANDLER: 0
; COMPUTE_PGM_RSRC2:TGID_X_EN: 1
; COMPUTE_PGM_RSRC2:TGID_Y_EN: 0
; COMPUTE_PGM_RSRC2:TGID_Z_EN: 0
; COMPUTE_PGM_RSRC2:TIDIG_COMP_CNT: 0
	.section	.text._ZN9rocsparseL42csr2bsr_wavefront_per_row_multipass_kernelILj256ELj32ELj16E21rocsparse_complex_numIfEllEEv20rocsparse_direction_T4_S4_S4_S4_S4_21rocsparse_index_base_PKT2_PKT3_PKS4_S5_PS6_PS9_PS4_,"axG",@progbits,_ZN9rocsparseL42csr2bsr_wavefront_per_row_multipass_kernelILj256ELj32ELj16E21rocsparse_complex_numIfEllEEv20rocsparse_direction_T4_S4_S4_S4_S4_21rocsparse_index_base_PKT2_PKT3_PKS4_S5_PS6_PS9_PS4_,comdat
	.globl	_ZN9rocsparseL42csr2bsr_wavefront_per_row_multipass_kernelILj256ELj32ELj16E21rocsparse_complex_numIfEllEEv20rocsparse_direction_T4_S4_S4_S4_S4_21rocsparse_index_base_PKT2_PKT3_PKS4_S5_PS6_PS9_PS4_ ; -- Begin function _ZN9rocsparseL42csr2bsr_wavefront_per_row_multipass_kernelILj256ELj32ELj16E21rocsparse_complex_numIfEllEEv20rocsparse_direction_T4_S4_S4_S4_S4_21rocsparse_index_base_PKT2_PKT3_PKS4_S5_PS6_PS9_PS4_
	.p2align	8
	.type	_ZN9rocsparseL42csr2bsr_wavefront_per_row_multipass_kernelILj256ELj32ELj16E21rocsparse_complex_numIfEllEEv20rocsparse_direction_T4_S4_S4_S4_S4_21rocsparse_index_base_PKT2_PKT3_PKS4_S5_PS6_PS9_PS4_,@function
_ZN9rocsparseL42csr2bsr_wavefront_per_row_multipass_kernelILj256ELj32ELj16E21rocsparse_complex_numIfEllEEv20rocsparse_direction_T4_S4_S4_S4_S4_21rocsparse_index_base_PKT2_PKT3_PKS4_S5_PS6_PS9_PS4_: ; @_ZN9rocsparseL42csr2bsr_wavefront_per_row_multipass_kernelILj256ELj32ELj16E21rocsparse_complex_numIfEllEEv20rocsparse_direction_T4_S4_S4_S4_S4_21rocsparse_index_base_PKT2_PKT3_PKS4_S5_PS6_PS9_PS4_
; %bb.0:
	s_bfe_u32 s2, ttmp6, 0x4000c
	s_clause 0x1
	s_load_b96 s[12:14], s[0:1], 0x28
	s_load_b64 s[6:7], s[0:1], 0x40
	s_add_co_i32 s2, s2, 1
	s_and_b32 s3, ttmp6, 15
	s_mul_i32 s2, ttmp9, s2
	s_getreg_b32 s4, hwreg(HW_REG_IB_STS2, 6, 4)
	s_add_co_i32 s3, s3, s2
	s_cmp_eq_u32 s4, 0
	v_dual_mov_b32 v7, 0 :: v_dual_lshrrev_b32 v50, 5, v0
	s_cselect_b32 s4, ttmp9, s3
	v_bfe_u32 v6, v0, 1, 4
	s_ashr_i32 s5, s4, 31
	v_mov_b64_e32 v[34:35], 0
	s_lshl_b64 s[2:3], s[4:5], 3
	s_mov_b32 s15, 0
	v_or_b32_e32 v1, s2, v50
	s_load_b128 s[8:11], s[0:1], 0x18
	s_wait_kmcnt 0x0
	s_delay_alu instid0(VALU_DEP_1) | instskip(NEXT) | instid1(VALU_DEP_1)
	v_mad_nc_u64_u32 v[4:5], v1, s12, v[6:7]
	v_mad_u32 v2, s3, s12, v5
	s_load_b64 s[2:3], s[0:1], 0x8
	s_delay_alu instid0(VALU_DEP_1) | instskip(SKIP_2) | instid1(VALU_DEP_2)
	v_mad_u32 v5, v1, s13, v2
	v_mov_b64_e32 v[2:3], 0
	s_wait_kmcnt 0x0
	v_cmp_gt_i64_e32 vcc_lo, s[2:3], v[4:5]
	v_cmp_gt_i64_e64 s2, s[12:13], v[6:7]
	s_and_b32 s3, s2, vcc_lo
	s_delay_alu instid0(SALU_CYCLE_1)
	s_and_saveexec_b32 s5, s3
	s_cbranch_execz .LBB104_2
; %bb.1:
	v_lshl_add_u64 v[8:9], v[4:5], 3, s[6:7]
	global_load_b64 v[8:9], v[8:9], off
	s_wait_loadcnt 0x0
	v_sub_nc_u64_e64 v[34:35], v[8:9], s[14:15]
.LBB104_2:
	s_or_b32 exec_lo, exec_lo, s5
	s_and_saveexec_b32 s5, s3
	s_cbranch_execz .LBB104_4
; %bb.3:
	v_lshl_add_u64 v[2:3], v[4:5], 3, s[6:7]
	global_load_b64 v[2:3], v[2:3], off offset:8
	s_wait_loadcnt 0x0
	v_sub_nc_u64_e64 v[2:3], v[2:3], s[14:15]
.LBB104_4:
	s_or_b32 exec_lo, exec_lo, s5
	s_load_b32 s16, s[0:1], 0x50
	v_mov_b64_e32 v[4:5], 0
	v_lshl_or_b32 v8, s4, 3, v50
	v_mov_b32_e32 v9, 0
	s_mov_b32 s3, exec_lo
	s_delay_alu instid0(VALU_DEP_1)
	v_cmpx_gt_i64_e64 s[8:9], v[8:9]
	s_cbranch_execz .LBB104_6
; %bb.5:
	s_load_b64 s[4:5], s[0:1], 0x60
	s_mov_b32 s17, 0
	s_wait_kmcnt 0x0
	v_lshl_add_u64 v[4:5], v[8:9], 3, s[4:5]
	global_load_b64 v[4:5], v[4:5], off
	s_wait_loadcnt 0x0
	v_sub_nc_u64_e64 v[4:5], v[4:5], s[16:17]
.LBB104_6:
	s_or_b32 exec_lo, exec_lo, s3
	v_cmp_lt_i64_e64 s3, s[10:11], 1
	s_and_b32 vcc_lo, exec_lo, s3
	s_cbranch_vccnz .LBB104_63
; %bb.7:
	v_mbcnt_lo_u32_b32 v12, -1, 0
	v_mul_u64_e32 v[10:11], s[12:13], v[6:7]
	v_dual_lshlrev_b32 v8, 3, v6 :: v_dual_lshlrev_b32 v1, 7, v6
	s_delay_alu instid0(VALU_DEP_3)
	v_dual_mov_b32 v6, 0 :: v_dual_bitop2_b32 v7, 1, v12 bitop3:0x14
	s_clause 0x4
	s_load_b64 s[4:5], s[0:1], 0x58
	s_load_b64 s[8:9], s[0:1], 0x68
	;; [unrolled: 1-line block ×4, first 2 shown]
	s_load_b32 s3, s[0:1], 0x0
	v_and_b32_e32 v0, 1, v0
	v_lshl_or_b32 v51, v50, 11, v1
	v_lshl_or_b32 v54, v12, 2, 4
	v_cmp_gt_i32_e32 vcc_lo, 32, v7
	s_delay_alu instid0(VALU_DEP_4) | instskip(SKIP_4) | instid1(VALU_DEP_3)
	v_dual_mov_b32 v9, v6 :: v_dual_bitop2_b32 v28, 2, v0 bitop3:0x54
	v_dual_mov_b32 v31, v6 :: v_dual_bitop2_b32 v30, 4, v0 bitop3:0x54
	v_dual_mov_b32 v33, v6 :: v_dual_cndmask_b32 v7, v12, v7, vcc_lo
	v_dual_mov_b32 v1, v6 :: v_dual_bitop2_b32 v32, 6, v0 bitop3:0x54
	v_dual_mov_b32 v37, v6 :: v_dual_bitop2_b32 v36, 8, v0 bitop3:0x54
	v_dual_mov_b32 v39, v6 :: v_dual_lshlrev_b32 v53, 2, v7
	v_xor_b32_e32 v7, 16, v12
	v_dual_mov_b32 v41, v6 :: v_dual_bitop2_b32 v38, 10, v0 bitop3:0x54
	v_dual_mov_b32 v43, v6 :: v_dual_bitop2_b32 v40, 12, v0 bitop3:0x54
	s_delay_alu instid0(VALU_DEP_3) | instskip(SKIP_4) | instid1(VALU_DEP_4)
	v_cmp_gt_i32_e32 vcc_lo, 32, v7
	v_xor_b32_e32 v13, 8, v12
	v_dual_mov_b32 v60, 1 :: v_dual_bitop2_b32 v42, 14, v0 bitop3:0x54
	v_mul_u64_e32 v[16:17], s[12:13], v[30:31]
	v_cndmask_b32_e32 v7, v12, v7, vcc_lo
	v_cmp_gt_i32_e32 vcc_lo, 32, v13
	v_xor_b32_e32 v14, 4, v12
	v_mul_u64_e32 v[18:19], s[12:13], v[32:33]
	v_mul_u64_e32 v[20:21], s[12:13], v[36:37]
	;; [unrolled: 1-line block ×3, first 2 shown]
	v_cndmask_b32_e32 v13, v12, v13, vcc_lo
	v_cmp_gt_i32_e32 vcc_lo, 32, v14
	v_xor_b32_e32 v15, 2, v12
	v_mul_u64_e32 v[24:25], s[12:13], v[40:41]
	v_mul_u64_e32 v[26:27], s[12:13], v[42:43]
	s_wait_kmcnt 0x0
	s_cmp_lg_u32 s3, 0
	v_dual_cndmask_b32 v14, v12, v14 :: v_dual_lshlrev_b32 v55, 2, v7
	v_cvt_f32_u32_e32 v7, s12
	v_cmp_gt_i32_e32 vcc_lo, 32, v15
	v_dual_mov_b32 v29, v6 :: v_dual_lshlrev_b32 v56, 2, v13
	s_delay_alu instid0(VALU_DEP_4) | instskip(NEXT) | instid1(VALU_DEP_4)
	v_lshlrev_b32_e32 v57, 2, v14
	v_rcp_iflag_f32_e32 v7, v7
	v_cndmask_b32_e32 v12, v12, v15, vcc_lo
	s_cselect_b32 s26, -1, 0
	v_mul_u64_e32 v[14:15], s[12:13], v[28:29]
	s_sub_co_i32 s0, 0, s12
	v_cmp_gt_u64_e64 s1, s[12:13], v[30:31]
	s_delay_alu instid0(TRANS32_DEP_1)
	v_dual_mul_f32 v7, 0x4f7ffffe, v7 :: v_dual_lshlrev_b32 v58, 2, v12
	v_mul_u64_e32 v[12:13], s[12:13], v[0:1]
	v_add_nc_u64_e32 v[8:9], s[4:5], v[8:9]
	v_lshl_add_u64 v[10:11], v[10:11], 3, s[4:5]
	v_cmp_gt_u64_e32 vcc_lo, s[12:13], v[0:1]
	v_cvt_u32_f32_e32 v7, v7
	v_cmp_gt_u64_e64 s3, s[12:13], v[32:33]
	v_cmp_gt_u64_e64 s4, s[12:13], v[36:37]
	v_cmp_gt_u64_e64 s5, s[12:13], v[38:39]
	v_cmp_gt_u64_e64 s6, s[12:13], v[40:41]
	v_mul_lo_u32 v44, s0, v7
	v_cmp_gt_u64_e64 s0, s[12:13], v[28:29]
	v_cmp_gt_u64_e64 s7, s[12:13], v[42:43]
	v_mov_b64_e32 v[36:37], 0
	v_mov_b64_e32 v[28:29], 0
	v_lshl_or_b32 v52, v0, 3, v51
	v_mov_b32_e32 v59, 0x7c
	s_mov_b32 s25, 0
	s_mul_u64 s[22:23], s[12:13], s[12:13]
	s_mov_b32 s15, s25
	s_mov_b32 s17, s25
	v_mul_hi_u32 v30, v7, v44
	s_and_b32 s27, s2, vcc_lo
	s_and_b32 s28, s2, s0
	s_and_b32 s1, s2, s1
	s_and_b32 s29, s2, s3
	s_and_b32 s30, s2, s4
	s_and_b32 s31, s2, s5
	s_and_b32 s33, s2, s6
	s_mov_b64 s[4:5], 0xffffffff
	s_and_b32 s34, s2, s7
	s_ashr_i32 s2, s13, 31
	v_dual_add_nc_u32 v61, v7, v30 :: v_dual_lshlrev_b32 v30, 3, v0
	s_mov_b32 s35, 0
	s_branch .LBB104_10
.LBB104_8:                              ;   in Loop: Header=BB104_10 Depth=1
	s_wait_xcnt 0x0
	s_or_b32 exec_lo, exec_lo, s3
	v_mov_b64_e32 v[38:39], 1
.LBB104_9:                              ;   in Loop: Header=BB104_10 Depth=1
	s_or_b32 exec_lo, exec_lo, s0
	ds_bpermute_b32 v36, v55, v32
	ds_bpermute_b32 v37, v55, v33
	v_add_nc_u64_e32 v[4:5], v[38:39], v[4:5]
	s_wait_storecnt_dscnt 0x0
	v_min_i64 v[32:33], v[36:37], v[32:33]
	ds_bpermute_b32 v36, v56, v32
	ds_bpermute_b32 v37, v56, v33
	s_wait_dscnt 0x0
	v_min_i64 v[32:33], v[36:37], v[32:33]
	ds_bpermute_b32 v36, v57, v32
	ds_bpermute_b32 v37, v57, v33
	s_wait_dscnt 0x0
	;; [unrolled: 4-line block ×5, first 2 shown]
	v_cmp_le_i64_e32 vcc_lo, s[10:11], v[36:37]
	s_or_b32 s35, vcc_lo, s35
	s_delay_alu instid0(SALU_CYCLE_1)
	s_and_not1_b32 exec_lo, exec_lo, s35
	s_cbranch_execz .LBB104_63
.LBB104_10:                             ; =>This Loop Header: Depth=1
                                        ;     Child Loop BB104_13 Depth 2
	v_add_nc_u64_e32 v[34:35], v[34:35], v[0:1]
	v_mov_b64_e32 v[32:33], s[10:11]
	v_mov_b64_e32 v[48:49], v[2:3]
	s_mov_b32 s36, exec_lo
	ds_store_b8 v50, v6 offset:16384
	ds_store_2addr_b64 v52, v[28:29], v[28:29] offset1:2
	ds_store_2addr_b64 v52, v[28:29], v[28:29] offset0:4 offset1:6
	ds_store_2addr_b64 v52, v[28:29], v[28:29] offset0:8 offset1:10
	;; [unrolled: 1-line block ×3, first 2 shown]
	s_wait_dscnt 0x0
	v_cmpx_lt_i64_e64 v[34:35], v[2:3]
	s_cbranch_execz .LBB104_22
; %bb.11:                               ;   in Loop: Header=BB104_10 Depth=1
	v_mul_u64_e32 v[38:39], s[12:13], v[36:37]
	v_lshlrev_b64_e32 v[32:33], 3, v[34:35]
	v_mov_b64_e32 v[44:45], v[2:3]
	s_mov_b32 s37, 0
	s_delay_alu instid0(VALU_DEP_2)
	v_add_nc_u64_e32 v[40:41], s[20:21], v[32:33]
	v_add_nc_u64_e32 v[42:43], s[18:19], v[32:33]
	v_mov_b64_e32 v[32:33], s[10:11]
	s_branch .LBB104_13
.LBB104_12:                             ;   in Loop: Header=BB104_13 Depth=2
	s_wait_xcnt 0x0
	s_or_b32 exec_lo, exec_lo, s0
	v_add_nc_u64_e32 v[34:35], 2, v[34:35]
	s_xor_b32 s3, vcc_lo, -1
	v_add_nc_u64_e32 v[40:41], 16, v[40:41]
	v_add_nc_u64_e32 v[42:43], 16, v[42:43]
	v_mov_b64_e32 v[44:45], v[48:49]
	s_delay_alu instid0(VALU_DEP_4) | instskip(SKIP_1) | instid1(SALU_CYCLE_1)
	v_cmp_ge_i64_e64 s0, v[34:35], v[2:3]
	s_or_b32 s0, s3, s0
	s_and_b32 s0, exec_lo, s0
	s_delay_alu instid0(SALU_CYCLE_1) | instskip(NEXT) | instid1(SALU_CYCLE_1)
	s_or_b32 s37, s0, s37
	s_and_not1_b32 exec_lo, exec_lo, s37
	s_cbranch_execz .LBB104_21
.LBB104_13:                             ;   Parent Loop BB104_10 Depth=1
                                        ; =>  This Inner Loop Header: Depth=2
	global_load_b64 v[46:47], v[42:43], off
                                        ; implicit-def: $vgpr48_vgpr49
	s_mov_b32 s0, exec_lo
	s_wait_loadcnt 0x0
	v_sub_nc_u64_e64 v[46:47], v[46:47], s[14:15]
	s_delay_alu instid0(VALU_DEP_1) | instskip(SKIP_1) | instid1(VALU_DEP_1)
	v_or_b32_e32 v7, s13, v47
	s_wait_xcnt 0x0
	v_cmpx_ne_u64_e32 0, v[6:7]
	s_xor_b32 s38, exec_lo, s0
	s_cbranch_execz .LBB104_15
; %bb.14:                               ;   in Loop: Header=BB104_13 Depth=2
	s_mov_b32 s3, s2
	v_dual_mov_b32 v65, v6 :: v_dual_ashrrev_i32 v48, 31, v47
	s_add_nc_u64 s[6:7], s[12:13], s[2:3]
	s_delay_alu instid0(SALU_CYCLE_1) | instskip(NEXT) | instid1(VALU_DEP_1)
	s_xor_b64 s[6:7], s[6:7], s[2:3]
	v_mov_b32_e32 v49, v48
	s_cvt_f32_u32 s0, s6
	s_cvt_f32_u32 s3, s7
	s_sub_nc_u64 s[42:43], 0, s[6:7]
	s_delay_alu instid0(VALU_DEP_1) | instskip(NEXT) | instid1(SALU_CYCLE_1)
	v_add_nc_u64_e32 v[62:63], v[46:47], v[48:49]
	s_fmamk_f32 s0, s3, 0x4f800000, s0
	v_mov_b32_e32 v69, v6
	s_delay_alu instid0(SALU_CYCLE_2) | instskip(NEXT) | instid1(VALU_DEP_2)
	v_s_rcp_f32 s0, s0
	v_xor_b32_e32 v64, v62, v48
	s_delay_alu instid0(VALU_DEP_3) | instskip(NEXT) | instid1(TRANS32_DEP_1)
	v_dual_mov_b32 v73, v6 :: v_dual_bitop2_b32 v68, v63, v48 bitop3:0x14
	s_mul_f32 s0, s0, 0x5f7ffffc
	s_delay_alu instid0(SALU_CYCLE_3) | instskip(NEXT) | instid1(SALU_CYCLE_3)
	s_mul_f32 s3, s0, 0x2f800000
	s_trunc_f32 s3, s3
	s_delay_alu instid0(SALU_CYCLE_3) | instskip(SKIP_1) | instid1(SALU_CYCLE_2)
	s_fmamk_f32 s0, s3, 0xcf800000, s0
	s_cvt_u32_f32 s41, s3
	s_cvt_u32_f32 s40, s0
	s_delay_alu instid0(SALU_CYCLE_3) | instskip(NEXT) | instid1(SALU_CYCLE_1)
	s_mul_u64 s[44:45], s[42:43], s[40:41]
	s_mul_hi_u32 s47, s40, s45
	s_mul_i32 s46, s40, s45
	s_mul_hi_u32 s24, s40, s44
	s_mul_i32 s3, s41, s44
	s_add_nc_u64 s[46:47], s[24:25], s[46:47]
	s_mul_hi_u32 s0, s41, s44
	s_mul_hi_u32 s39, s41, s45
	s_add_co_u32 s3, s46, s3
	s_add_co_ci_u32 s24, s47, s0
	s_mul_i32 s44, s41, s45
	s_add_co_ci_u32 s45, s39, 0
	s_delay_alu instid0(SALU_CYCLE_1) | instskip(NEXT) | instid1(SALU_CYCLE_1)
	s_add_nc_u64 s[44:45], s[24:25], s[44:45]
	s_add_co_u32 s40, s40, s44
	s_cselect_b32 s0, -1, 0
	s_delay_alu instid0(SALU_CYCLE_1) | instskip(SKIP_1) | instid1(SALU_CYCLE_1)
	s_cmp_lg_u32 s0, 0
	s_add_co_ci_u32 s41, s41, s45
	s_mul_u64 s[42:43], s[42:43], s[40:41]
	s_delay_alu instid0(SALU_CYCLE_1)
	s_mul_hi_u32 s45, s40, s43
	s_mul_i32 s44, s40, s43
	s_mul_hi_u32 s24, s40, s42
	s_mul_i32 s3, s41, s42
	s_add_nc_u64 s[44:45], s[24:25], s[44:45]
	s_mul_hi_u32 s0, s41, s42
	s_mul_hi_u32 s39, s41, s43
	s_add_co_u32 s3, s44, s3
	s_add_co_ci_u32 s24, s45, s0
	s_mul_i32 s42, s41, s43
	s_add_co_ci_u32 s43, s39, 0
	s_delay_alu instid0(SALU_CYCLE_1) | instskip(NEXT) | instid1(SALU_CYCLE_1)
	s_add_nc_u64 s[42:43], s[24:25], s[42:43]
	s_add_co_u32 s0, s40, s42
	s_cselect_b32 s3, -1, 0
	v_mul_hi_u32 v72, v64, s0
	s_cmp_lg_u32 s3, 0
	s_add_co_ci_u32 s24, s41, s43
	s_and_b64 s[40:41], s[0:1], s[4:5]
	v_mul_u64_e32 v[66:67], s[24:25], v[64:65]
	v_mul_u64_e32 v[62:63], s[40:41], v[68:69]
	;; [unrolled: 1-line block ×3, first 2 shown]
	s_delay_alu instid0(VALU_DEP_3) | instskip(NEXT) | instid1(VALU_DEP_1)
	v_add_nc_u64_e32 v[66:67], v[72:73], v[66:67]
	v_add_co_u32 v7, vcc_lo, v66, v62
	s_delay_alu instid0(VALU_DEP_2) | instskip(NEXT) | instid1(VALU_DEP_4)
	v_add_co_ci_u32_e32 v72, vcc_lo, v67, v63, vcc_lo
	v_add_co_ci_u32_e32 v71, vcc_lo, 0, v71, vcc_lo
	s_delay_alu instid0(VALU_DEP_1) | instskip(NEXT) | instid1(VALU_DEP_1)
	v_add_nc_u64_e32 v[62:63], v[72:73], v[70:71]
	v_mul_u64_e32 v[66:67], s[6:7], v[62:63]
	s_delay_alu instid0(VALU_DEP_1) | instskip(NEXT) | instid1(VALU_DEP_2)
	v_sub_nc_u32_e32 v7, v68, v67
	v_sub_co_u32 v31, vcc_lo, v64, v66
	s_delay_alu instid0(VALU_DEP_1) | instskip(NEXT) | instid1(VALU_DEP_3)
	v_sub_co_ci_u32_e64 v47, null, v68, v67, vcc_lo
	v_subrev_co_ci_u32_e64 v7, null, s7, v7, vcc_lo
	s_delay_alu instid0(VALU_DEP_3) | instskip(SKIP_1) | instid1(VALU_DEP_3)
	v_sub_co_u32 v39, s0, v31, s6
	v_add_nc_u64_e32 v[64:65], 2, v[62:63]
	v_subrev_co_ci_u32_e64 v7, null, 0, v7, s0
	s_delay_alu instid0(VALU_DEP_3) | instskip(SKIP_2) | instid1(VALU_DEP_4)
	v_cmp_le_u32_e32 vcc_lo, s6, v39
	v_add_nc_u64_e32 v[66:67], 1, v[62:63]
	v_cndmask_b32_e64 v39, 0, -1, vcc_lo
	v_cmp_le_u32_e32 vcc_lo, s7, v7
	v_cndmask_b32_e64 v49, 0, -1, vcc_lo
	v_cmp_le_u32_e32 vcc_lo, s6, v31
	;; [unrolled: 2-line block ×3, first 2 shown]
	v_cndmask_b32_e64 v68, 0, -1, vcc_lo
	v_cmp_eq_u32_e32 vcc_lo, s7, v7
	v_cndmask_b32_e32 v7, v49, v39, vcc_lo
	v_cmp_eq_u32_e32 vcc_lo, s7, v47
	s_delay_alu instid0(VALU_DEP_4) | instskip(NEXT) | instid1(VALU_DEP_3)
	v_cndmask_b32_e32 v31, v68, v31, vcc_lo
	v_cmp_ne_u32_e32 vcc_lo, 0, v7
	v_cndmask_b32_e32 v7, v67, v65, vcc_lo
	s_delay_alu instid0(VALU_DEP_3) | instskip(SKIP_1) | instid1(VALU_DEP_2)
	v_cmp_ne_u32_e64 s0, 0, v31
	v_cndmask_b32_e32 v31, v66, v64, vcc_lo
	v_dual_cndmask_b32 v7, v63, v7, s0 :: v_dual_bitop2_b32 v48, s2, v48 bitop3:0x14
	s_delay_alu instid0(VALU_DEP_1) | instskip(NEXT) | instid1(VALU_DEP_2)
	v_dual_cndmask_b32 v31, v62, v31, s0 :: v_dual_mov_b32 v49, v48
	v_xor_b32_e32 v63, v7, v48
	s_delay_alu instid0(VALU_DEP_2) | instskip(NEXT) | instid1(VALU_DEP_1)
	v_xor_b32_e32 v62, v31, v48
	v_sub_nc_u64_e32 v[48:49], v[62:63], v[48:49]
.LBB104_15:                             ;   in Loop: Header=BB104_13 Depth=2
	s_and_not1_saveexec_b32 s0, s38
	s_cbranch_execz .LBB104_17
; %bb.16:                               ;   in Loop: Header=BB104_13 Depth=2
	v_mul_hi_u32 v7, v46, v61
	s_delay_alu instid0(VALU_DEP_1) | instskip(SKIP_1) | instid1(VALU_DEP_1)
	v_dual_mov_b32 v49, v6 :: v_dual_add_nc_u32 v39, 1, v7
	v_mul_lo_u32 v31, v7, s12
	v_sub_nc_u32_e32 v31, v46, v31
	s_delay_alu instid0(VALU_DEP_1) | instskip(SKIP_1) | instid1(VALU_DEP_2)
	v_subrev_nc_u32_e32 v47, s12, v31
	v_cmp_le_u32_e32 vcc_lo, s12, v31
	v_cndmask_b32_e32 v31, v31, v47, vcc_lo
	v_cndmask_b32_e32 v7, v7, v39, vcc_lo
	s_delay_alu instid0(VALU_DEP_2) | instskip(NEXT) | instid1(VALU_DEP_2)
	v_cmp_le_u32_e32 vcc_lo, s12, v31
	v_add_nc_u32_e32 v39, 1, v7
	s_delay_alu instid0(VALU_DEP_1)
	v_cndmask_b32_e32 v48, v7, v39, vcc_lo
.LBB104_17:                             ;   in Loop: Header=BB104_13 Depth=2
	s_or_b32 exec_lo, exec_lo, s0
	s_delay_alu instid0(VALU_DEP_1) | instskip(SKIP_2) | instid1(SALU_CYCLE_1)
	v_cmp_ne_u64_e64 s0, v[48:49], v[36:37]
	v_cmp_eq_u64_e32 vcc_lo, v[48:49], v[36:37]
	s_and_saveexec_b32 s3, s0
	s_xor_b32 s0, exec_lo, s3
; %bb.18:                               ;   in Loop: Header=BB104_13 Depth=2
	v_min_i64 v[32:33], v[48:49], v[32:33]
                                        ; implicit-def: $vgpr46_vgpr47
                                        ; implicit-def: $vgpr44_vgpr45
; %bb.19:                               ;   in Loop: Header=BB104_13 Depth=2
	s_or_saveexec_b32 s0, s0
	v_mov_b64_e32 v[48:49], v[34:35]
	s_xor_b32 exec_lo, exec_lo, s0
	s_cbranch_execz .LBB104_12
; %bb.20:                               ;   in Loop: Header=BB104_13 Depth=2
	global_load_b64 v[62:63], v[40:41], off
	v_sub_nc_u32_e32 v7, v46, v38
	v_mov_b64_e32 v[48:49], v[44:45]
	s_delay_alu instid0(VALU_DEP_2)
	v_lshl_add_u32 v7, v7, 3, v51
	ds_store_b8 v50, v60 offset:16384
	s_wait_loadcnt 0x0
	ds_store_b64 v7, v[62:63]
	s_branch .LBB104_12
.LBB104_21:                             ;   in Loop: Header=BB104_10 Depth=1
	s_or_b32 exec_lo, exec_lo, s37
.LBB104_22:                             ;   in Loop: Header=BB104_10 Depth=1
	s_delay_alu instid0(SALU_CYCLE_1)
	s_or_b32 exec_lo, exec_lo, s36
	ds_bpermute_b32 v34, v53, v48
	ds_bpermute_b32 v35, v53, v49
	s_wait_dscnt 0x0
	ds_load_u8 v7, v50 offset:16384
	v_mov_b64_e32 v[38:39], 0
	s_mov_b32 s0, exec_lo
	v_min_i64 v[34:35], v[34:35], v[48:49]
	s_wait_dscnt 0x0
	v_and_b32_e32 v7, 1, v7
	ds_bpermute_b32 v34, v54, v34
	ds_bpermute_b32 v35, v54, v35
	v_cmpx_eq_u32_e32 1, v7
	s_cbranch_execz .LBB104_9
; %bb.23:                               ;   in Loop: Header=BB104_10 Depth=1
	v_mul_u64_e32 v[38:39], s[22:23], v[4:5]
	v_add_nc_u64_e32 v[42:43], s[16:17], v[36:37]
	s_delay_alu instid0(VALU_DEP_2) | instskip(NEXT) | instid1(VALU_DEP_1)
	v_lshlrev_b64_e32 v[40:41], 3, v[38:39]
	v_add_nc_u64_e32 v[38:39], v[8:9], v[40:41]
	v_add_nc_u64_e32 v[36:37], v[10:11], v[40:41]
	v_lshl_add_u64 v[40:41], v[4:5], 3, s[8:9]
	global_store_b64 v[40:41], v[42:43], off
	s_wait_xcnt 0x0
	s_and_saveexec_b32 s3, s27
	s_cbranch_execz .LBB104_27
; %bb.24:                               ;   in Loop: Header=BB104_10 Depth=1
	ds_load_b64 v[40:41], v52
	s_and_b32 vcc_lo, exec_lo, s26
	s_cbranch_vccz .LBB104_54
; %bb.25:                               ;   in Loop: Header=BB104_10 Depth=1
	v_lshl_add_u64 v[42:43], v[12:13], 3, v[38:39]
	s_wait_dscnt 0x0
	global_store_b64 v[42:43], v[40:41], off
	s_cbranch_execnz .LBB104_27
.LBB104_26:                             ;   in Loop: Header=BB104_10 Depth=1
	v_mov_b32_e32 v31, v6
	s_wait_xcnt 0x0
	s_delay_alu instid0(VALU_DEP_1)
	v_add_nc_u64_e32 v[42:43], v[36:37], v[30:31]
	s_wait_dscnt 0x0
	global_store_b64 v[42:43], v[40:41], off
.LBB104_27:                             ;   in Loop: Header=BB104_10 Depth=1
	s_wait_xcnt 0x0
	s_or_b32 exec_lo, exec_lo, s3
	s_and_saveexec_b32 s3, s28
	s_cbranch_execz .LBB104_31
; %bb.28:                               ;   in Loop: Header=BB104_10 Depth=1
	s_and_not1_b32 vcc_lo, exec_lo, s26
	s_cbranch_vccnz .LBB104_55
; %bb.29:                               ;   in Loop: Header=BB104_10 Depth=1
	s_wait_dscnt 0x0
	ds_load_b64 v[40:41], v52 offset:16
	v_lshl_add_u64 v[42:43], v[14:15], 3, v[38:39]
	s_wait_dscnt 0x0
	global_store_b64 v[42:43], v[40:41], off
	s_cbranch_execnz .LBB104_31
.LBB104_30:                             ;   in Loop: Header=BB104_10 Depth=1
	s_wait_dscnt 0x0
	s_wait_xcnt 0x0
	ds_load_b64 v[40:41], v52 offset:16
	v_mov_b32_e32 v31, v6
	s_delay_alu instid0(VALU_DEP_1)
	v_add_nc_u64_e32 v[42:43], v[36:37], v[30:31]
	s_wait_dscnt 0x0
	global_store_b64 v[42:43], v[40:41], off offset:16
.LBB104_31:                             ;   in Loop: Header=BB104_10 Depth=1
	s_wait_xcnt 0x0
	s_or_b32 exec_lo, exec_lo, s3
	s_and_saveexec_b32 s3, s1
	s_cbranch_execz .LBB104_35
; %bb.32:                               ;   in Loop: Header=BB104_10 Depth=1
	s_and_not1_b32 vcc_lo, exec_lo, s26
	s_cbranch_vccnz .LBB104_56
; %bb.33:                               ;   in Loop: Header=BB104_10 Depth=1
	s_wait_dscnt 0x0
	ds_load_b64 v[40:41], v52 offset:32
	v_lshl_add_u64 v[42:43], v[16:17], 3, v[38:39]
	s_wait_dscnt 0x0
	global_store_b64 v[42:43], v[40:41], off
	s_cbranch_execnz .LBB104_35
.LBB104_34:                             ;   in Loop: Header=BB104_10 Depth=1
	s_wait_dscnt 0x0
	s_wait_xcnt 0x0
	ds_load_b64 v[40:41], v52 offset:32
	v_mov_b32_e32 v31, v6
	s_delay_alu instid0(VALU_DEP_1)
	v_add_nc_u64_e32 v[42:43], v[36:37], v[30:31]
	s_wait_dscnt 0x0
	global_store_b64 v[42:43], v[40:41], off offset:32
.LBB104_35:                             ;   in Loop: Header=BB104_10 Depth=1
	s_wait_xcnt 0x0
	s_or_b32 exec_lo, exec_lo, s3
	s_and_saveexec_b32 s3, s29
	s_cbranch_execz .LBB104_39
; %bb.36:                               ;   in Loop: Header=BB104_10 Depth=1
	s_and_not1_b32 vcc_lo, exec_lo, s26
	s_cbranch_vccnz .LBB104_57
; %bb.37:                               ;   in Loop: Header=BB104_10 Depth=1
	s_wait_dscnt 0x0
	ds_load_b64 v[40:41], v52 offset:48
	v_lshl_add_u64 v[42:43], v[18:19], 3, v[38:39]
	s_wait_dscnt 0x0
	global_store_b64 v[42:43], v[40:41], off
	s_cbranch_execnz .LBB104_39
.LBB104_38:                             ;   in Loop: Header=BB104_10 Depth=1
	s_wait_dscnt 0x0
	s_wait_xcnt 0x0
	ds_load_b64 v[40:41], v52 offset:48
	v_mov_b32_e32 v31, v6
	s_delay_alu instid0(VALU_DEP_1)
	v_add_nc_u64_e32 v[42:43], v[36:37], v[30:31]
	s_wait_dscnt 0x0
	global_store_b64 v[42:43], v[40:41], off offset:48
.LBB104_39:                             ;   in Loop: Header=BB104_10 Depth=1
	s_wait_xcnt 0x0
	s_or_b32 exec_lo, exec_lo, s3
	s_and_saveexec_b32 s3, s30
	s_cbranch_execz .LBB104_43
; %bb.40:                               ;   in Loop: Header=BB104_10 Depth=1
	s_and_not1_b32 vcc_lo, exec_lo, s26
	s_cbranch_vccnz .LBB104_58
; %bb.41:                               ;   in Loop: Header=BB104_10 Depth=1
	s_wait_dscnt 0x0
	ds_load_b64 v[40:41], v52 offset:64
	v_lshl_add_u64 v[42:43], v[20:21], 3, v[38:39]
	s_wait_dscnt 0x0
	global_store_b64 v[42:43], v[40:41], off
	s_cbranch_execnz .LBB104_43
.LBB104_42:                             ;   in Loop: Header=BB104_10 Depth=1
	s_wait_dscnt 0x0
	s_wait_xcnt 0x0
	ds_load_b64 v[40:41], v52 offset:64
	v_mov_b32_e32 v31, v6
	s_delay_alu instid0(VALU_DEP_1)
	v_add_nc_u64_e32 v[42:43], v[36:37], v[30:31]
	s_wait_dscnt 0x0
	global_store_b64 v[42:43], v[40:41], off offset:64
.LBB104_43:                             ;   in Loop: Header=BB104_10 Depth=1
	s_wait_xcnt 0x0
	s_or_b32 exec_lo, exec_lo, s3
	s_and_saveexec_b32 s3, s31
	s_cbranch_execz .LBB104_47
; %bb.44:                               ;   in Loop: Header=BB104_10 Depth=1
	s_and_not1_b32 vcc_lo, exec_lo, s26
	s_cbranch_vccnz .LBB104_59
; %bb.45:                               ;   in Loop: Header=BB104_10 Depth=1
	s_wait_dscnt 0x0
	ds_load_b64 v[40:41], v52 offset:80
	v_lshl_add_u64 v[42:43], v[22:23], 3, v[38:39]
	s_wait_dscnt 0x0
	global_store_b64 v[42:43], v[40:41], off
	s_cbranch_execnz .LBB104_47
.LBB104_46:                             ;   in Loop: Header=BB104_10 Depth=1
	s_wait_dscnt 0x0
	s_wait_xcnt 0x0
	ds_load_b64 v[40:41], v52 offset:80
	v_mov_b32_e32 v31, v6
	s_delay_alu instid0(VALU_DEP_1)
	v_add_nc_u64_e32 v[42:43], v[36:37], v[30:31]
	s_wait_dscnt 0x0
	global_store_b64 v[42:43], v[40:41], off offset:80
.LBB104_47:                             ;   in Loop: Header=BB104_10 Depth=1
	s_wait_xcnt 0x0
	s_or_b32 exec_lo, exec_lo, s3
	s_and_saveexec_b32 s3, s33
	s_cbranch_execz .LBB104_51
; %bb.48:                               ;   in Loop: Header=BB104_10 Depth=1
	s_and_not1_b32 vcc_lo, exec_lo, s26
	s_cbranch_vccnz .LBB104_60
; %bb.49:                               ;   in Loop: Header=BB104_10 Depth=1
	s_wait_dscnt 0x0
	ds_load_b64 v[40:41], v52 offset:96
	v_lshl_add_u64 v[42:43], v[24:25], 3, v[38:39]
	s_wait_dscnt 0x0
	global_store_b64 v[42:43], v[40:41], off
	s_cbranch_execnz .LBB104_51
.LBB104_50:                             ;   in Loop: Header=BB104_10 Depth=1
	s_wait_dscnt 0x0
	s_wait_xcnt 0x0
	ds_load_b64 v[40:41], v52 offset:96
	v_mov_b32_e32 v31, v6
	s_delay_alu instid0(VALU_DEP_1)
	v_add_nc_u64_e32 v[42:43], v[36:37], v[30:31]
	s_wait_dscnt 0x0
	global_store_b64 v[42:43], v[40:41], off offset:96
.LBB104_51:                             ;   in Loop: Header=BB104_10 Depth=1
	s_wait_xcnt 0x0
	s_or_b32 exec_lo, exec_lo, s3
	s_and_saveexec_b32 s3, s34
	s_cbranch_execz .LBB104_8
; %bb.52:                               ;   in Loop: Header=BB104_10 Depth=1
	s_and_not1_b32 vcc_lo, exec_lo, s26
	s_cbranch_vccnz .LBB104_61
; %bb.53:                               ;   in Loop: Header=BB104_10 Depth=1
	s_wait_dscnt 0x0
	ds_load_b64 v[40:41], v52 offset:112
	v_lshl_add_u64 v[38:39], v[26:27], 3, v[38:39]
	s_wait_dscnt 0x0
	global_store_b64 v[38:39], v[40:41], off
	s_cbranch_execnz .LBB104_8
	s_branch .LBB104_62
.LBB104_54:                             ;   in Loop: Header=BB104_10 Depth=1
	s_branch .LBB104_26
.LBB104_55:                             ;   in Loop: Header=BB104_10 Depth=1
	s_branch .LBB104_30
.LBB104_56:                             ;   in Loop: Header=BB104_10 Depth=1
	s_branch .LBB104_34
.LBB104_57:                             ;   in Loop: Header=BB104_10 Depth=1
	s_branch .LBB104_38
.LBB104_58:                             ;   in Loop: Header=BB104_10 Depth=1
	s_branch .LBB104_42
.LBB104_59:                             ;   in Loop: Header=BB104_10 Depth=1
	s_branch .LBB104_46
.LBB104_60:                             ;   in Loop: Header=BB104_10 Depth=1
	s_branch .LBB104_50
.LBB104_61:                             ;   in Loop: Header=BB104_10 Depth=1
.LBB104_62:                             ;   in Loop: Header=BB104_10 Depth=1
	s_wait_xcnt 0x0
	ds_load_b64 v[38:39], v52 offset:112
	v_mov_b32_e32 v31, v6
	s_delay_alu instid0(VALU_DEP_1)
	v_add_nc_u64_e32 v[36:37], v[36:37], v[30:31]
	s_wait_dscnt 0x0
	global_store_b64 v[36:37], v[38:39], off offset:112
	s_branch .LBB104_8
.LBB104_63:
	s_endpgm
	.section	.rodata,"a",@progbits
	.p2align	6, 0x0
	.amdhsa_kernel _ZN9rocsparseL42csr2bsr_wavefront_per_row_multipass_kernelILj256ELj32ELj16E21rocsparse_complex_numIfEllEEv20rocsparse_direction_T4_S4_S4_S4_S4_21rocsparse_index_base_PKT2_PKT3_PKS4_S5_PS6_PS9_PS4_
		.amdhsa_group_segment_fixed_size 16392
		.amdhsa_private_segment_fixed_size 0
		.amdhsa_kernarg_size 112
		.amdhsa_user_sgpr_count 2
		.amdhsa_user_sgpr_dispatch_ptr 0
		.amdhsa_user_sgpr_queue_ptr 0
		.amdhsa_user_sgpr_kernarg_segment_ptr 1
		.amdhsa_user_sgpr_dispatch_id 0
		.amdhsa_user_sgpr_kernarg_preload_length 0
		.amdhsa_user_sgpr_kernarg_preload_offset 0
		.amdhsa_user_sgpr_private_segment_size 0
		.amdhsa_wavefront_size32 1
		.amdhsa_uses_dynamic_stack 0
		.amdhsa_enable_private_segment 0
		.amdhsa_system_sgpr_workgroup_id_x 1
		.amdhsa_system_sgpr_workgroup_id_y 0
		.amdhsa_system_sgpr_workgroup_id_z 0
		.amdhsa_system_sgpr_workgroup_info 0
		.amdhsa_system_vgpr_workitem_id 0
		.amdhsa_next_free_vgpr 74
		.amdhsa_next_free_sgpr 48
		.amdhsa_named_barrier_count 0
		.amdhsa_reserve_vcc 1
		.amdhsa_float_round_mode_32 0
		.amdhsa_float_round_mode_16_64 0
		.amdhsa_float_denorm_mode_32 3
		.amdhsa_float_denorm_mode_16_64 3
		.amdhsa_fp16_overflow 0
		.amdhsa_memory_ordered 1
		.amdhsa_forward_progress 1
		.amdhsa_inst_pref_size 25
		.amdhsa_round_robin_scheduling 0
		.amdhsa_exception_fp_ieee_invalid_op 0
		.amdhsa_exception_fp_denorm_src 0
		.amdhsa_exception_fp_ieee_div_zero 0
		.amdhsa_exception_fp_ieee_overflow 0
		.amdhsa_exception_fp_ieee_underflow 0
		.amdhsa_exception_fp_ieee_inexact 0
		.amdhsa_exception_int_div_zero 0
	.end_amdhsa_kernel
	.section	.text._ZN9rocsparseL42csr2bsr_wavefront_per_row_multipass_kernelILj256ELj32ELj16E21rocsparse_complex_numIfEllEEv20rocsparse_direction_T4_S4_S4_S4_S4_21rocsparse_index_base_PKT2_PKT3_PKS4_S5_PS6_PS9_PS4_,"axG",@progbits,_ZN9rocsparseL42csr2bsr_wavefront_per_row_multipass_kernelILj256ELj32ELj16E21rocsparse_complex_numIfEllEEv20rocsparse_direction_T4_S4_S4_S4_S4_21rocsparse_index_base_PKT2_PKT3_PKS4_S5_PS6_PS9_PS4_,comdat
.Lfunc_end104:
	.size	_ZN9rocsparseL42csr2bsr_wavefront_per_row_multipass_kernelILj256ELj32ELj16E21rocsparse_complex_numIfEllEEv20rocsparse_direction_T4_S4_S4_S4_S4_21rocsparse_index_base_PKT2_PKT3_PKS4_S5_PS6_PS9_PS4_, .Lfunc_end104-_ZN9rocsparseL42csr2bsr_wavefront_per_row_multipass_kernelILj256ELj32ELj16E21rocsparse_complex_numIfEllEEv20rocsparse_direction_T4_S4_S4_S4_S4_21rocsparse_index_base_PKT2_PKT3_PKS4_S5_PS6_PS9_PS4_
                                        ; -- End function
	.set _ZN9rocsparseL42csr2bsr_wavefront_per_row_multipass_kernelILj256ELj32ELj16E21rocsparse_complex_numIfEllEEv20rocsparse_direction_T4_S4_S4_S4_S4_21rocsparse_index_base_PKT2_PKT3_PKS4_S5_PS6_PS9_PS4_.num_vgpr, 74
	.set _ZN9rocsparseL42csr2bsr_wavefront_per_row_multipass_kernelILj256ELj32ELj16E21rocsparse_complex_numIfEllEEv20rocsparse_direction_T4_S4_S4_S4_S4_21rocsparse_index_base_PKT2_PKT3_PKS4_S5_PS6_PS9_PS4_.num_agpr, 0
	.set _ZN9rocsparseL42csr2bsr_wavefront_per_row_multipass_kernelILj256ELj32ELj16E21rocsparse_complex_numIfEllEEv20rocsparse_direction_T4_S4_S4_S4_S4_21rocsparse_index_base_PKT2_PKT3_PKS4_S5_PS6_PS9_PS4_.numbered_sgpr, 48
	.set _ZN9rocsparseL42csr2bsr_wavefront_per_row_multipass_kernelILj256ELj32ELj16E21rocsparse_complex_numIfEllEEv20rocsparse_direction_T4_S4_S4_S4_S4_21rocsparse_index_base_PKT2_PKT3_PKS4_S5_PS6_PS9_PS4_.num_named_barrier, 0
	.set _ZN9rocsparseL42csr2bsr_wavefront_per_row_multipass_kernelILj256ELj32ELj16E21rocsparse_complex_numIfEllEEv20rocsparse_direction_T4_S4_S4_S4_S4_21rocsparse_index_base_PKT2_PKT3_PKS4_S5_PS6_PS9_PS4_.private_seg_size, 0
	.set _ZN9rocsparseL42csr2bsr_wavefront_per_row_multipass_kernelILj256ELj32ELj16E21rocsparse_complex_numIfEllEEv20rocsparse_direction_T4_S4_S4_S4_S4_21rocsparse_index_base_PKT2_PKT3_PKS4_S5_PS6_PS9_PS4_.uses_vcc, 1
	.set _ZN9rocsparseL42csr2bsr_wavefront_per_row_multipass_kernelILj256ELj32ELj16E21rocsparse_complex_numIfEllEEv20rocsparse_direction_T4_S4_S4_S4_S4_21rocsparse_index_base_PKT2_PKT3_PKS4_S5_PS6_PS9_PS4_.uses_flat_scratch, 0
	.set _ZN9rocsparseL42csr2bsr_wavefront_per_row_multipass_kernelILj256ELj32ELj16E21rocsparse_complex_numIfEllEEv20rocsparse_direction_T4_S4_S4_S4_S4_21rocsparse_index_base_PKT2_PKT3_PKS4_S5_PS6_PS9_PS4_.has_dyn_sized_stack, 0
	.set _ZN9rocsparseL42csr2bsr_wavefront_per_row_multipass_kernelILj256ELj32ELj16E21rocsparse_complex_numIfEllEEv20rocsparse_direction_T4_S4_S4_S4_S4_21rocsparse_index_base_PKT2_PKT3_PKS4_S5_PS6_PS9_PS4_.has_recursion, 0
	.set _ZN9rocsparseL42csr2bsr_wavefront_per_row_multipass_kernelILj256ELj32ELj16E21rocsparse_complex_numIfEllEEv20rocsparse_direction_T4_S4_S4_S4_S4_21rocsparse_index_base_PKT2_PKT3_PKS4_S5_PS6_PS9_PS4_.has_indirect_call, 0
	.section	.AMDGPU.csdata,"",@progbits
; Kernel info:
; codeLenInByte = 3120
; TotalNumSgprs: 50
; NumVgprs: 74
; ScratchSize: 0
; MemoryBound: 0
; FloatMode: 240
; IeeeMode: 1
; LDSByteSize: 16392 bytes/workgroup (compile time only)
; SGPRBlocks: 0
; VGPRBlocks: 4
; NumSGPRsForWavesPerEU: 50
; NumVGPRsForWavesPerEU: 74
; NamedBarCnt: 0
; Occupancy: 12
; WaveLimiterHint : 0
; COMPUTE_PGM_RSRC2:SCRATCH_EN: 0
; COMPUTE_PGM_RSRC2:USER_SGPR: 2
; COMPUTE_PGM_RSRC2:TRAP_HANDLER: 0
; COMPUTE_PGM_RSRC2:TGID_X_EN: 1
; COMPUTE_PGM_RSRC2:TGID_Y_EN: 0
; COMPUTE_PGM_RSRC2:TGID_Z_EN: 0
; COMPUTE_PGM_RSRC2:TIDIG_COMP_CNT: 0
	.section	.text._ZN9rocsparseL38csr2bsr_block_per_row_multipass_kernelILj256ELj32E21rocsparse_complex_numIfEllEEv20rocsparse_direction_T3_S4_S4_S4_S4_21rocsparse_index_base_PKT1_PKT2_PKS4_S5_PS6_PS9_PS4_,"axG",@progbits,_ZN9rocsparseL38csr2bsr_block_per_row_multipass_kernelILj256ELj32E21rocsparse_complex_numIfEllEEv20rocsparse_direction_T3_S4_S4_S4_S4_21rocsparse_index_base_PKT1_PKT2_PKS4_S5_PS6_PS9_PS4_,comdat
	.globl	_ZN9rocsparseL38csr2bsr_block_per_row_multipass_kernelILj256ELj32E21rocsparse_complex_numIfEllEEv20rocsparse_direction_T3_S4_S4_S4_S4_21rocsparse_index_base_PKT1_PKT2_PKS4_S5_PS6_PS9_PS4_ ; -- Begin function _ZN9rocsparseL38csr2bsr_block_per_row_multipass_kernelILj256ELj32E21rocsparse_complex_numIfEllEEv20rocsparse_direction_T3_S4_S4_S4_S4_21rocsparse_index_base_PKT1_PKT2_PKS4_S5_PS6_PS9_PS4_
	.p2align	8
	.type	_ZN9rocsparseL38csr2bsr_block_per_row_multipass_kernelILj256ELj32E21rocsparse_complex_numIfEllEEv20rocsparse_direction_T3_S4_S4_S4_S4_21rocsparse_index_base_PKT1_PKT2_PKS4_S5_PS6_PS9_PS4_,@function
_ZN9rocsparseL38csr2bsr_block_per_row_multipass_kernelILj256ELj32E21rocsparse_complex_numIfEllEEv20rocsparse_direction_T3_S4_S4_S4_S4_21rocsparse_index_base_PKT1_PKT2_PKS4_S5_PS6_PS9_PS4_: ; @_ZN9rocsparseL38csr2bsr_block_per_row_multipass_kernelILj256ELj32E21rocsparse_complex_numIfEllEEv20rocsparse_direction_T3_S4_S4_S4_S4_21rocsparse_index_base_PKT1_PKT2_PKS4_S5_PS6_PS9_PS4_
; %bb.0:
	s_clause 0x1
	s_load_b128 s[12:15], s[0:1], 0x20
	s_load_b64 s[6:7], s[0:1], 0x8
	s_bfe_u32 s3, ttmp6, 0x4000c
	s_and_b32 s2, ttmp6, 15
	s_add_co_i32 s3, s3, 1
	s_getreg_b32 s4, hwreg(HW_REG_IB_STS2, 6, 4)
	s_mul_i32 s3, ttmp9, s3
	v_dual_mov_b32 v9, 0 :: v_dual_lshrrev_b32 v8, 3, v0
	s_add_co_i32 s2, s2, s3
	s_cmp_eq_u32 s4, 0
	s_clause 0x1
	s_load_b32 s20, s[0:1], 0x30
	s_load_b64 s[4:5], s[0:1], 0x40
	s_cselect_b32 s2, ttmp9, s2
	v_mov_b64_e32 v[2:3], 0
	s_ashr_i32 s3, s2, 31
	v_mov_b64_e32 v[22:23], 0
	s_mov_b32 s21, 0
	s_wait_kmcnt 0x0
	v_mad_nc_u64_u32 v[4:5], s14, s2, v[8:9]
	s_mul_i32 s8, s14, s3
	s_mul_i32 s9, s15, s2
	s_delay_alu instid0(VALU_DEP_1) | instid1(SALU_CYCLE_1)
	v_add3_u32 v5, s8, s9, v5
	v_cmp_gt_i64_e64 s8, s[14:15], v[8:9]
	s_delay_alu instid0(VALU_DEP_2) | instskip(SKIP_1) | instid1(SALU_CYCLE_1)
	v_cmp_gt_i64_e32 vcc_lo, s[6:7], v[4:5]
	s_and_b32 s6, s8, vcc_lo
	s_and_saveexec_b32 s7, s6
	s_cbranch_execnz .LBB105_3
; %bb.1:
	s_or_b32 exec_lo, exec_lo, s7
	s_and_saveexec_b32 s7, s6
	s_cbranch_execnz .LBB105_4
.LBB105_2:
	s_or_b32 exec_lo, exec_lo, s7
	v_cmp_lt_i64_e64 s4, s[12:13], 1
	s_and_b32 vcc_lo, exec_lo, s4
	s_cbranch_vccz .LBB105_5
	s_branch .LBB105_57
.LBB105_3:
	v_lshl_add_u64 v[6:7], v[4:5], 3, s[4:5]
	global_load_b64 v[6:7], v[6:7], off
	s_wait_loadcnt 0x0
	v_sub_nc_u64_e64 v[22:23], v[6:7], s[20:21]
	s_or_b32 exec_lo, exec_lo, s7
	s_and_saveexec_b32 s7, s6
	s_cbranch_execz .LBB105_2
.LBB105_4:
	v_lshl_add_u64 v[2:3], v[4:5], 3, s[4:5]
	global_load_b64 v[2:3], v[2:3], off offset:8
	s_wait_loadcnt 0x0
	v_sub_nc_u64_e64 v[2:3], v[2:3], s[20:21]
	s_or_b32 exec_lo, exec_lo, s7
	v_cmp_lt_i64_e64 s4, s[12:13], 1
	s_and_b32 vcc_lo, exec_lo, s4
	s_cbranch_vccnz .LBB105_57
.LBB105_5:
	v_dual_lshlrev_b32 v10, 3, v8 :: v_dual_mov_b32 v4, 0
	v_mbcnt_lo_u32_b32 v1, -1, 0
	v_mul_u64_e32 v[12:13], s[14:15], v[8:9]
	s_clause 0x1
	s_load_b128 s[4:7], s[0:1], 0x58
	s_load_b64 s[22:23], s[0:1], 0x68
	v_dual_mov_b32 v11, v4 :: v_dual_bitop2_b32 v6, 7, v0 bitop3:0x40
	v_dual_mov_b32 v7, v4 :: v_dual_bitop2_b32 v5, 4, v1 bitop3:0x14
	s_delay_alu instid0(VALU_DEP_2) | instskip(SKIP_1) | instid1(VALU_DEP_3)
	v_dual_lshlrev_b32 v38, 8, v8 :: v_dual_lshlrev_b32 v20, 3, v6
	v_dual_mov_b32 v25, v4 :: v_dual_bitop2_b32 v8, 2, v1 bitop3:0x14
	v_cmp_gt_i32_e32 vcc_lo, 32, v5
	v_or_b32_e32 v24, 8, v6
	v_lshl_or_b32 v39, v1, 2, 28
	s_clause 0x2
	s_load_b96 s[16:18], s[0:1], 0x48
	s_load_b64 s[26:27], s[0:1], 0x38
	s_load_b32 s9, s[0:1], 0x0
	s_wait_xcnt 0x0
	s_lshl_b64 s[0:1], s[2:3], 3
	v_cndmask_b32_e32 v5, v1, v5, vcc_lo
	v_cmp_gt_i32_e32 vcc_lo, 32, v8
	v_xor_b32_e32 v9, 1, v1
	v_dual_mov_b32 v29, v4 :: v_dual_bitop2_b32 v28, 24, v6 bitop3:0x54
	s_wait_kmcnt 0x0
	s_add_nc_u64 s[0:1], s[6:7], s[0:1]
	v_cndmask_b32_e32 v8, v1, v8, vcc_lo
	v_cmp_gt_i32_e32 vcc_lo, 32, v9
	s_load_b64 s[0:1], s[0:1], 0x0
	v_dual_lshlrev_b32 v40, 2, v5 :: v_dual_bitop2_b32 v26, 16, v6 bitop3:0x54
	s_delay_alu instid0(VALU_DEP_3)
	v_dual_lshlrev_b32 v41, 2, v8 :: v_dual_cndmask_b32 v1, v1, v9, vcc_lo
	v_mov_b32_e32 v27, v4
	v_add_nc_u64_e32 v[8:9], s[4:5], v[10:11]
	v_mul_u64_e32 v[10:11], s[14:15], v[6:7]
	v_mul_u64_e32 v[16:17], s[14:15], v[28:29]
	v_lshlrev_b32_e32 v42, 2, v1
	v_lshl_add_u64 v[18:19], v[12:13], 3, s[4:5]
	v_mul_u64_e32 v[12:13], s[14:15], v[24:25]
	v_mul_u64_e32 v[14:15], s[14:15], v[26:27]
	v_cvt_f32_u32_e32 v1, s14
	s_mov_b32 s11, 0
	v_dual_mov_b32 v21, v4 :: v_dual_lshlrev_b32 v43, 3, v0
	s_mov_b32 s19, s11
	v_cmp_gt_u32_e64 s2, 32, v0
	v_cmp_gt_u32_e64 s3, 16, v0
	s_wait_kmcnt 0x0
	s_sub_nc_u64 s[28:29], s[0:1], s[18:19]
	v_cmp_gt_u32_e64 s0, 0x80, v0
	v_cmp_gt_u32_e64 s1, 64, v0
	;; [unrolled: 1-line block ×5, first 2 shown]
	v_cmp_eq_u32_e64 s7, 0, v0
	v_rcp_iflag_f32_e32 v0, v1
	v_cmp_gt_i64_e32 vcc_lo, s[14:15], v[6:7]
	s_cmp_lg_u32 s9, 0
	v_add_nc_u32_e32 v44, v20, v38
	s_cselect_b32 s33, -1, 0
	v_cmp_gt_i64_e64 s9, s[14:15], v[24:25]
	v_cmp_gt_i64_e64 s10, s[14:15], v[26:27]
	v_mul_f32_e32 v5, 0x4f7ffffe, v0
	s_and_b32 s38, s8, vcc_lo
	v_cmp_gt_i64_e32 vcc_lo, s[14:15], v[28:29]
	v_add_nc_u64_e32 v[18:19], v[18:19], v[20:21]
	v_mov_b64_e32 v[24:25], 0
	v_mov_b64_e32 v[0:1], 0
	v_mov_b32_e32 v45, 1
	v_cvt_u32_f32_e32 v46, v5
	s_mul_u64 s[24:25], s[14:15], s[14:15]
	s_mov_b32 s21, s11
	s_and_b32 s39, s8, s9
	s_and_b32 s40, s8, s10
	s_mov_b64 s[30:31], 0xffffffff
	s_and_b32 s41, s8, vcc_lo
	s_ashr_i32 s34, s15, 31
	s_sub_co_i32 s42, 0, s14
	s_branch .LBB105_7
.LBB105_6:                              ;   in Loop: Header=BB105_7 Depth=1
	s_or_b32 exec_lo, exec_lo, s10
	s_wait_dscnt 0x0
	s_barrier_signal -1
	s_barrier_wait -1
	ds_load_b64 v[24:25], v4
	s_add_nc_u64 s[28:29], s[8:9], s[28:29]
	s_wait_dscnt 0x0
	s_barrier_signal -1
	s_barrier_wait -1
	v_cmp_gt_i64_e32 vcc_lo, s[12:13], v[24:25]
	s_cbranch_vccz .LBB105_57
.LBB105_7:                              ; =>This Loop Header: Depth=1
                                        ;     Child Loop BB105_10 Depth 2
	v_add_nc_u64_e32 v[22:23], v[22:23], v[6:7]
	v_mov_b64_e32 v[20:21], s[12:13]
	v_mov_b64_e32 v[36:37], v[2:3]
	s_mov_b32 s9, exec_lo
	ds_store_b8 v4, v4 offset:8192
	ds_store_2addr_b64 v44, v[0:1], v[0:1] offset1:8
	ds_store_2addr_b64 v44, v[0:1], v[0:1] offset0:16 offset1:24
	s_wait_dscnt 0x0
	s_barrier_signal -1
	s_barrier_wait -1
	v_cmpx_lt_i64_e64 v[22:23], v[2:3]
	s_cbranch_execz .LBB105_19
; %bb.8:                                ;   in Loop: Header=BB105_7 Depth=1
	v_mul_u64_e32 v[26:27], s[14:15], v[24:25]
	v_lshlrev_b64_e32 v[20:21], 3, v[22:23]
	v_mov_b64_e32 v[32:33], v[2:3]
	s_mov_b32 s43, 0
	s_delay_alu instid0(VALU_DEP_2)
	v_add_nc_u64_e32 v[28:29], s[26:27], v[20:21]
	v_add_nc_u64_e32 v[30:31], s[16:17], v[20:21]
	v_mov_b64_e32 v[20:21], s[12:13]
	s_branch .LBB105_10
.LBB105_9:                              ;   in Loop: Header=BB105_10 Depth=2
	s_wait_xcnt 0x0
	s_or_b32 exec_lo, exec_lo, s8
	v_add_nc_u64_e32 v[22:23], 8, v[22:23]
	s_xor_b32 s10, vcc_lo, -1
	v_add_nc_u64_e32 v[28:29], 64, v[28:29]
	v_add_nc_u64_e32 v[30:31], 64, v[30:31]
	v_mov_b64_e32 v[32:33], v[36:37]
	s_delay_alu instid0(VALU_DEP_4) | instskip(SKIP_1) | instid1(SALU_CYCLE_1)
	v_cmp_ge_i64_e64 s8, v[22:23], v[2:3]
	s_or_b32 s8, s10, s8
	s_and_b32 s8, exec_lo, s8
	s_delay_alu instid0(SALU_CYCLE_1) | instskip(NEXT) | instid1(SALU_CYCLE_1)
	s_or_b32 s43, s8, s43
	s_and_not1_b32 exec_lo, exec_lo, s43
	s_cbranch_execz .LBB105_18
.LBB105_10:                             ;   Parent Loop BB105_7 Depth=1
                                        ; =>  This Inner Loop Header: Depth=2
	global_load_b64 v[34:35], v[30:31], off
                                        ; implicit-def: $vgpr36_vgpr37
	s_mov_b32 s8, exec_lo
	s_wait_loadcnt 0x0
	v_sub_nc_u64_e64 v[34:35], v[34:35], s[20:21]
	s_delay_alu instid0(VALU_DEP_1) | instskip(SKIP_1) | instid1(VALU_DEP_1)
	v_or_b32_e32 v5, s15, v35
	s_wait_xcnt 0x0
	v_cmpx_ne_u64_e32 0, v[4:5]
	s_xor_b32 s44, exec_lo, s8
	s_cbranch_execz .LBB105_12
; %bb.11:                               ;   in Loop: Header=BB105_10 Depth=2
	s_mov_b32 s35, s34
	v_dual_mov_b32 v51, v4 :: v_dual_ashrrev_i32 v36, 31, v35
	s_add_nc_u64 s[36:37], s[14:15], s[34:35]
	v_mov_b32_e32 v55, v4
	s_xor_b64 s[36:37], s[36:37], s[34:35]
	s_delay_alu instid0(VALU_DEP_2)
	v_mov_b32_e32 v37, v36
	s_cvt_f32_u32 s8, s36
	s_cvt_f32_u32 s10, s37
	s_sub_nc_u64 s[48:49], 0, s[36:37]
	v_mov_b32_e32 v59, v4
	v_add_nc_u64_e32 v[48:49], v[34:35], v[36:37]
	s_fmamk_f32 s8, s10, 0x4f800000, s8
	s_delay_alu instid0(SALU_CYCLE_3) | instskip(NEXT) | instid1(VALU_DEP_1)
	v_s_rcp_f32 s8, s8
	v_xor_b32_e32 v54, v49, v36
	s_delay_alu instid0(VALU_DEP_2) | instskip(SKIP_1) | instid1(TRANS32_DEP_1)
	v_xor_b32_e32 v50, v48, v36
	v_xor_b32_e32 v36, s34, v36
	s_mul_f32 s8, s8, 0x5f7ffffc
	s_delay_alu instid0(SALU_CYCLE_3) | instskip(NEXT) | instid1(SALU_CYCLE_3)
	s_mul_f32 s10, s8, 0x2f800000
	s_trunc_f32 s10, s10
	s_delay_alu instid0(SALU_CYCLE_3) | instskip(SKIP_1) | instid1(SALU_CYCLE_2)
	s_fmamk_f32 s8, s10, 0xcf800000, s8
	s_cvt_u32_f32 s47, s10
	s_cvt_u32_f32 s46, s8
	s_delay_alu instid0(SALU_CYCLE_3) | instskip(NEXT) | instid1(SALU_CYCLE_1)
	s_mul_u64 s[50:51], s[48:49], s[46:47]
	s_mul_hi_u32 s53, s46, s51
	s_mul_i32 s52, s46, s51
	s_mul_hi_u32 s10, s46, s50
	s_mul_i32 s35, s47, s50
	s_add_nc_u64 s[52:53], s[10:11], s[52:53]
	s_mul_hi_u32 s8, s47, s50
	s_mul_hi_u32 s45, s47, s51
	s_add_co_u32 s10, s52, s35
	s_add_co_ci_u32 s10, s53, s8
	s_mul_i32 s50, s47, s51
	s_add_co_ci_u32 s51, s45, 0
	s_delay_alu instid0(SALU_CYCLE_1) | instskip(NEXT) | instid1(SALU_CYCLE_1)
	s_add_nc_u64 s[50:51], s[10:11], s[50:51]
	s_add_co_u32 s46, s46, s50
	s_cselect_b32 s8, -1, 0
	s_delay_alu instid0(SALU_CYCLE_1) | instskip(SKIP_1) | instid1(SALU_CYCLE_1)
	s_cmp_lg_u32 s8, 0
	s_add_co_ci_u32 s47, s47, s51
	s_mul_u64 s[48:49], s[48:49], s[46:47]
	s_delay_alu instid0(SALU_CYCLE_1)
	s_mul_hi_u32 s51, s46, s49
	s_mul_i32 s50, s46, s49
	s_mul_hi_u32 s10, s46, s48
	s_mul_i32 s35, s47, s48
	s_add_nc_u64 s[50:51], s[10:11], s[50:51]
	s_mul_hi_u32 s8, s47, s48
	s_mul_hi_u32 s45, s47, s49
	s_add_co_u32 s10, s50, s35
	s_add_co_ci_u32 s10, s51, s8
	s_mul_i32 s48, s47, s49
	s_add_co_ci_u32 s49, s45, 0
	s_delay_alu instid0(SALU_CYCLE_1) | instskip(NEXT) | instid1(SALU_CYCLE_1)
	s_add_nc_u64 s[48:49], s[10:11], s[48:49]
	s_add_co_u32 s8, s46, s48
	s_cselect_b32 s10, -1, 0
	v_mul_hi_u32 v58, v50, s8
	s_cmp_lg_u32 s10, 0
	s_add_co_ci_u32 s10, s47, s49
	s_and_b64 s[46:47], s[8:9], s[30:31]
	v_mul_u64_e32 v[52:53], s[10:11], v[50:51]
	v_mul_u64_e32 v[48:49], s[46:47], v[54:55]
	;; [unrolled: 1-line block ×3, first 2 shown]
	s_delay_alu instid0(VALU_DEP_3) | instskip(NEXT) | instid1(VALU_DEP_1)
	v_add_nc_u64_e32 v[52:53], v[58:59], v[52:53]
	v_add_co_u32 v5, vcc_lo, v52, v48
	s_delay_alu instid0(VALU_DEP_2) | instskip(NEXT) | instid1(VALU_DEP_4)
	v_add_co_ci_u32_e32 v58, vcc_lo, v53, v49, vcc_lo
	v_add_co_ci_u32_e32 v57, vcc_lo, 0, v57, vcc_lo
	s_delay_alu instid0(VALU_DEP_1) | instskip(NEXT) | instid1(VALU_DEP_1)
	v_add_nc_u64_e32 v[48:49], v[58:59], v[56:57]
	v_mul_u64_e32 v[52:53], s[36:37], v[48:49]
	s_delay_alu instid0(VALU_DEP_1) | instskip(NEXT) | instid1(VALU_DEP_2)
	v_sub_nc_u32_e32 v5, v54, v53
	v_sub_co_u32 v27, vcc_lo, v50, v52
	s_delay_alu instid0(VALU_DEP_1) | instskip(NEXT) | instid1(VALU_DEP_3)
	v_sub_co_ci_u32_e64 v37, null, v54, v53, vcc_lo
	v_subrev_co_ci_u32_e64 v5, null, s37, v5, vcc_lo
	s_delay_alu instid0(VALU_DEP_3) | instskip(SKIP_1) | instid1(VALU_DEP_3)
	v_sub_co_u32 v35, s8, v27, s36
	v_add_nc_u64_e32 v[50:51], 2, v[48:49]
	v_subrev_co_ci_u32_e64 v5, null, 0, v5, s8
	s_delay_alu instid0(VALU_DEP_3) | instskip(SKIP_2) | instid1(VALU_DEP_4)
	v_cmp_le_u32_e32 vcc_lo, s36, v35
	v_add_nc_u64_e32 v[52:53], 1, v[48:49]
	v_cndmask_b32_e64 v35, 0, -1, vcc_lo
	v_cmp_le_u32_e32 vcc_lo, s37, v5
	v_cndmask_b32_e64 v47, 0, -1, vcc_lo
	v_cmp_le_u32_e32 vcc_lo, s36, v27
	;; [unrolled: 2-line block ×3, first 2 shown]
	v_cndmask_b32_e64 v54, 0, -1, vcc_lo
	v_cmp_eq_u32_e32 vcc_lo, s37, v5
	v_cndmask_b32_e32 v5, v47, v35, vcc_lo
	v_cmp_eq_u32_e32 vcc_lo, s37, v37
	s_delay_alu instid0(VALU_DEP_4) | instskip(NEXT) | instid1(VALU_DEP_3)
	v_dual_mov_b32 v37, v36 :: v_dual_cndmask_b32 v27, v54, v27, vcc_lo
	v_cmp_ne_u32_e32 vcc_lo, 0, v5
	s_delay_alu instid0(VALU_DEP_2) | instskip(SKIP_1) | instid1(VALU_DEP_1)
	v_cmp_ne_u32_e64 s8, 0, v27
	v_dual_cndmask_b32 v5, v53, v51, vcc_lo :: v_dual_cndmask_b32 v27, v52, v50, vcc_lo
	v_dual_cndmask_b32 v5, v49, v5, s8 :: v_dual_cndmask_b32 v27, v48, v27, s8
	s_delay_alu instid0(VALU_DEP_1) | instskip(NEXT) | instid1(VALU_DEP_2)
	v_xor_b32_e32 v49, v5, v36
	v_xor_b32_e32 v48, v27, v36
	s_delay_alu instid0(VALU_DEP_1)
	v_sub_nc_u64_e32 v[36:37], v[48:49], v[36:37]
.LBB105_12:                             ;   in Loop: Header=BB105_10 Depth=2
	s_and_not1_saveexec_b32 s8, s44
	s_cbranch_execz .LBB105_14
; %bb.13:                               ;   in Loop: Header=BB105_10 Depth=2
	v_mul_lo_u32 v5, s42, v46
	v_mov_b32_e32 v37, v4
	s_delay_alu instid0(VALU_DEP_2) | instskip(NEXT) | instid1(VALU_DEP_1)
	v_mul_hi_u32 v5, v46, v5
	v_add_nc_u32_e32 v5, v46, v5
	s_delay_alu instid0(VALU_DEP_1) | instskip(NEXT) | instid1(VALU_DEP_1)
	v_mul_hi_u32 v5, v34, v5
	v_mul_lo_u32 v27, v5, s14
	s_delay_alu instid0(VALU_DEP_1) | instskip(NEXT) | instid1(VALU_DEP_1)
	v_dual_add_nc_u32 v35, 1, v5 :: v_dual_sub_nc_u32 v27, v34, v27
	v_subrev_nc_u32_e32 v36, s14, v27
	v_cmp_le_u32_e32 vcc_lo, s14, v27
	s_delay_alu instid0(VALU_DEP_2) | instskip(NEXT) | instid1(VALU_DEP_1)
	v_dual_cndmask_b32 v27, v27, v36, vcc_lo :: v_dual_cndmask_b32 v5, v5, v35, vcc_lo
	v_cmp_le_u32_e32 vcc_lo, s14, v27
	s_delay_alu instid0(VALU_DEP_2) | instskip(NEXT) | instid1(VALU_DEP_1)
	v_add_nc_u32_e32 v35, 1, v5
	v_cndmask_b32_e32 v36, v5, v35, vcc_lo
.LBB105_14:                             ;   in Loop: Header=BB105_10 Depth=2
	s_or_b32 exec_lo, exec_lo, s8
	s_delay_alu instid0(VALU_DEP_1) | instskip(SKIP_2) | instid1(SALU_CYCLE_1)
	v_cmp_ne_u64_e64 s8, v[36:37], v[24:25]
	v_cmp_eq_u64_e32 vcc_lo, v[36:37], v[24:25]
	s_and_saveexec_b32 s10, s8
	s_xor_b32 s8, exec_lo, s10
; %bb.15:                               ;   in Loop: Header=BB105_10 Depth=2
	v_min_i64 v[20:21], v[36:37], v[20:21]
                                        ; implicit-def: $vgpr34_vgpr35
                                        ; implicit-def: $vgpr32_vgpr33
; %bb.16:                               ;   in Loop: Header=BB105_10 Depth=2
	s_or_saveexec_b32 s8, s8
	v_mov_b64_e32 v[36:37], v[22:23]
	s_xor_b32 exec_lo, exec_lo, s8
	s_cbranch_execz .LBB105_9
; %bb.17:                               ;   in Loop: Header=BB105_10 Depth=2
	global_load_b64 v[48:49], v[28:29], off
	v_sub_nc_u32_e32 v5, v34, v26
	v_mov_b64_e32 v[36:37], v[32:33]
	s_delay_alu instid0(VALU_DEP_2)
	v_lshl_add_u32 v5, v5, 3, v38
	ds_store_b8 v4, v45 offset:8192
	s_wait_loadcnt 0x0
	ds_store_b64 v5, v[48:49]
	s_branch .LBB105_9
.LBB105_18:                             ;   in Loop: Header=BB105_7 Depth=1
	s_or_b32 exec_lo, exec_lo, s43
.LBB105_19:                             ;   in Loop: Header=BB105_7 Depth=1
	s_delay_alu instid0(SALU_CYCLE_1)
	s_or_b32 exec_lo, exec_lo, s9
	ds_bpermute_b32 v22, v40, v36
	ds_bpermute_b32 v23, v40, v37
	s_wait_dscnt 0x0
	s_barrier_signal -1
	s_barrier_wait -1
	ds_load_u8 v5, v4 offset:8192
	s_mov_b64 s[8:9], 0
	v_min_i64 v[22:23], v[22:23], v[36:37]
	s_wait_dscnt 0x0
	v_and_b32_e32 v5, 1, v5
	s_delay_alu instid0(VALU_DEP_1)
	v_cmp_eq_u32_e32 vcc_lo, 0, v5
	s_and_b32 vcc_lo, exec_lo, vcc_lo
	ds_bpermute_b32 v26, v41, v22
	ds_bpermute_b32 v27, v41, v23
	s_wait_dscnt 0x0
	v_min_i64 v[22:23], v[26:27], v[22:23]
	ds_bpermute_b32 v26, v42, v22
	ds_bpermute_b32 v27, v42, v23
	s_wait_dscnt 0x0
	v_min_i64 v[22:23], v[26:27], v[22:23]
	ds_bpermute_b32 v22, v39, v22
	ds_bpermute_b32 v23, v39, v23
	s_cbranch_vccnz .LBB105_37
; %bb.20:                               ;   in Loop: Header=BB105_7 Depth=1
	s_mul_u64 s[8:9], s[24:25], s[28:29]
	v_add_nc_u64_e32 v[28:29], s[18:19], v[24:25]
	s_lshl_b64 s[8:9], s[8:9], 3
	s_delay_alu instid0(SALU_CYCLE_1) | instskip(SKIP_2) | instid1(SALU_CYCLE_1)
	v_add_nc_u64_e32 v[26:27], s[8:9], v[8:9]
	v_add_nc_u64_e32 v[24:25], s[8:9], v[18:19]
	s_lshl_b64 s[8:9], s[28:29], 3
	s_add_nc_u64 s[8:9], s[22:23], s[8:9]
	global_store_b64 v4, v[28:29], s[8:9]
	s_wait_xcnt 0x0
	s_and_saveexec_b32 s8, s38
	s_cbranch_execz .LBB105_24
; %bb.21:                               ;   in Loop: Header=BB105_7 Depth=1
	s_and_b32 vcc_lo, exec_lo, s33
	s_cbranch_vccz .LBB105_53
; %bb.22:                               ;   in Loop: Header=BB105_7 Depth=1
	ds_load_b64 v[28:29], v44
	v_lshl_add_u64 v[30:31], v[10:11], 3, v[26:27]
	s_wait_dscnt 0x0
	global_store_b64 v[30:31], v[28:29], off
	s_cbranch_execnz .LBB105_24
.LBB105_23:                             ;   in Loop: Header=BB105_7 Depth=1
	s_wait_xcnt 0x0
	ds_load_b64 v[28:29], v44
	s_wait_dscnt 0x0
	global_store_b64 v[24:25], v[28:29], off
.LBB105_24:                             ;   in Loop: Header=BB105_7 Depth=1
	s_wait_xcnt 0x0
	s_or_b32 exec_lo, exec_lo, s8
	s_and_saveexec_b32 s8, s39
	s_cbranch_execz .LBB105_28
; %bb.25:                               ;   in Loop: Header=BB105_7 Depth=1
	ds_load_b64 v[28:29], v44 offset:64
	s_and_not1_b32 vcc_lo, exec_lo, s33
	s_cbranch_vccnz .LBB105_54
; %bb.26:                               ;   in Loop: Header=BB105_7 Depth=1
	v_lshl_add_u64 v[30:31], v[12:13], 3, v[26:27]
	s_wait_dscnt 0x0
	global_store_b64 v[30:31], v[28:29], off
	s_cbranch_execnz .LBB105_28
.LBB105_27:                             ;   in Loop: Header=BB105_7 Depth=1
	s_wait_dscnt 0x0
	global_store_b64 v[24:25], v[28:29], off offset:64
.LBB105_28:                             ;   in Loop: Header=BB105_7 Depth=1
	s_wait_xcnt 0x0
	s_or_b32 exec_lo, exec_lo, s8
	s_and_saveexec_b32 s8, s40
	s_cbranch_execz .LBB105_32
; %bb.29:                               ;   in Loop: Header=BB105_7 Depth=1
	s_wait_dscnt 0x0
	ds_load_b64 v[28:29], v44 offset:128
	s_and_not1_b32 vcc_lo, exec_lo, s33
	s_cbranch_vccnz .LBB105_55
; %bb.30:                               ;   in Loop: Header=BB105_7 Depth=1
	v_lshl_add_u64 v[30:31], v[14:15], 3, v[26:27]
	s_wait_dscnt 0x0
	global_store_b64 v[30:31], v[28:29], off
	s_cbranch_execnz .LBB105_32
.LBB105_31:                             ;   in Loop: Header=BB105_7 Depth=1
	s_wait_dscnt 0x0
	global_store_b64 v[24:25], v[28:29], off offset:128
.LBB105_32:                             ;   in Loop: Header=BB105_7 Depth=1
	s_wait_xcnt 0x0
	s_or_b32 exec_lo, exec_lo, s8
	s_and_saveexec_b32 s8, s41
	s_cbranch_execz .LBB105_36
; %bb.33:                               ;   in Loop: Header=BB105_7 Depth=1
	s_wait_dscnt 0x0
	ds_load_b64 v[28:29], v44 offset:192
	s_and_not1_b32 vcc_lo, exec_lo, s33
	s_cbranch_vccnz .LBB105_56
; %bb.34:                               ;   in Loop: Header=BB105_7 Depth=1
	v_lshl_add_u64 v[26:27], v[16:17], 3, v[26:27]
	s_wait_dscnt 0x0
	global_store_b64 v[26:27], v[28:29], off
	s_cbranch_execnz .LBB105_36
.LBB105_35:                             ;   in Loop: Header=BB105_7 Depth=1
	s_wait_dscnt 0x0
	global_store_b64 v[24:25], v[28:29], off offset:192
.LBB105_36:                             ;   in Loop: Header=BB105_7 Depth=1
	s_wait_xcnt 0x0
	s_or_b32 exec_lo, exec_lo, s8
	s_mov_b64 s[8:9], 1
.LBB105_37:                             ;   in Loop: Header=BB105_7 Depth=1
	s_wait_storecnt_dscnt 0x0
	s_barrier_signal -1
	s_barrier_wait -1
	ds_store_b64 v43, v[20:21]
	s_wait_dscnt 0x0
	s_barrier_signal -1
	s_barrier_wait -1
	s_and_saveexec_b32 s10, s0
	s_cbranch_execz .LBB105_39
; %bb.38:                               ;   in Loop: Header=BB105_7 Depth=1
	ds_load_2addr_stride64_b64 v[24:27], v43 offset1:2
	s_wait_dscnt 0x0
	v_min_i64 v[20:21], v[26:27], v[24:25]
	ds_store_b64 v43, v[20:21]
.LBB105_39:                             ;   in Loop: Header=BB105_7 Depth=1
	s_or_b32 exec_lo, exec_lo, s10
	s_wait_dscnt 0x0
	s_barrier_signal -1
	s_barrier_wait -1
	s_and_saveexec_b32 s10, s1
	s_cbranch_execz .LBB105_41
; %bb.40:                               ;   in Loop: Header=BB105_7 Depth=1
	ds_load_2addr_stride64_b64 v[24:27], v43 offset1:1
	s_wait_dscnt 0x0
	v_min_i64 v[20:21], v[26:27], v[24:25]
	ds_store_b64 v43, v[20:21]
.LBB105_41:                             ;   in Loop: Header=BB105_7 Depth=1
	s_or_b32 exec_lo, exec_lo, s10
	s_wait_dscnt 0x0
	s_barrier_signal -1
	s_barrier_wait -1
	s_and_saveexec_b32 s10, s2
	s_cbranch_execz .LBB105_43
; %bb.42:                               ;   in Loop: Header=BB105_7 Depth=1
	ds_load_2addr_b64 v[24:27], v43 offset1:32
	s_wait_dscnt 0x0
	v_min_i64 v[20:21], v[26:27], v[24:25]
	ds_store_b64 v43, v[20:21]
.LBB105_43:                             ;   in Loop: Header=BB105_7 Depth=1
	s_or_b32 exec_lo, exec_lo, s10
	s_wait_dscnt 0x0
	s_barrier_signal -1
	s_barrier_wait -1
	s_and_saveexec_b32 s10, s3
	s_cbranch_execz .LBB105_45
; %bb.44:                               ;   in Loop: Header=BB105_7 Depth=1
	ds_load_2addr_b64 v[24:27], v43 offset1:16
	s_wait_dscnt 0x0
	v_min_i64 v[20:21], v[26:27], v[24:25]
	ds_store_b64 v43, v[20:21]
.LBB105_45:                             ;   in Loop: Header=BB105_7 Depth=1
	;; [unrolled: 12-line block ×5, first 2 shown]
	s_or_b32 exec_lo, exec_lo, s10
	s_wait_dscnt 0x0
	s_barrier_signal -1
	s_barrier_wait -1
	s_and_saveexec_b32 s10, s7
	s_cbranch_execz .LBB105_6
; %bb.52:                               ;   in Loop: Header=BB105_7 Depth=1
	ds_load_b128 v[24:27], v4
	s_wait_dscnt 0x0
	v_min_i64 v[20:21], v[26:27], v[24:25]
	ds_store_b64 v4, v[20:21]
	s_branch .LBB105_6
.LBB105_53:                             ;   in Loop: Header=BB105_7 Depth=1
	s_branch .LBB105_23
.LBB105_54:                             ;   in Loop: Header=BB105_7 Depth=1
	s_branch .LBB105_27
.LBB105_55:                             ;   in Loop: Header=BB105_7 Depth=1
	s_branch .LBB105_31
.LBB105_56:                             ;   in Loop: Header=BB105_7 Depth=1
	s_branch .LBB105_35
.LBB105_57:
	s_endpgm
	.section	.rodata,"a",@progbits
	.p2align	6, 0x0
	.amdhsa_kernel _ZN9rocsparseL38csr2bsr_block_per_row_multipass_kernelILj256ELj32E21rocsparse_complex_numIfEllEEv20rocsparse_direction_T3_S4_S4_S4_S4_21rocsparse_index_base_PKT1_PKT2_PKS4_S5_PS6_PS9_PS4_
		.amdhsa_group_segment_fixed_size 8196
		.amdhsa_private_segment_fixed_size 0
		.amdhsa_kernarg_size 112
		.amdhsa_user_sgpr_count 2
		.amdhsa_user_sgpr_dispatch_ptr 0
		.amdhsa_user_sgpr_queue_ptr 0
		.amdhsa_user_sgpr_kernarg_segment_ptr 1
		.amdhsa_user_sgpr_dispatch_id 0
		.amdhsa_user_sgpr_kernarg_preload_length 0
		.amdhsa_user_sgpr_kernarg_preload_offset 0
		.amdhsa_user_sgpr_private_segment_size 0
		.amdhsa_wavefront_size32 1
		.amdhsa_uses_dynamic_stack 0
		.amdhsa_enable_private_segment 0
		.amdhsa_system_sgpr_workgroup_id_x 1
		.amdhsa_system_sgpr_workgroup_id_y 0
		.amdhsa_system_sgpr_workgroup_id_z 0
		.amdhsa_system_sgpr_workgroup_info 0
		.amdhsa_system_vgpr_workitem_id 0
		.amdhsa_next_free_vgpr 60
		.amdhsa_next_free_sgpr 54
		.amdhsa_named_barrier_count 0
		.amdhsa_reserve_vcc 1
		.amdhsa_float_round_mode_32 0
		.amdhsa_float_round_mode_16_64 0
		.amdhsa_float_denorm_mode_32 3
		.amdhsa_float_denorm_mode_16_64 3
		.amdhsa_fp16_overflow 0
		.amdhsa_memory_ordered 1
		.amdhsa_forward_progress 1
		.amdhsa_inst_pref_size 22
		.amdhsa_round_robin_scheduling 0
		.amdhsa_exception_fp_ieee_invalid_op 0
		.amdhsa_exception_fp_denorm_src 0
		.amdhsa_exception_fp_ieee_div_zero 0
		.amdhsa_exception_fp_ieee_overflow 0
		.amdhsa_exception_fp_ieee_underflow 0
		.amdhsa_exception_fp_ieee_inexact 0
		.amdhsa_exception_int_div_zero 0
	.end_amdhsa_kernel
	.section	.text._ZN9rocsparseL38csr2bsr_block_per_row_multipass_kernelILj256ELj32E21rocsparse_complex_numIfEllEEv20rocsparse_direction_T3_S4_S4_S4_S4_21rocsparse_index_base_PKT1_PKT2_PKS4_S5_PS6_PS9_PS4_,"axG",@progbits,_ZN9rocsparseL38csr2bsr_block_per_row_multipass_kernelILj256ELj32E21rocsparse_complex_numIfEllEEv20rocsparse_direction_T3_S4_S4_S4_S4_21rocsparse_index_base_PKT1_PKT2_PKS4_S5_PS6_PS9_PS4_,comdat
.Lfunc_end105:
	.size	_ZN9rocsparseL38csr2bsr_block_per_row_multipass_kernelILj256ELj32E21rocsparse_complex_numIfEllEEv20rocsparse_direction_T3_S4_S4_S4_S4_21rocsparse_index_base_PKT1_PKT2_PKS4_S5_PS6_PS9_PS4_, .Lfunc_end105-_ZN9rocsparseL38csr2bsr_block_per_row_multipass_kernelILj256ELj32E21rocsparse_complex_numIfEllEEv20rocsparse_direction_T3_S4_S4_S4_S4_21rocsparse_index_base_PKT1_PKT2_PKS4_S5_PS6_PS9_PS4_
                                        ; -- End function
	.set _ZN9rocsparseL38csr2bsr_block_per_row_multipass_kernelILj256ELj32E21rocsparse_complex_numIfEllEEv20rocsparse_direction_T3_S4_S4_S4_S4_21rocsparse_index_base_PKT1_PKT2_PKS4_S5_PS6_PS9_PS4_.num_vgpr, 60
	.set _ZN9rocsparseL38csr2bsr_block_per_row_multipass_kernelILj256ELj32E21rocsparse_complex_numIfEllEEv20rocsparse_direction_T3_S4_S4_S4_S4_21rocsparse_index_base_PKT1_PKT2_PKS4_S5_PS6_PS9_PS4_.num_agpr, 0
	.set _ZN9rocsparseL38csr2bsr_block_per_row_multipass_kernelILj256ELj32E21rocsparse_complex_numIfEllEEv20rocsparse_direction_T3_S4_S4_S4_S4_21rocsparse_index_base_PKT1_PKT2_PKS4_S5_PS6_PS9_PS4_.numbered_sgpr, 54
	.set _ZN9rocsparseL38csr2bsr_block_per_row_multipass_kernelILj256ELj32E21rocsparse_complex_numIfEllEEv20rocsparse_direction_T3_S4_S4_S4_S4_21rocsparse_index_base_PKT1_PKT2_PKS4_S5_PS6_PS9_PS4_.num_named_barrier, 0
	.set _ZN9rocsparseL38csr2bsr_block_per_row_multipass_kernelILj256ELj32E21rocsparse_complex_numIfEllEEv20rocsparse_direction_T3_S4_S4_S4_S4_21rocsparse_index_base_PKT1_PKT2_PKS4_S5_PS6_PS9_PS4_.private_seg_size, 0
	.set _ZN9rocsparseL38csr2bsr_block_per_row_multipass_kernelILj256ELj32E21rocsparse_complex_numIfEllEEv20rocsparse_direction_T3_S4_S4_S4_S4_21rocsparse_index_base_PKT1_PKT2_PKS4_S5_PS6_PS9_PS4_.uses_vcc, 1
	.set _ZN9rocsparseL38csr2bsr_block_per_row_multipass_kernelILj256ELj32E21rocsparse_complex_numIfEllEEv20rocsparse_direction_T3_S4_S4_S4_S4_21rocsparse_index_base_PKT1_PKT2_PKS4_S5_PS6_PS9_PS4_.uses_flat_scratch, 0
	.set _ZN9rocsparseL38csr2bsr_block_per_row_multipass_kernelILj256ELj32E21rocsparse_complex_numIfEllEEv20rocsparse_direction_T3_S4_S4_S4_S4_21rocsparse_index_base_PKT1_PKT2_PKS4_S5_PS6_PS9_PS4_.has_dyn_sized_stack, 0
	.set _ZN9rocsparseL38csr2bsr_block_per_row_multipass_kernelILj256ELj32E21rocsparse_complex_numIfEllEEv20rocsparse_direction_T3_S4_S4_S4_S4_21rocsparse_index_base_PKT1_PKT2_PKS4_S5_PS6_PS9_PS4_.has_recursion, 0
	.set _ZN9rocsparseL38csr2bsr_block_per_row_multipass_kernelILj256ELj32E21rocsparse_complex_numIfEllEEv20rocsparse_direction_T3_S4_S4_S4_S4_21rocsparse_index_base_PKT1_PKT2_PKS4_S5_PS6_PS9_PS4_.has_indirect_call, 0
	.section	.AMDGPU.csdata,"",@progbits
; Kernel info:
; codeLenInByte = 2792
; TotalNumSgprs: 56
; NumVgprs: 60
; ScratchSize: 0
; MemoryBound: 0
; FloatMode: 240
; IeeeMode: 1
; LDSByteSize: 8196 bytes/workgroup (compile time only)
; SGPRBlocks: 0
; VGPRBlocks: 3
; NumSGPRsForWavesPerEU: 56
; NumVGPRsForWavesPerEU: 60
; NamedBarCnt: 0
; Occupancy: 16
; WaveLimiterHint : 1
; COMPUTE_PGM_RSRC2:SCRATCH_EN: 0
; COMPUTE_PGM_RSRC2:USER_SGPR: 2
; COMPUTE_PGM_RSRC2:TRAP_HANDLER: 0
; COMPUTE_PGM_RSRC2:TGID_X_EN: 1
; COMPUTE_PGM_RSRC2:TGID_Y_EN: 0
; COMPUTE_PGM_RSRC2:TGID_Z_EN: 0
; COMPUTE_PGM_RSRC2:TIDIG_COMP_CNT: 0
	.section	.text._ZN9rocsparseL38csr2bsr_block_per_row_multipass_kernelILj256ELj64E21rocsparse_complex_numIfEllEEv20rocsparse_direction_T3_S4_S4_S4_S4_21rocsparse_index_base_PKT1_PKT2_PKS4_S5_PS6_PS9_PS4_,"axG",@progbits,_ZN9rocsparseL38csr2bsr_block_per_row_multipass_kernelILj256ELj64E21rocsparse_complex_numIfEllEEv20rocsparse_direction_T3_S4_S4_S4_S4_21rocsparse_index_base_PKT1_PKT2_PKS4_S5_PS6_PS9_PS4_,comdat
	.globl	_ZN9rocsparseL38csr2bsr_block_per_row_multipass_kernelILj256ELj64E21rocsparse_complex_numIfEllEEv20rocsparse_direction_T3_S4_S4_S4_S4_21rocsparse_index_base_PKT1_PKT2_PKS4_S5_PS6_PS9_PS4_ ; -- Begin function _ZN9rocsparseL38csr2bsr_block_per_row_multipass_kernelILj256ELj64E21rocsparse_complex_numIfEllEEv20rocsparse_direction_T3_S4_S4_S4_S4_21rocsparse_index_base_PKT1_PKT2_PKS4_S5_PS6_PS9_PS4_
	.p2align	8
	.type	_ZN9rocsparseL38csr2bsr_block_per_row_multipass_kernelILj256ELj64E21rocsparse_complex_numIfEllEEv20rocsparse_direction_T3_S4_S4_S4_S4_21rocsparse_index_base_PKT1_PKT2_PKS4_S5_PS6_PS9_PS4_,@function
_ZN9rocsparseL38csr2bsr_block_per_row_multipass_kernelILj256ELj64E21rocsparse_complex_numIfEllEEv20rocsparse_direction_T3_S4_S4_S4_S4_21rocsparse_index_base_PKT1_PKT2_PKS4_S5_PS6_PS9_PS4_: ; @_ZN9rocsparseL38csr2bsr_block_per_row_multipass_kernelILj256ELj64E21rocsparse_complex_numIfEllEEv20rocsparse_direction_T3_S4_S4_S4_S4_21rocsparse_index_base_PKT1_PKT2_PKS4_S5_PS6_PS9_PS4_
; %bb.0:
	s_clause 0x1
	s_load_b128 s[12:15], s[0:1], 0x20
	s_load_b64 s[2:3], s[0:1], 0x8
	s_bfe_u32 s5, ttmp6, 0x4000c
	s_and_b32 s4, ttmp6, 15
	s_add_co_i32 s5, s5, 1
	s_getreg_b32 s6, hwreg(HW_REG_IB_STS2, 6, 4)
	s_mul_i32 s5, ttmp9, s5
	v_dual_mov_b32 v11, 0 :: v_dual_lshrrev_b32 v10, 2, v0
	s_add_co_i32 s4, s4, s5
	s_cmp_eq_u32 s6, 0
	s_clause 0x1
	s_load_b32 s10, s[0:1], 0x30
	s_load_b64 s[6:7], s[0:1], 0x40
	s_cselect_b32 s4, ttmp9, s4
	v_mov_b64_e32 v[2:3], 0
	s_ashr_i32 s5, s4, 31
	v_mov_b64_e32 v[20:21], 0
	s_mov_b32 s11, 0
	s_wait_kmcnt 0x0
	v_mad_nc_u64_u32 v[4:5], s14, s4, v[10:11]
	s_mul_i32 s8, s14, s5
	s_mul_i32 s9, s15, s4
	s_delay_alu instid0(VALU_DEP_1) | instid1(SALU_CYCLE_1)
	v_add3_u32 v5, s8, s9, v5
	s_delay_alu instid0(VALU_DEP_1) | instskip(SKIP_2) | instid1(SALU_CYCLE_1)
	v_cmp_gt_i64_e32 vcc_lo, s[2:3], v[4:5]
	v_cmp_gt_i64_e64 s2, s[14:15], v[10:11]
	s_and_b32 s3, s2, vcc_lo
	s_and_saveexec_b32 s8, s3
	s_cbranch_execnz .LBB106_3
; %bb.1:
	s_or_b32 exec_lo, exec_lo, s8
	s_and_saveexec_b32 s8, s3
	s_cbranch_execnz .LBB106_4
.LBB106_2:
	s_or_b32 exec_lo, exec_lo, s8
	v_cmp_lt_i64_e64 s3, s[12:13], 1
	s_and_b32 vcc_lo, exec_lo, s3
	s_cbranch_vccz .LBB106_5
	s_branch .LBB106_59
.LBB106_3:
	v_lshl_add_u64 v[6:7], v[4:5], 3, s[6:7]
	global_load_b64 v[6:7], v[6:7], off
	s_wait_loadcnt 0x0
	v_sub_nc_u64_e64 v[20:21], v[6:7], s[10:11]
	s_or_b32 exec_lo, exec_lo, s8
	s_and_saveexec_b32 s8, s3
	s_cbranch_execz .LBB106_2
.LBB106_4:
	v_lshl_add_u64 v[2:3], v[4:5], 3, s[6:7]
	global_load_b64 v[2:3], v[2:3], off offset:8
	s_wait_loadcnt 0x0
	v_sub_nc_u64_e64 v[2:3], v[2:3], s[10:11]
	s_or_b32 exec_lo, exec_lo, s8
	v_cmp_lt_i64_e64 s3, s[12:13], 1
	s_and_b32 vcc_lo, exec_lo, s3
	s_cbranch_vccnz .LBB106_59
.LBB106_5:
	v_mbcnt_lo_u32_b32 v1, -1, 0
	s_clause 0x4
	s_load_b128 s[16:19], s[0:1], 0x58
	s_load_b64 s[24:25], s[0:1], 0x68
	s_load_b96 s[20:22], s[0:1], 0x48
	s_load_b64 s[26:27], s[0:1], 0x38
	s_load_b32 s8, s[0:1], 0x0
	v_cvt_f32_u32_e32 v5, s14
	v_dual_lshlrev_b32 v36, 9, v10 :: v_dual_bitop2_b32 v4, 3, v0 bitop3:0x40
	v_xor_b32_e32 v11, 1, v1
	v_xor_b32_e32 v9, 2, v1
	s_delay_alu instid0(VALU_DEP_4) | instskip(SKIP_2) | instid1(VALU_DEP_3)
	v_rcp_iflag_f32_e32 v7, v5
	v_dual_mov_b32 v6, 0 :: v_dual_lshlrev_b32 v37, 3, v0
	v_lshlrev_b32_e32 v8, 3, v4
	v_cmp_gt_i32_e32 vcc_lo, 32, v9
	s_lshl_b64 s[6:7], s[4:5], 3
	s_delay_alu instid0(VALU_DEP_3)
	v_mov_b32_e32 v5, v6
	v_lshl_or_b32 v38, v1, 2, 12
	v_dual_cndmask_b32 v9, v1, v9, vcc_lo :: v_dual_bitop2_b32 v39, v36, v8 bitop3:0x54
	v_mul_f32_e32 v7, 0x4f7ffffe, v7
	v_cmp_gt_i32_e32 vcc_lo, 32, v11
	s_wait_kmcnt 0x0
	s_add_nc_u64 s[6:7], s[18:19], s[6:7]
	s_mov_b32 s23, 0
	v_lshlrev_b32_e32 v40, 2, v9
	v_cvt_u32_f32_e32 v7, v7
	s_cmp_lg_u32 s8, 0
	s_load_b64 s[6:7], s[6:7], 0x0
	s_cselect_b32 s33, -1, 0
	s_sub_co_i32 s8, 0, s14
	v_cndmask_b32_e32 v1, v1, v11, vcc_lo
	v_mul_lo_u32 v12, s8, v7
	s_mov_b32 s29, s23
	s_mov_b32 s28, s22
	v_mov_b64_e32 v[22:23], 0
	v_mov_b64_e32 v[16:17], 0
	v_cmp_gt_u32_e64 s0, 0x80, v0
	v_cmp_gt_u32_e64 s1, 64, v0
	;; [unrolled: 1-line block ×5, first 2 shown]
	v_lshlrev_b32_e32 v41, 2, v1
	v_mul_hi_u32 v18, v7, v12
	v_cmp_eq_u32_e64 s8, 0, v0
	v_dual_mov_b32 v1, v6 :: v_dual_mov_b32 v9, v6
	v_dual_mov_b32 v11, v6 :: v_dual_bitop2_b32 v12, 32, v8 bitop3:0x54
	s_wait_kmcnt 0x0
	s_sub_nc_u64 s[18:19], s[6:7], s[28:29]
	v_cmp_gt_u32_e64 s6, 4, v0
	v_cmp_gt_u32_e64 s7, 2, v0
	v_dual_lshlrev_b32 v0, 3, v10 :: v_dual_bitop2_b32 v10, 64, v8 bitop3:0x54
	v_dual_mov_b32 v13, v6 :: v_dual_mov_b32 v15, v6
	v_or_b32_e32 v14, 0x60, v8
	v_dual_mov_b32 v42, 1 :: v_dual_add_nc_u32 v43, v7, v18
	s_mov_b32 s11, s23
	s_mov_b64 s[30:31], 0xffffffff
	s_lshl_b64 s[34:35], s[14:15], 3
	s_lshl_b64 s[36:37], s[14:15], 7
	s_ashr_i32 s38, s15, 31
	s_branch .LBB106_7
.LBB106_6:                              ;   in Loop: Header=BB106_7 Depth=1
	s_or_b32 exec_lo, exec_lo, s9
	s_wait_dscnt 0x0
	s_barrier_signal -1
	s_barrier_wait -1
	ds_load_b64 v[22:23], v6
	s_add_nc_u64 s[18:19], s[40:41], s[18:19]
	s_wait_dscnt 0x0
	s_barrier_signal -1
	s_barrier_wait -1
	v_cmp_gt_i64_e32 vcc_lo, s[12:13], v[22:23]
	s_cbranch_vccz .LBB106_59
.LBB106_7:                              ; =>This Loop Header: Depth=1
                                        ;     Child Loop BB106_10 Depth 2
                                        ;     Child Loop BB106_22 Depth 2
	v_add_nc_u64_e32 v[20:21], v[20:21], v[4:5]
	v_mov_b64_e32 v[18:19], s[12:13]
	v_mov_b64_e32 v[34:35], v[2:3]
	s_mov_b32 s42, exec_lo
	ds_store_b8 v6, v6 offset:32768
	ds_store_2addr_b64 v39, v[16:17], v[16:17] offset1:4
	ds_store_2addr_b64 v39, v[16:17], v[16:17] offset0:8 offset1:12
	ds_store_2addr_b64 v39, v[16:17], v[16:17] offset0:16 offset1:20
	;; [unrolled: 1-line block ×7, first 2 shown]
	s_wait_dscnt 0x0
	s_barrier_signal -1
	s_barrier_wait -1
	v_cmpx_lt_i64_e64 v[20:21], v[2:3]
	s_cbranch_execz .LBB106_19
; %bb.8:                                ;   in Loop: Header=BB106_7 Depth=1
	v_mul_u64_e32 v[24:25], s[14:15], v[22:23]
	v_lshlrev_b64_e32 v[18:19], 3, v[20:21]
	v_mov_b64_e32 v[30:31], v[2:3]
	s_mov_b32 s43, 0
	s_delay_alu instid0(VALU_DEP_2)
	v_add_nc_u64_e32 v[26:27], s[26:27], v[18:19]
	v_add_nc_u64_e32 v[28:29], s[20:21], v[18:19]
	v_mov_b64_e32 v[18:19], s[12:13]
	s_branch .LBB106_10
.LBB106_9:                              ;   in Loop: Header=BB106_10 Depth=2
	s_wait_xcnt 0x0
	s_or_b32 exec_lo, exec_lo, s9
	v_add_nc_u64_e32 v[20:21], 4, v[20:21]
	s_xor_b32 s22, vcc_lo, -1
	v_add_nc_u64_e32 v[26:27], 32, v[26:27]
	v_add_nc_u64_e32 v[28:29], 32, v[28:29]
	v_mov_b64_e32 v[30:31], v[34:35]
	s_delay_alu instid0(VALU_DEP_4) | instskip(SKIP_1) | instid1(SALU_CYCLE_1)
	v_cmp_ge_i64_e64 s9, v[20:21], v[2:3]
	s_or_b32 s9, s22, s9
	s_and_b32 s9, exec_lo, s9
	s_delay_alu instid0(SALU_CYCLE_1) | instskip(NEXT) | instid1(SALU_CYCLE_1)
	s_or_b32 s43, s9, s43
	s_and_not1_b32 exec_lo, exec_lo, s43
	s_cbranch_execz .LBB106_18
.LBB106_10:                             ;   Parent Loop BB106_7 Depth=1
                                        ; =>  This Inner Loop Header: Depth=2
	global_load_b64 v[32:33], v[28:29], off
                                        ; implicit-def: $vgpr34_vgpr35
	s_mov_b32 s9, exec_lo
	s_wait_loadcnt 0x0
	v_sub_nc_u64_e64 v[32:33], v[32:33], s[10:11]
	s_delay_alu instid0(VALU_DEP_1) | instskip(SKIP_1) | instid1(VALU_DEP_1)
	v_or_b32_e32 v7, s15, v33
	s_wait_xcnt 0x0
	v_cmpx_ne_u64_e32 0, v[6:7]
	s_xor_b32 s44, exec_lo, s9
	s_cbranch_execz .LBB106_12
; %bb.11:                               ;   in Loop: Header=BB106_10 Depth=2
	s_mov_b32 s39, s38
	v_dual_mov_b32 v47, v6 :: v_dual_ashrrev_i32 v34, 31, v33
	s_add_nc_u64 s[40:41], s[14:15], s[38:39]
	v_mov_b32_e32 v55, v6
	s_xor_b64 s[40:41], s[40:41], s[38:39]
	s_delay_alu instid0(VALU_DEP_2) | instskip(SKIP_3) | instid1(VALU_DEP_1)
	v_mov_b32_e32 v35, v34
	s_cvt_f32_u32 s9, s40
	s_cvt_f32_u32 s22, s41
	s_sub_nc_u64 s[48:49], 0, s[40:41]
	v_add_nc_u64_e32 v[44:45], v[32:33], v[34:35]
	s_delay_alu instid0(SALU_CYCLE_1) | instskip(SKIP_1) | instid1(SALU_CYCLE_2)
	s_fmamk_f32 s9, s22, 0x4f800000, s9
	v_mov_b32_e32 v51, v6
	v_s_rcp_f32 s9, s9
	s_delay_alu instid0(VALU_DEP_2) | instskip(NEXT) | instid1(VALU_DEP_3)
	v_xor_b32_e32 v46, v44, v34
	v_xor_b32_e32 v50, v45, v34
	;; [unrolled: 1-line block ×3, first 2 shown]
	s_delay_alu instid0(TRANS32_DEP_1) | instskip(NEXT) | instid1(SALU_CYCLE_3)
	s_mul_f32 s9, s9, 0x5f7ffffc
	s_mul_f32 s22, s9, 0x2f800000
	s_delay_alu instid0(SALU_CYCLE_3) | instskip(NEXT) | instid1(SALU_CYCLE_3)
	s_trunc_f32 s22, s22
	s_fmamk_f32 s9, s22, 0xcf800000, s9
	s_cvt_u32_f32 s47, s22
	s_delay_alu instid0(SALU_CYCLE_2) | instskip(NEXT) | instid1(SALU_CYCLE_3)
	s_cvt_u32_f32 s46, s9
	s_mul_u64 s[50:51], s[48:49], s[46:47]
	s_delay_alu instid0(SALU_CYCLE_1)
	s_mul_hi_u32 s53, s46, s51
	s_mul_i32 s52, s46, s51
	s_mul_hi_u32 s22, s46, s50
	s_mul_i32 s39, s47, s50
	s_add_nc_u64 s[52:53], s[22:23], s[52:53]
	s_mul_hi_u32 s9, s47, s50
	s_mul_hi_u32 s45, s47, s51
	s_add_co_u32 s22, s52, s39
	s_add_co_ci_u32 s22, s53, s9
	s_mul_i32 s50, s47, s51
	s_add_co_ci_u32 s51, s45, 0
	s_delay_alu instid0(SALU_CYCLE_1) | instskip(NEXT) | instid1(SALU_CYCLE_1)
	s_add_nc_u64 s[50:51], s[22:23], s[50:51]
	s_add_co_u32 s46, s46, s50
	s_cselect_b32 s9, -1, 0
	s_delay_alu instid0(SALU_CYCLE_1) | instskip(SKIP_1) | instid1(SALU_CYCLE_1)
	s_cmp_lg_u32 s9, 0
	s_add_co_ci_u32 s47, s47, s51
	s_mul_u64 s[48:49], s[48:49], s[46:47]
	s_delay_alu instid0(SALU_CYCLE_1)
	s_mul_hi_u32 s51, s46, s49
	s_mul_i32 s50, s46, s49
	s_mul_hi_u32 s22, s46, s48
	s_mul_i32 s39, s47, s48
	s_add_nc_u64 s[50:51], s[22:23], s[50:51]
	s_mul_hi_u32 s9, s47, s48
	s_mul_hi_u32 s45, s47, s49
	s_add_co_u32 s22, s50, s39
	s_add_co_ci_u32 s22, s51, s9
	s_mul_i32 s48, s47, s49
	s_add_co_ci_u32 s49, s45, 0
	s_delay_alu instid0(SALU_CYCLE_1) | instskip(NEXT) | instid1(SALU_CYCLE_1)
	s_add_nc_u64 s[48:49], s[22:23], s[48:49]
	s_add_co_u32 s46, s46, s48
	s_cselect_b32 s9, -1, 0
	v_mul_hi_u32 v54, v46, s46
	s_cmp_lg_u32 s9, 0
	s_add_co_ci_u32 s22, s47, s49
	s_and_b64 s[48:49], s[46:47], s[30:31]
	v_mul_u64_e32 v[48:49], s[22:23], v[46:47]
	v_mul_u64_e32 v[44:45], s[48:49], v[50:51]
	;; [unrolled: 1-line block ×3, first 2 shown]
	s_delay_alu instid0(VALU_DEP_3) | instskip(NEXT) | instid1(VALU_DEP_1)
	v_add_nc_u64_e32 v[48:49], v[54:55], v[48:49]
	v_add_co_u32 v7, vcc_lo, v48, v44
	s_delay_alu instid0(VALU_DEP_2) | instskip(NEXT) | instid1(VALU_DEP_4)
	v_add_co_ci_u32_e32 v54, vcc_lo, v49, v45, vcc_lo
	v_add_co_ci_u32_e32 v53, vcc_lo, 0, v53, vcc_lo
	s_delay_alu instid0(VALU_DEP_1) | instskip(NEXT) | instid1(VALU_DEP_1)
	v_add_nc_u64_e32 v[44:45], v[54:55], v[52:53]
	v_mul_u64_e32 v[48:49], s[40:41], v[44:45]
	s_delay_alu instid0(VALU_DEP_1) | instskip(NEXT) | instid1(VALU_DEP_2)
	v_sub_nc_u32_e32 v7, v50, v49
	v_sub_co_u32 v25, vcc_lo, v46, v48
	s_delay_alu instid0(VALU_DEP_1) | instskip(NEXT) | instid1(VALU_DEP_3)
	v_sub_co_ci_u32_e64 v35, null, v50, v49, vcc_lo
	v_subrev_co_ci_u32_e64 v7, null, s41, v7, vcc_lo
	s_delay_alu instid0(VALU_DEP_3) | instskip(SKIP_1) | instid1(VALU_DEP_3)
	v_sub_co_u32 v33, s9, v25, s40
	v_add_nc_u64_e32 v[48:49], 1, v[44:45]
	v_subrev_co_ci_u32_e64 v7, null, 0, v7, s9
	s_delay_alu instid0(VALU_DEP_3) | instskip(SKIP_1) | instid1(VALU_DEP_3)
	v_cmp_le_u32_e32 vcc_lo, s40, v33
	v_cndmask_b32_e64 v33, 0, -1, vcc_lo
	v_cmp_le_u32_e32 vcc_lo, s41, v7
	v_cndmask_b32_e64 v46, 0, -1, vcc_lo
	;; [unrolled: 2-line block ×4, first 2 shown]
	v_cmp_eq_u32_e32 vcc_lo, s41, v7
	v_cndmask_b32_e32 v7, v46, v33, vcc_lo
	v_cmp_eq_u32_e32 vcc_lo, s41, v35
	v_add_nc_u64_e32 v[46:47], 2, v[44:45]
	v_mov_b32_e32 v35, v34
	v_cndmask_b32_e32 v25, v50, v25, vcc_lo
	v_cmp_ne_u32_e32 vcc_lo, 0, v7
	s_delay_alu instid0(VALU_DEP_2) | instskip(SKIP_1) | instid1(VALU_DEP_1)
	v_cmp_ne_u32_e64 s9, 0, v25
	v_dual_cndmask_b32 v7, v49, v47, vcc_lo :: v_dual_cndmask_b32 v25, v48, v46, vcc_lo
	v_dual_cndmask_b32 v7, v45, v7, s9 :: v_dual_cndmask_b32 v25, v44, v25, s9
	s_delay_alu instid0(VALU_DEP_1) | instskip(NEXT) | instid1(VALU_DEP_2)
	v_xor_b32_e32 v45, v7, v34
	v_xor_b32_e32 v44, v25, v34
	s_delay_alu instid0(VALU_DEP_1)
	v_sub_nc_u64_e32 v[34:35], v[44:45], v[34:35]
.LBB106_12:                             ;   in Loop: Header=BB106_10 Depth=2
	s_and_not1_saveexec_b32 s9, s44
	s_cbranch_execz .LBB106_14
; %bb.13:                               ;   in Loop: Header=BB106_10 Depth=2
	v_mul_hi_u32 v7, v32, v43
	v_mov_b32_e32 v35, v6
	s_delay_alu instid0(VALU_DEP_2) | instskip(NEXT) | instid1(VALU_DEP_1)
	v_mul_lo_u32 v25, v7, s14
	v_dual_add_nc_u32 v33, 1, v7 :: v_dual_sub_nc_u32 v25, v32, v25
	s_delay_alu instid0(VALU_DEP_1) | instskip(SKIP_1) | instid1(VALU_DEP_2)
	v_subrev_nc_u32_e32 v34, s14, v25
	v_cmp_le_u32_e32 vcc_lo, s14, v25
	v_dual_cndmask_b32 v25, v25, v34, vcc_lo :: v_dual_cndmask_b32 v7, v7, v33, vcc_lo
	s_delay_alu instid0(VALU_DEP_1) | instskip(NEXT) | instid1(VALU_DEP_2)
	v_cmp_le_u32_e32 vcc_lo, s14, v25
	v_add_nc_u32_e32 v33, 1, v7
	s_delay_alu instid0(VALU_DEP_1)
	v_cndmask_b32_e32 v34, v7, v33, vcc_lo
.LBB106_14:                             ;   in Loop: Header=BB106_10 Depth=2
	s_or_b32 exec_lo, exec_lo, s9
	s_delay_alu instid0(VALU_DEP_1) | instskip(SKIP_2) | instid1(SALU_CYCLE_1)
	v_cmp_ne_u64_e64 s9, v[34:35], v[22:23]
	v_cmp_eq_u64_e32 vcc_lo, v[34:35], v[22:23]
	s_and_saveexec_b32 s22, s9
	s_xor_b32 s9, exec_lo, s22
; %bb.15:                               ;   in Loop: Header=BB106_10 Depth=2
	v_min_i64 v[18:19], v[34:35], v[18:19]
                                        ; implicit-def: $vgpr32_vgpr33
                                        ; implicit-def: $vgpr30_vgpr31
; %bb.16:                               ;   in Loop: Header=BB106_10 Depth=2
	s_or_saveexec_b32 s9, s9
	v_mov_b64_e32 v[34:35], v[20:21]
	s_xor_b32 exec_lo, exec_lo, s9
	s_cbranch_execz .LBB106_9
; %bb.17:                               ;   in Loop: Header=BB106_10 Depth=2
	global_load_b64 v[44:45], v[26:27], off
	v_sub_nc_u32_e32 v7, v32, v24
	v_mov_b64_e32 v[34:35], v[30:31]
	s_delay_alu instid0(VALU_DEP_2)
	v_lshl_add_u32 v7, v7, 3, v36
	ds_store_b8 v6, v42 offset:32768
	s_wait_loadcnt 0x0
	ds_store_b64 v7, v[44:45]
	s_branch .LBB106_9
.LBB106_18:                             ;   in Loop: Header=BB106_7 Depth=1
	s_or_b32 exec_lo, exec_lo, s43
.LBB106_19:                             ;   in Loop: Header=BB106_7 Depth=1
	s_delay_alu instid0(SALU_CYCLE_1)
	s_or_b32 exec_lo, exec_lo, s42
	ds_bpermute_b32 v20, v40, v34
	ds_bpermute_b32 v21, v40, v35
	s_wait_dscnt 0x0
	s_barrier_signal -1
	s_barrier_wait -1
	ds_load_u8 v7, v6 offset:32768
	s_mov_b64 s[40:41], 0
	v_min_i64 v[20:21], v[20:21], v[34:35]
	s_wait_dscnt 0x0
	v_and_b32_e32 v7, 1, v7
	s_delay_alu instid0(VALU_DEP_1)
	v_cmp_eq_u32_e32 vcc_lo, 0, v7
	s_and_b32 vcc_lo, exec_lo, vcc_lo
	ds_bpermute_b32 v24, v41, v20
	ds_bpermute_b32 v25, v41, v21
	s_wait_dscnt 0x0
	v_min_i64 v[20:21], v[24:25], v[20:21]
	ds_bpermute_b32 v20, v38, v20
	ds_bpermute_b32 v21, v38, v21
	s_cbranch_vccnz .LBB106_43
; %bb.20:                               ;   in Loop: Header=BB106_7 Depth=1
	s_mul_u64 s[40:41], s[34:35], s[18:19]
	v_add_nc_u64_e32 v[22:23], s[28:29], v[22:23]
	v_add_nc_u64_e32 v[34:35], s[40:41], v[10:11]
	;; [unrolled: 1-line block ×6, first 2 shown]
	s_lshl_b64 s[40:41], s[18:19], 3
	s_delay_alu instid0(SALU_CYCLE_1)
	s_add_nc_u64 s[42:43], s[24:25], s[40:41]
	v_mad_nc_u64_u32 v[24:25], s14, v34, v[0:1]
	v_mad_nc_u64_u32 v[26:27], s14, v44, v[0:1]
	;; [unrolled: 1-line block ×5, first 2 shown]
	s_mov_b64 s[40:41], 0
	global_store_b64 v6, v[22:23], s[42:43]
	v_mad_u32 v7, s15, v34, v25
	v_mad_u32 v27, s15, v44, v27
	;; [unrolled: 1-line block ×10, first 2 shown]
	v_mov_b32_e32 v7, v39
	s_branch .LBB106_22
.LBB106_21:                             ;   in Loop: Header=BB106_22 Depth=2
	s_wait_xcnt 0x0
	s_or_b32 exec_lo, exec_lo, s9
	v_add_nc_u64_e32 v[24:25], s[36:37], v[24:25]
	v_add_nc_u64_e32 v[26:27], s[36:37], v[26:27]
	;; [unrolled: 1-line block ×5, first 2 shown]
	s_add_nc_u64 s[40:41], s[40:41], 16
	v_add_nc_u32_e32 v7, 0x80, v7
	s_add_co_i32 s9, s40, -4
	s_delay_alu instid0(SALU_CYCLE_1)
	s_cmp_lt_u32 s9, 60
	s_cbranch_scc0 .LBB106_42
.LBB106_22:                             ;   Parent Loop BB106_7 Depth=1
                                        ; =>  This Inner Loop Header: Depth=2
	s_wait_xcnt 0x0
	s_wait_dscnt 0x0
	v_add_nc_u64_e32 v[22:23], s[40:41], v[4:5]
	s_delay_alu instid0(VALU_DEP_1) | instskip(SKIP_1) | instid1(SALU_CYCLE_1)
	v_cmp_gt_i64_e32 vcc_lo, s[14:15], v[22:23]
	s_and_b32 s22, s2, vcc_lo
	s_and_saveexec_b32 s9, s22
	s_cbranch_execz .LBB106_26
; %bb.23:                               ;   in Loop: Header=BB106_22 Depth=2
	ds_load_b64 v[34:35], v7
	s_and_b32 vcc_lo, exec_lo, s33
	s_cbranch_vccz .LBB106_37
; %bb.24:                               ;   in Loop: Header=BB106_22 Depth=2
	v_add_nc_u64_e32 v[44:45], s[16:17], v[28:29]
	s_wait_dscnt 0x0
	global_store_b64 v[44:45], v[34:35], off
	s_cbranch_execnz .LBB106_26
.LBB106_25:                             ;   in Loop: Header=BB106_22 Depth=2
	s_wait_xcnt 0x0
	v_add_nc_u64_e32 v[44:45], s[16:17], v[30:31]
	s_wait_dscnt 0x0
	global_store_b64 v[44:45], v[34:35], off
.LBB106_26:                             ;   in Loop: Header=BB106_22 Depth=2
	s_wait_xcnt 0x0
	s_or_b32 exec_lo, exec_lo, s9
	s_wait_dscnt 0x0
	v_add_nc_u64_e32 v[34:35], 4, v[22:23]
	s_delay_alu instid0(VALU_DEP_1) | instskip(SKIP_1) | instid1(SALU_CYCLE_1)
	v_cmp_gt_i64_e32 vcc_lo, s[14:15], v[34:35]
	s_and_b32 s22, s2, vcc_lo
	s_and_saveexec_b32 s9, s22
	s_cbranch_execz .LBB106_30
; %bb.27:                               ;   in Loop: Header=BB106_22 Depth=2
	ds_load_b64 v[34:35], v7 offset:32
	s_and_not1_b32 vcc_lo, exec_lo, s33
	s_cbranch_vccnz .LBB106_38
; %bb.28:                               ;   in Loop: Header=BB106_22 Depth=2
	v_add_nc_u64_e32 v[44:45], s[16:17], v[26:27]
	s_wait_dscnt 0x0
	global_store_b64 v[44:45], v[34:35], off
	s_cbranch_execnz .LBB106_30
.LBB106_29:                             ;   in Loop: Header=BB106_22 Depth=2
	s_wait_xcnt 0x0
	v_add_nc_u64_e32 v[44:45], s[16:17], v[30:31]
	s_wait_dscnt 0x0
	global_store_b64 v[44:45], v[34:35], off offset:32
.LBB106_30:                             ;   in Loop: Header=BB106_22 Depth=2
	s_wait_xcnt 0x0
	s_or_b32 exec_lo, exec_lo, s9
	s_wait_dscnt 0x0
	v_add_nc_u64_e32 v[34:35], 8, v[22:23]
	s_delay_alu instid0(VALU_DEP_1) | instskip(SKIP_1) | instid1(SALU_CYCLE_1)
	v_cmp_gt_i64_e32 vcc_lo, s[14:15], v[34:35]
	s_and_b32 s22, s2, vcc_lo
	s_and_saveexec_b32 s9, s22
	s_cbranch_execz .LBB106_34
; %bb.31:                               ;   in Loop: Header=BB106_22 Depth=2
	ds_load_b64 v[34:35], v7 offset:64
	s_and_not1_b32 vcc_lo, exec_lo, s33
	s_cbranch_vccnz .LBB106_39
; %bb.32:                               ;   in Loop: Header=BB106_22 Depth=2
	v_add_nc_u64_e32 v[44:45], s[16:17], v[24:25]
	s_wait_dscnt 0x0
	global_store_b64 v[44:45], v[34:35], off
	s_cbranch_execnz .LBB106_34
.LBB106_33:                             ;   in Loop: Header=BB106_22 Depth=2
	s_wait_xcnt 0x0
	v_add_nc_u64_e32 v[44:45], s[16:17], v[30:31]
	s_wait_dscnt 0x0
	global_store_b64 v[44:45], v[34:35], off offset:64
.LBB106_34:                             ;   in Loop: Header=BB106_22 Depth=2
	s_wait_xcnt 0x0
	s_or_b32 exec_lo, exec_lo, s9
	v_add_nc_u64_e32 v[22:23], 12, v[22:23]
	s_delay_alu instid0(VALU_DEP_1) | instskip(SKIP_1) | instid1(SALU_CYCLE_1)
	v_cmp_gt_i64_e32 vcc_lo, s[14:15], v[22:23]
	s_and_b32 s22, s2, vcc_lo
	s_and_saveexec_b32 s9, s22
	s_cbranch_execz .LBB106_21
; %bb.35:                               ;   in Loop: Header=BB106_22 Depth=2
	ds_load_b64 v[22:23], v7 offset:96
	s_and_not1_b32 vcc_lo, exec_lo, s33
	s_cbranch_vccnz .LBB106_40
; %bb.36:                               ;   in Loop: Header=BB106_22 Depth=2
	s_wait_dscnt 0x1
	v_add_nc_u64_e32 v[34:35], s[16:17], v[32:33]
	s_wait_dscnt 0x0
	global_store_b64 v[34:35], v[22:23], off
	s_cbranch_execnz .LBB106_21
	s_branch .LBB106_41
.LBB106_37:                             ;   in Loop: Header=BB106_22 Depth=2
	s_branch .LBB106_25
.LBB106_38:                             ;   in Loop: Header=BB106_22 Depth=2
	s_branch .LBB106_29
.LBB106_39:                             ;   in Loop: Header=BB106_22 Depth=2
	s_branch .LBB106_33
.LBB106_40:                             ;   in Loop: Header=BB106_22 Depth=2
.LBB106_41:                             ;   in Loop: Header=BB106_22 Depth=2
	s_wait_dscnt 0x1
	s_wait_xcnt 0x0
	v_add_nc_u64_e32 v[34:35], s[16:17], v[30:31]
	s_wait_dscnt 0x0
	global_store_b64 v[34:35], v[22:23], off offset:96
	s_branch .LBB106_21
.LBB106_42:                             ;   in Loop: Header=BB106_7 Depth=1
	s_mov_b64 s[40:41], 1
.LBB106_43:                             ;   in Loop: Header=BB106_7 Depth=1
	s_wait_storecnt_dscnt 0x0
	s_barrier_signal -1
	s_barrier_wait -1
	ds_store_b64 v37, v[18:19]
	s_wait_dscnt 0x0
	s_barrier_signal -1
	s_barrier_wait -1
	s_and_saveexec_b32 s9, s0
	s_cbranch_execz .LBB106_45
; %bb.44:                               ;   in Loop: Header=BB106_7 Depth=1
	ds_load_2addr_stride64_b64 v[22:25], v37 offset1:2
	s_wait_dscnt 0x0
	v_min_i64 v[18:19], v[24:25], v[22:23]
	ds_store_b64 v37, v[18:19]
.LBB106_45:                             ;   in Loop: Header=BB106_7 Depth=1
	s_or_b32 exec_lo, exec_lo, s9
	s_wait_dscnt 0x0
	s_barrier_signal -1
	s_barrier_wait -1
	s_and_saveexec_b32 s9, s1
	s_cbranch_execz .LBB106_47
; %bb.46:                               ;   in Loop: Header=BB106_7 Depth=1
	ds_load_2addr_stride64_b64 v[22:25], v37 offset1:1
	s_wait_dscnt 0x0
	v_min_i64 v[18:19], v[24:25], v[22:23]
	ds_store_b64 v37, v[18:19]
.LBB106_47:                             ;   in Loop: Header=BB106_7 Depth=1
	s_or_b32 exec_lo, exec_lo, s9
	s_wait_dscnt 0x0
	s_barrier_signal -1
	s_barrier_wait -1
	s_and_saveexec_b32 s9, s3
	s_cbranch_execz .LBB106_49
; %bb.48:                               ;   in Loop: Header=BB106_7 Depth=1
	ds_load_2addr_b64 v[22:25], v37 offset1:32
	s_wait_dscnt 0x0
	v_min_i64 v[18:19], v[24:25], v[22:23]
	ds_store_b64 v37, v[18:19]
.LBB106_49:                             ;   in Loop: Header=BB106_7 Depth=1
	s_or_b32 exec_lo, exec_lo, s9
	s_wait_dscnt 0x0
	s_barrier_signal -1
	s_barrier_wait -1
	s_and_saveexec_b32 s9, s4
	s_cbranch_execz .LBB106_51
; %bb.50:                               ;   in Loop: Header=BB106_7 Depth=1
	ds_load_2addr_b64 v[22:25], v37 offset1:16
	s_wait_dscnt 0x0
	v_min_i64 v[18:19], v[24:25], v[22:23]
	ds_store_b64 v37, v[18:19]
.LBB106_51:                             ;   in Loop: Header=BB106_7 Depth=1
	;; [unrolled: 12-line block ×5, first 2 shown]
	s_or_b32 exec_lo, exec_lo, s9
	s_wait_dscnt 0x0
	s_barrier_signal -1
	s_barrier_wait -1
	s_and_saveexec_b32 s9, s8
	s_cbranch_execz .LBB106_6
; %bb.58:                               ;   in Loop: Header=BB106_7 Depth=1
	ds_load_b128 v[22:25], v6
	s_wait_dscnt 0x0
	v_min_i64 v[18:19], v[24:25], v[22:23]
	ds_store_b64 v6, v[18:19]
	s_branch .LBB106_6
.LBB106_59:
	s_endpgm
	.section	.rodata,"a",@progbits
	.p2align	6, 0x0
	.amdhsa_kernel _ZN9rocsparseL38csr2bsr_block_per_row_multipass_kernelILj256ELj64E21rocsparse_complex_numIfEllEEv20rocsparse_direction_T3_S4_S4_S4_S4_21rocsparse_index_base_PKT1_PKT2_PKS4_S5_PS6_PS9_PS4_
		.amdhsa_group_segment_fixed_size 32772
		.amdhsa_private_segment_fixed_size 0
		.amdhsa_kernarg_size 112
		.amdhsa_user_sgpr_count 2
		.amdhsa_user_sgpr_dispatch_ptr 0
		.amdhsa_user_sgpr_queue_ptr 0
		.amdhsa_user_sgpr_kernarg_segment_ptr 1
		.amdhsa_user_sgpr_dispatch_id 0
		.amdhsa_user_sgpr_kernarg_preload_length 0
		.amdhsa_user_sgpr_kernarg_preload_offset 0
		.amdhsa_user_sgpr_private_segment_size 0
		.amdhsa_wavefront_size32 1
		.amdhsa_uses_dynamic_stack 0
		.amdhsa_enable_private_segment 0
		.amdhsa_system_sgpr_workgroup_id_x 1
		.amdhsa_system_sgpr_workgroup_id_y 0
		.amdhsa_system_sgpr_workgroup_id_z 0
		.amdhsa_system_sgpr_workgroup_info 0
		.amdhsa_system_vgpr_workitem_id 0
		.amdhsa_next_free_vgpr 56
		.amdhsa_next_free_sgpr 54
		.amdhsa_named_barrier_count 0
		.amdhsa_reserve_vcc 1
		.amdhsa_float_round_mode_32 0
		.amdhsa_float_round_mode_16_64 0
		.amdhsa_float_denorm_mode_32 3
		.amdhsa_float_denorm_mode_16_64 3
		.amdhsa_fp16_overflow 0
		.amdhsa_memory_ordered 1
		.amdhsa_forward_progress 1
		.amdhsa_inst_pref_size 24
		.amdhsa_round_robin_scheduling 0
		.amdhsa_exception_fp_ieee_invalid_op 0
		.amdhsa_exception_fp_denorm_src 0
		.amdhsa_exception_fp_ieee_div_zero 0
		.amdhsa_exception_fp_ieee_overflow 0
		.amdhsa_exception_fp_ieee_underflow 0
		.amdhsa_exception_fp_ieee_inexact 0
		.amdhsa_exception_int_div_zero 0
	.end_amdhsa_kernel
	.section	.text._ZN9rocsparseL38csr2bsr_block_per_row_multipass_kernelILj256ELj64E21rocsparse_complex_numIfEllEEv20rocsparse_direction_T3_S4_S4_S4_S4_21rocsparse_index_base_PKT1_PKT2_PKS4_S5_PS6_PS9_PS4_,"axG",@progbits,_ZN9rocsparseL38csr2bsr_block_per_row_multipass_kernelILj256ELj64E21rocsparse_complex_numIfEllEEv20rocsparse_direction_T3_S4_S4_S4_S4_21rocsparse_index_base_PKT1_PKT2_PKS4_S5_PS6_PS9_PS4_,comdat
.Lfunc_end106:
	.size	_ZN9rocsparseL38csr2bsr_block_per_row_multipass_kernelILj256ELj64E21rocsparse_complex_numIfEllEEv20rocsparse_direction_T3_S4_S4_S4_S4_21rocsparse_index_base_PKT1_PKT2_PKS4_S5_PS6_PS9_PS4_, .Lfunc_end106-_ZN9rocsparseL38csr2bsr_block_per_row_multipass_kernelILj256ELj64E21rocsparse_complex_numIfEllEEv20rocsparse_direction_T3_S4_S4_S4_S4_21rocsparse_index_base_PKT1_PKT2_PKS4_S5_PS6_PS9_PS4_
                                        ; -- End function
	.set _ZN9rocsparseL38csr2bsr_block_per_row_multipass_kernelILj256ELj64E21rocsparse_complex_numIfEllEEv20rocsparse_direction_T3_S4_S4_S4_S4_21rocsparse_index_base_PKT1_PKT2_PKS4_S5_PS6_PS9_PS4_.num_vgpr, 56
	.set _ZN9rocsparseL38csr2bsr_block_per_row_multipass_kernelILj256ELj64E21rocsparse_complex_numIfEllEEv20rocsparse_direction_T3_S4_S4_S4_S4_21rocsparse_index_base_PKT1_PKT2_PKS4_S5_PS6_PS9_PS4_.num_agpr, 0
	.set _ZN9rocsparseL38csr2bsr_block_per_row_multipass_kernelILj256ELj64E21rocsparse_complex_numIfEllEEv20rocsparse_direction_T3_S4_S4_S4_S4_21rocsparse_index_base_PKT1_PKT2_PKS4_S5_PS6_PS9_PS4_.numbered_sgpr, 54
	.set _ZN9rocsparseL38csr2bsr_block_per_row_multipass_kernelILj256ELj64E21rocsparse_complex_numIfEllEEv20rocsparse_direction_T3_S4_S4_S4_S4_21rocsparse_index_base_PKT1_PKT2_PKS4_S5_PS6_PS9_PS4_.num_named_barrier, 0
	.set _ZN9rocsparseL38csr2bsr_block_per_row_multipass_kernelILj256ELj64E21rocsparse_complex_numIfEllEEv20rocsparse_direction_T3_S4_S4_S4_S4_21rocsparse_index_base_PKT1_PKT2_PKS4_S5_PS6_PS9_PS4_.private_seg_size, 0
	.set _ZN9rocsparseL38csr2bsr_block_per_row_multipass_kernelILj256ELj64E21rocsparse_complex_numIfEllEEv20rocsparse_direction_T3_S4_S4_S4_S4_21rocsparse_index_base_PKT1_PKT2_PKS4_S5_PS6_PS9_PS4_.uses_vcc, 1
	.set _ZN9rocsparseL38csr2bsr_block_per_row_multipass_kernelILj256ELj64E21rocsparse_complex_numIfEllEEv20rocsparse_direction_T3_S4_S4_S4_S4_21rocsparse_index_base_PKT1_PKT2_PKS4_S5_PS6_PS9_PS4_.uses_flat_scratch, 0
	.set _ZN9rocsparseL38csr2bsr_block_per_row_multipass_kernelILj256ELj64E21rocsparse_complex_numIfEllEEv20rocsparse_direction_T3_S4_S4_S4_S4_21rocsparse_index_base_PKT1_PKT2_PKS4_S5_PS6_PS9_PS4_.has_dyn_sized_stack, 0
	.set _ZN9rocsparseL38csr2bsr_block_per_row_multipass_kernelILj256ELj64E21rocsparse_complex_numIfEllEEv20rocsparse_direction_T3_S4_S4_S4_S4_21rocsparse_index_base_PKT1_PKT2_PKS4_S5_PS6_PS9_PS4_.has_recursion, 0
	.set _ZN9rocsparseL38csr2bsr_block_per_row_multipass_kernelILj256ELj64E21rocsparse_complex_numIfEllEEv20rocsparse_direction_T3_S4_S4_S4_S4_21rocsparse_index_base_PKT1_PKT2_PKS4_S5_PS6_PS9_PS4_.has_indirect_call, 0
	.section	.AMDGPU.csdata,"",@progbits
; Kernel info:
; codeLenInByte = 2980
; TotalNumSgprs: 56
; NumVgprs: 56
; ScratchSize: 0
; MemoryBound: 0
; FloatMode: 240
; IeeeMode: 1
; LDSByteSize: 32772 bytes/workgroup (compile time only)
; SGPRBlocks: 0
; VGPRBlocks: 3
; NumSGPRsForWavesPerEU: 56
; NumVGPRsForWavesPerEU: 56
; NamedBarCnt: 0
; Occupancy: 16
; WaveLimiterHint : 1
; COMPUTE_PGM_RSRC2:SCRATCH_EN: 0
; COMPUTE_PGM_RSRC2:USER_SGPR: 2
; COMPUTE_PGM_RSRC2:TRAP_HANDLER: 0
; COMPUTE_PGM_RSRC2:TGID_X_EN: 1
; COMPUTE_PGM_RSRC2:TGID_Y_EN: 0
; COMPUTE_PGM_RSRC2:TGID_Z_EN: 0
; COMPUTE_PGM_RSRC2:TIDIG_COMP_CNT: 0
	.section	.text._ZN9rocsparseL21csr2bsr_65_inf_kernelILj32E21rocsparse_complex_numIfEllEEv20rocsparse_direction_T2_S4_S4_S4_S4_S4_21rocsparse_index_base_PKT0_PKT1_PKS4_S5_PS6_PS9_PS4_SF_SG_SE_,"axG",@progbits,_ZN9rocsparseL21csr2bsr_65_inf_kernelILj32E21rocsparse_complex_numIfEllEEv20rocsparse_direction_T2_S4_S4_S4_S4_S4_21rocsparse_index_base_PKT0_PKT1_PKS4_S5_PS6_PS9_PS4_SF_SG_SE_,comdat
	.globl	_ZN9rocsparseL21csr2bsr_65_inf_kernelILj32E21rocsparse_complex_numIfEllEEv20rocsparse_direction_T2_S4_S4_S4_S4_S4_21rocsparse_index_base_PKT0_PKT1_PKS4_S5_PS6_PS9_PS4_SF_SG_SE_ ; -- Begin function _ZN9rocsparseL21csr2bsr_65_inf_kernelILj32E21rocsparse_complex_numIfEllEEv20rocsparse_direction_T2_S4_S4_S4_S4_S4_21rocsparse_index_base_PKT0_PKT1_PKS4_S5_PS6_PS9_PS4_SF_SG_SE_
	.p2align	8
	.type	_ZN9rocsparseL21csr2bsr_65_inf_kernelILj32E21rocsparse_complex_numIfEllEEv20rocsparse_direction_T2_S4_S4_S4_S4_S4_21rocsparse_index_base_PKT0_PKT1_PKS4_S5_PS6_PS9_PS4_SF_SG_SE_,@function
_ZN9rocsparseL21csr2bsr_65_inf_kernelILj32E21rocsparse_complex_numIfEllEEv20rocsparse_direction_T2_S4_S4_S4_S4_S4_21rocsparse_index_base_PKT0_PKT1_PKS4_S5_PS6_PS9_PS4_SF_SG_SE_: ; @_ZN9rocsparseL21csr2bsr_65_inf_kernelILj32E21rocsparse_complex_numIfEllEEv20rocsparse_direction_T2_S4_S4_S4_S4_S4_21rocsparse_index_base_PKT0_PKT1_PKS4_S5_PS6_PS9_PS4_SF_SG_SE_
; %bb.0:
	s_clause 0x1
	s_load_b64 s[8:9], s[0:1], 0x18
	s_load_b128 s[4:7], s[0:1], 0x8
	s_bfe_u32 s10, ttmp6, 0x4000c
	s_clause 0x1
	s_load_b64 s[2:3], s[0:1], 0x78
	s_load_b32 s12, s[0:1], 0x58
	s_add_co_i32 s10, s10, 1
	s_and_b32 s11, ttmp6, 15
	s_mul_i32 s10, ttmp9, s10
	s_getreg_b32 s13, hwreg(HW_REG_IB_STS2, 6, 4)
	s_add_co_i32 s11, s11, s10
	s_cmp_eq_u32 s13, 0
	s_mov_b32 s21, 0
	s_cselect_b32 s20, ttmp9, s11
	s_mov_b64 s[22:23], 0
	s_wait_kmcnt 0x0
	v_cmp_le_i64_e64 s8, s[8:9], s[20:21]
	s_and_b32 vcc_lo, exec_lo, s8
	s_cbranch_vccnz .LBB107_2
; %bb.1:
	s_load_b64 s[8:9], s[0:1], 0x68
	s_lshl_b64 s[10:11], s[20:21], 3
	s_mov_b32 s13, s21
	s_wait_kmcnt 0x0
	s_add_nc_u64 s[8:9], s[8:9], s[10:11]
	s_load_b64 s[8:9], s[8:9], 0x0
	s_wait_kmcnt 0x0
	s_sub_nc_u64 s[22:23], s[8:9], s[12:13]
.LBB107_2:
	s_clause 0x1
	s_load_b128 s[8:11], s[0:1], 0x28
	s_load_b32 s14, s[0:1], 0x38
	v_mov_b32_e32 v1, 0
	s_wait_kmcnt 0x0
	s_delay_alu instid0(VALU_DEP_1)
	v_mul_u64_e32 v[2:3], s[10:11], v[0:1]
	s_mul_u64 s[16:17], s[20:21], s[10:11]
	s_lshl_b64 s[18:19], s[10:11], 8
	s_lshl_b64 s[16:17], s[16:17], 9
	v_cmp_lt_i64_e64 s13, s[10:11], 1
	s_add_nc_u64 s[2:3], s[2:3], s[16:17]
	v_cmp_gt_i64_e64 s33, s[10:11], 0
	s_add_nc_u64 s[16:17], s[2:3], s[18:19]
	s_and_b32 vcc_lo, exec_lo, s13
	v_lshlrev_b64_e32 v[8:9], 3, v[2:3]
	s_delay_alu instid0(VALU_DEP_1)
	v_add_nc_u64_e32 v[2:3], s[2:3], v[8:9]
	v_add_nc_u64_e32 v[4:5], s[16:17], v[8:9]
	s_cbranch_vccnz .LBB107_7
; %bb.3:
	s_load_b64 s[2:3], s[0:1], 0x48
	s_mul_u64 s[16:17], s[8:9], s[20:21]
	s_delay_alu instid0(VALU_DEP_1)
	v_mov_b64_e32 v[12:13], v[4:5]
	v_add_nc_u64_e32 v[6:7], s[16:17], v[0:1]
	v_mov_b64_e32 v[14:15], v[0:1]
	v_mov_b64_e32 v[16:17], v[2:3]
	s_mov_b32 s15, 0
	s_mov_b64 s[18:19], s[10:11]
	s_wait_kmcnt 0x0
	s_delay_alu instid0(VALU_DEP_3) | instskip(SKIP_1) | instid1(VALU_DEP_2)
	v_lshl_add_u64 v[10:11], v[6:7], 3, s[2:3]
	v_mov_b64_e32 v[6:7], 0
	v_add_nc_u64_e32 v[10:11], 8, v[10:11]
	s_branch .LBB107_5
.LBB107_4:                              ;   in Loop: Header=BB107_5 Depth=1
	s_wait_xcnt 0x0
	s_or_b32 exec_lo, exec_lo, s2
	v_add_nc_u64_e32 v[16:17], 8, v[16:17]
	v_add_nc_u64_e32 v[10:11], 0x100, v[10:11]
	;; [unrolled: 1-line block ×4, first 2 shown]
	s_add_nc_u64 s[18:19], s[18:19], -1
	s_delay_alu instid0(SALU_CYCLE_1)
	s_cmp_eq_u64 s[18:19], 0
	s_cbranch_scc1 .LBB107_7
.LBB107_5:                              ; =>This Inner Loop Header: Depth=1
	s_delay_alu instid0(VALU_DEP_2)
	v_add_nc_u64_e32 v[18:19], s[16:17], v[14:15]
	v_cmp_gt_i64_e64 s2, s[8:9], v[14:15]
	global_store_b64 v[16:17], v[6:7], off
	global_store_b64 v[12:13], v[6:7], off
	v_cmp_gt_i64_e32 vcc_lo, s[4:5], v[18:19]
	s_and_b32 s3, vcc_lo, s2
	s_wait_xcnt 0x0
	s_and_saveexec_b32 s2, s3
	s_cbranch_execz .LBB107_4
; %bb.6:                                ;   in Loop: Header=BB107_5 Depth=1
	global_load_b128 v[18:21], v[10:11], off offset:-8
	s_wait_loadcnt 0x0
	v_sub_nc_u64_e64 v[18:19], v[18:19], s[14:15]
	v_sub_nc_u64_e64 v[20:21], v[20:21], s[14:15]
	global_store_b64 v[16:17], v[18:19], off
	global_store_b64 v[12:13], v[20:21], off
	s_branch .LBB107_4
.LBB107_7:
	v_cmp_lt_i64_e64 s2, s[6:7], 1
	s_and_b32 vcc_lo, exec_lo, s2
	s_cbranch_vccnz .LBB107_52
; %bb.8:
	v_mbcnt_lo_u32_b32 v10, -1, 0
	s_clause 0x5
	s_load_b128 s[24:27], s[0:1], 0x80
	s_load_b64 s[28:29], s[0:1], 0x70
	s_load_b64 s[2:3], s[0:1], 0x60
	;; [unrolled: 1-line block ×4, first 2 shown]
	s_load_b32 s18, s[0:1], 0x0
	s_lshl_b64 s[30:31], s[10:11], 5
	v_mov_b64_e32 v[20:21], 0
	v_xor_b32_e32 v15, 1, v10
	v_xor_b32_e32 v13, 2, v10
	;; [unrolled: 1-line block ×5, first 2 shown]
	s_wait_xcnt 0x0
	s_mul_u64 s[0:1], s[30:31], s[20:21]
	v_mov_b64_e32 v[18:19], 0
	s_lshl_b64 s[0:1], s[0:1], 3
	v_mov_b64_e32 v[16:17], 0
	v_cmp_gt_i32_e32 vcc_lo, 32, v6
	v_mov_b32_e32 v45, 0x7c
	s_mov_b32 s19, 0
	s_mov_b32 s40, 0
	;; [unrolled: 1-line block ×3, first 2 shown]
	v_cndmask_b32_e32 v14, v10, v6, vcc_lo
	v_cmp_gt_i32_e32 vcc_lo, 32, v11
	s_wait_kmcnt 0x0
	s_add_nc_u64 s[20:21], s[24:25], s[0:1]
	s_add_nc_u64 s[0:1], s[26:27], s[0:1]
	v_add_nc_u64_e32 v[6:7], s[20:21], v[8:9]
	v_add_nc_u64_e32 v[8:9], s[0:1], v[8:9]
	v_cndmask_b32_e32 v11, v10, v11, vcc_lo
	v_cmp_gt_i32_e32 vcc_lo, 32, v12
	v_cmp_eq_u32_e64 s0, 31, v0
	s_lshl_b64 s[20:21], s[22:23], 3
	s_cmp_lg_u32 s18, 0
	v_dual_cndmask_b32 v12, v10, v12 :: v_dual_lshlrev_b32 v41, 2, v11
	v_cmp_gt_i32_e32 vcc_lo, 32, v13
	s_mov_b32 s13, s19
	s_add_nc_u64 s[20:21], s[28:29], s[20:21]
	s_cselect_b32 s38, -1, 0
	v_dual_cndmask_b32 v13, v10, v13 :: v_dual_lshlrev_b32 v42, 2, v12
	v_cmp_gt_i32_e32 vcc_lo, 32, v15
	v_lshlrev_b32_e32 v40, 2, v14
	s_add_nc_u64 s[22:23], s[22:23], -1
	s_lshl_b64 s[24:25], s[8:9], 3
	v_dual_cndmask_b32 v10, v10, v15 :: v_dual_lshlrev_b32 v43, 2, v13
	v_mov_b64_e32 v[14:15], 0
	s_mov_b64 s[26:27], 0xffffffff
	s_lshl_b64 s[28:29], s[8:9], 8
	s_ashr_i32 s30, s9, 31
	v_dual_lshlrev_b32 v44, 2, v10 :: v_dual_mov_b32 v10, 0
	v_lshlrev_b32_e32 v12, 3, v0
	s_sub_co_i32 s39, 0, s8
	s_delay_alu instid0(VALU_DEP_2) | instskip(NEXT) | instid1(VALU_DEP_1)
	v_mov_b32_e32 v13, v10
	v_add_nc_u64_e32 v[12:13], s[2:3], v[12:13]
	s_branch .LBB107_10
.LBB107_9:                              ;   in Loop: Header=BB107_10 Depth=1
	s_wait_dscnt 0x2
	v_add_nc_u64_e32 v[20:21], 1, v[20:21]
	s_delay_alu instid0(VALU_DEP_1) | instskip(SKIP_1) | instid1(SALU_CYCLE_1)
	v_cmp_le_i64_e32 vcc_lo, s[6:7], v[20:21]
	s_or_b32 s40, vcc_lo, s40
	s_and_not1_b32 exec_lo, exec_lo, s40
	s_cbranch_execz .LBB107_52
.LBB107_10:                             ; =>This Loop Header: Depth=1
                                        ;     Child Loop BB107_14 Depth 2
                                        ;       Child Loop BB107_17 Depth 3
                                        ;     Child Loop BB107_33 Depth 2
	v_mov_b64_e32 v[22:23], s[6:7]
	s_and_not1_b32 vcc_lo, exec_lo, s33
	s_cbranch_vccnz .LBB107_23
; %bb.11:                               ;   in Loop: Header=BB107_10 Depth=1
	v_mov_b64_e32 v[22:23], s[6:7]
	s_mov_b64 s[34:35], 0
	s_branch .LBB107_14
.LBB107_12:                             ;   in Loop: Header=BB107_14 Depth=2
	s_wait_xcnt 0x0
	s_or_b32 exec_lo, exec_lo, s18
.LBB107_13:                             ;   in Loop: Header=BB107_14 Depth=2
	s_delay_alu instid0(SALU_CYCLE_1) | instskip(SKIP_1) | instid1(SALU_CYCLE_1)
	s_or_b32 exec_lo, exec_lo, s1
	s_add_nc_u64 s[34:35], s[34:35], 1
	s_cmp_eq_u64 s[34:35], s[10:11]
	s_cbranch_scc1 .LBB107_23
.LBB107_14:                             ;   Parent Loop BB107_10 Depth=1
                                        ; =>  This Loop Header: Depth=2
                                        ;       Child Loop BB107_17 Depth 3
	s_lshl_b64 s[36:37], s[34:35], 3
	v_mov_b64_e32 v[30:31], s[6:7]
	v_add_nc_u64_e32 v[24:25], s[36:37], v[2:3]
	v_add_nc_u64_e32 v[26:27], s[36:37], v[4:5]
	;; [unrolled: 1-line block ×3, first 2 shown]
	s_mov_b32 s1, exec_lo
	s_clause 0x1
	global_load_b64 v[36:37], v[24:25], off
	global_load_b64 v[34:35], v[26:27], off
	s_wait_xcnt 0x0
	v_add_nc_u64_e32 v[26:27], s[36:37], v[8:9]
	global_store_b64 v[26:27], v[14:15], off
	global_store_b64 v[28:29], v[30:31], off
	s_wait_loadcnt 0x0
	s_wait_xcnt 0x0
	v_cmpx_lt_i64_e64 v[36:37], v[34:35]
	s_cbranch_execz .LBB107_13
; %bb.15:                               ;   in Loop: Header=BB107_14 Depth=2
	v_lshl_add_u64 v[38:39], v[36:37], 3, s[4:5]
	s_mov_b32 s18, 0
                                        ; implicit-def: $sgpr31
                                        ; implicit-def: $sgpr37
                                        ; implicit-def: $sgpr36
	s_branch .LBB107_17
.LBB107_16:                             ;   in Loop: Header=BB107_17 Depth=3
	s_or_b32 exec_lo, exec_lo, s41
	s_delay_alu instid0(SALU_CYCLE_1) | instskip(NEXT) | instid1(SALU_CYCLE_1)
	s_and_b32 s41, exec_lo, s37
	s_or_b32 s18, s41, s18
	s_and_not1_b32 s31, s31, exec_lo
	s_and_b32 s41, s36, exec_lo
	s_delay_alu instid0(SALU_CYCLE_1)
	s_or_b32 s31, s31, s41
	s_and_not1_b32 exec_lo, exec_lo, s18
	s_cbranch_execz .LBB107_19
.LBB107_17:                             ;   Parent Loop BB107_10 Depth=1
                                        ;     Parent Loop BB107_14 Depth=2
                                        ; =>    This Inner Loop Header: Depth=3
	global_load_b64 v[30:31], v[38:39], off
	s_or_b32 s36, s36, exec_lo
	s_or_b32 s37, s37, exec_lo
	s_mov_b32 s41, exec_lo
	s_wait_loadcnt 0x0
	v_sub_nc_u64_e64 v[32:33], v[30:31], s[14:15]
	v_mov_b64_e32 v[30:31], v[36:37]
                                        ; implicit-def: $vgpr36_vgpr37
	s_wait_xcnt 0x0
	s_delay_alu instid0(VALU_DEP_2)
	v_cmpx_lt_i64_e64 v[32:33], v[20:21]
	s_cbranch_execz .LBB107_16
; %bb.18:                               ;   in Loop: Header=BB107_17 Depth=3
	s_delay_alu instid0(VALU_DEP_2) | instskip(SKIP_3) | instid1(VALU_DEP_2)
	v_add_nc_u64_e32 v[36:37], 1, v[30:31]
	v_add_nc_u64_e32 v[38:39], 8, v[38:39]
	s_and_not1_b32 s37, s37, exec_lo
	s_and_not1_b32 s36, s36, exec_lo
	v_cmp_ge_i64_e32 vcc_lo, v[36:37], v[34:35]
	s_and_b32 s42, vcc_lo, exec_lo
	s_delay_alu instid0(SALU_CYCLE_1)
	s_or_b32 s37, s37, s42
	s_branch .LBB107_16
.LBB107_19:                             ;   in Loop: Header=BB107_14 Depth=2
	s_or_b32 exec_lo, exec_lo, s18
	v_lshl_add_u64 v[34:35], v[30:31], 3, s[16:17]
	s_xor_b32 s18, s31, -1
	s_delay_alu instid0(SALU_CYCLE_1) | instskip(NEXT) | instid1(SALU_CYCLE_1)
	s_and_saveexec_b32 s31, s18
	s_xor_b32 s18, exec_lo, s31
	s_cbranch_execz .LBB107_21
; %bb.20:                               ;   in Loop: Header=BB107_14 Depth=2
	global_load_b64 v[24:25], v[34:35], off
                                        ; implicit-def: $vgpr34_vgpr35
	s_wait_loadcnt 0x0
	global_store_b64 v[26:27], v[24:25], off
	global_store_b64 v[28:29], v[32:33], off
                                        ; implicit-def: $vgpr26_vgpr27
                                        ; implicit-def: $vgpr28_vgpr29
                                        ; implicit-def: $vgpr24_vgpr25
.LBB107_21:                             ;   in Loop: Header=BB107_14 Depth=2
	s_wait_xcnt 0x0
	s_and_not1_saveexec_b32 s18, s18
	s_cbranch_execz .LBB107_12
; %bb.22:                               ;   in Loop: Header=BB107_14 Depth=2
	global_load_b64 v[34:35], v[34:35], off
	v_min_i64 v[22:23], v[32:33], v[22:23]
	global_store_b64 v[28:29], v[32:33], off
	s_wait_loadcnt 0x0
	global_store_b64 v[26:27], v[34:35], off
	global_store_b64 v[24:25], v[30:31], off
	s_branch .LBB107_12
.LBB107_23:                             ;   in Loop: Header=BB107_10 Depth=1
	ds_bpermute_b32 v20, v40, v22
	ds_bpermute_b32 v21, v40, v23
	s_wait_dscnt 0x0
	v_min_i64 v[20:21], v[20:21], v[22:23]
	ds_bpermute_b32 v22, v41, v20
	ds_bpermute_b32 v23, v41, v21
	s_wait_dscnt 0x0
	v_min_i64 v[20:21], v[22:23], v[20:21]
	;; [unrolled: 4-line block ×5, first 2 shown]
	s_delay_alu instid0(VALU_DEP_1) | instskip(SKIP_1) | instid1(SALU_CYCLE_1)
	v_cmp_gt_i64_e32 vcc_lo, s[6:7], v[20:21]
	s_and_b32 s1, s0, vcc_lo
	s_and_saveexec_b32 s36, s1
	s_cbranch_execz .LBB107_29
; %bb.24:                               ;   in Loop: Header=BB107_10 Depth=1
	v_or_b32_e32 v11, s9, v21
                                        ; implicit-def: $vgpr22_vgpr23
	s_mov_b32 s1, exec_lo
	s_delay_alu instid0(VALU_DEP_1)
	v_cmpx_ne_u64_e32 0, v[10:11]
	s_xor_b32 s37, exec_lo, s1
	s_cbranch_execnz .LBB107_50
; %bb.25:                               ;   in Loop: Header=BB107_10 Depth=1
	s_and_not1_saveexec_b32 s1, s37
	s_cbranch_execnz .LBB107_51
.LBB107_26:                             ;   in Loop: Header=BB107_10 Depth=1
	s_or_b32 exec_lo, exec_lo, s1
	s_delay_alu instid0(SALU_CYCLE_1) | instskip(NEXT) | instid1(VALU_DEP_1)
	s_mov_b32 s1, exec_lo
	v_cmpx_ge_i64_e64 v[22:23], v[18:19]
	s_cbranch_execz .LBB107_28
.LBB107_27:                             ;   in Loop: Header=BB107_10 Depth=1
	v_add_nc_u64_e32 v[24:25], s[12:13], v[22:23]
	v_lshl_add_u64 v[26:27], v[16:17], 3, s[20:21]
	v_add_nc_u64_e32 v[16:17], 1, v[16:17]
	v_add_nc_u64_e32 v[18:19], 1, v[22:23]
	global_store_b64 v[26:27], v[24:25], off
.LBB107_28:                             ;   in Loop: Header=BB107_10 Depth=1
	s_wait_xcnt 0x0
	s_or_b32 exec_lo, exec_lo, s1
.LBB107_29:                             ;   in Loop: Header=BB107_10 Depth=1
	s_delay_alu instid0(SALU_CYCLE_1)
	s_or_b32 exec_lo, exec_lo, s36
	ds_bpermute_b32 v20, v45, v20
	ds_bpermute_b32 v21, v45, v21
	;; [unrolled: 1-line block ×4, first 2 shown]
	s_and_not1_b32 vcc_lo, exec_lo, s33
	s_cbranch_vccnz .LBB107_9
; %bb.30:                               ;   in Loop: Header=BB107_10 Depth=1
	s_wait_dscnt 0x0
	v_dual_mov_b32 v11, v17 :: v_dual_mov_b32 v24, v16
	v_mov_b32_e32 v25, v10
	v_mov_b64_e32 v[30:31], v[12:13]
	s_mov_b64 s[34:35], s[10:11]
	s_delay_alu instid0(VALU_DEP_3) | instskip(NEXT) | instid1(VALU_DEP_1)
	v_add_nc_u64_e32 v[22:23], s[22:23], v[10:11]
	v_add_nc_u64_e32 v[26:27], v[22:23], v[24:25]
	;; [unrolled: 1-line block ×3, first 2 shown]
	s_delay_alu instid0(VALU_DEP_2) | instskip(NEXT) | instid1(VALU_DEP_2)
	v_mad_nc_u64_u32 v[28:29], s8, v26, v[0:1]
	v_mul_u64_e32 v[24:25], s[8:9], v[24:25]
	s_delay_alu instid0(VALU_DEP_2) | instskip(NEXT) | instid1(VALU_DEP_3)
	v_mad_u32 v11, s9, v26, v29
	v_mad_nc_u64_u32 v[22:23], s24, v28, s[2:3]
	s_delay_alu instid0(VALU_DEP_2) | instskip(NEXT) | instid1(VALU_DEP_2)
	v_mad_u32 v11, s8, v27, v11
	v_mad_u32 v23, s25, v28, v23
	v_mov_b64_e32 v[26:27], v[6:7]
	v_mov_b64_e32 v[28:29], v[8:9]
	s_delay_alu instid0(VALU_DEP_3)
	v_mad_u32 v23, s24, v11, v23
	s_branch .LBB107_33
.LBB107_31:                             ;   in Loop: Header=BB107_33 Depth=2
	s_or_b32 exec_lo, exec_lo, s1
	global_load_b64 v[32:33], v[28:29], off
	v_lshl_add_u64 v[34:35], v[34:35], 3, v[22:23]
	s_wait_loadcnt 0x0
	global_store_b64 v[34:35], v[32:33], off
.LBB107_32:                             ;   in Loop: Header=BB107_33 Depth=2
	s_wait_xcnt 0x0
	s_or_b32 exec_lo, exec_lo, s41
	v_add_nc_u64_e32 v[22:23], s[28:29], v[22:23]
	v_add_nc_u64_e32 v[30:31], 0x100, v[30:31]
	;; [unrolled: 1-line block ×4, first 2 shown]
	s_add_nc_u64 s[34:35], s[34:35], -1
	s_delay_alu instid0(SALU_CYCLE_1)
	s_cmp_eq_u64 s[34:35], 0
	s_cbranch_scc1 .LBB107_9
.LBB107_33:                             ;   Parent Loop BB107_10 Depth=1
                                        ; =>  This Inner Loop Header: Depth=2
	global_load_b64 v[32:33], v[26:27], off
	s_mov_b32 s41, exec_lo
	s_wait_loadcnt 0x0
	v_cmpx_gt_i64_e64 s[6:7], v[32:33]
	s_cbranch_execz .LBB107_32
; %bb.34:                               ;   in Loop: Header=BB107_33 Depth=2
	v_or_b32_e32 v38, s9, v33
                                        ; implicit-def: $vgpr34_vgpr35
	s_mov_b32 s1, exec_lo
	s_delay_alu instid0(VALU_DEP_1) | instskip(NEXT) | instid1(VALU_DEP_1)
	v_mov_b32_e32 v11, v38
	v_cmpx_ne_u64_e32 0, v[10:11]
	s_xor_b32 s42, exec_lo, s1
	s_cbranch_execz .LBB107_36
; %bb.35:                               ;   in Loop: Header=BB107_33 Depth=2
	s_mov_b32 s31, s30
	v_dual_mov_b32 v47, v10 :: v_dual_ashrrev_i32 v34, 31, v33
	s_add_nc_u64 s[36:37], s[8:9], s[30:31]
	v_mov_b32_e32 v55, v10
	s_xor_b64 s[36:37], s[36:37], s[30:31]
	s_delay_alu instid0(VALU_DEP_2) | instskip(SKIP_3) | instid1(VALU_DEP_1)
	v_mov_b32_e32 v35, v34
	s_cvt_f32_u32 s1, s36
	s_cvt_f32_u32 s18, s37
	s_sub_nc_u64 s[46:47], 0, s[36:37]
	v_add_nc_u64_e32 v[36:37], v[32:33], v[34:35]
	s_delay_alu instid0(SALU_CYCLE_1) | instskip(SKIP_1) | instid1(SALU_CYCLE_2)
	s_fmamk_f32 s1, s18, 0x4f800000, s1
	v_mov_b32_e32 v51, v10
	v_s_rcp_f32 s1, s1
	s_delay_alu instid0(VALU_DEP_2) | instskip(NEXT) | instid1(VALU_DEP_3)
	v_xor_b32_e32 v46, v36, v34
	v_xor_b32_e32 v50, v37, v34
	;; [unrolled: 1-line block ×3, first 2 shown]
	s_delay_alu instid0(TRANS32_DEP_1) | instskip(NEXT) | instid1(SALU_CYCLE_3)
	s_mul_f32 s1, s1, 0x5f7ffffc
	s_mul_f32 s18, s1, 0x2f800000
	s_delay_alu instid0(SALU_CYCLE_3) | instskip(NEXT) | instid1(SALU_CYCLE_3)
	s_trunc_f32 s18, s18
	s_fmamk_f32 s1, s18, 0xcf800000, s1
	s_cvt_u32_f32 s45, s18
	s_delay_alu instid0(SALU_CYCLE_2) | instskip(NEXT) | instid1(SALU_CYCLE_3)
	s_cvt_u32_f32 s44, s1
	s_mul_u64 s[48:49], s[46:47], s[44:45]
	s_delay_alu instid0(SALU_CYCLE_1)
	s_mul_hi_u32 s51, s44, s49
	s_mul_i32 s50, s44, s49
	s_mul_hi_u32 s18, s44, s48
	s_mul_i32 s31, s45, s48
	s_add_nc_u64 s[50:51], s[18:19], s[50:51]
	s_mul_hi_u32 s1, s45, s48
	s_mul_hi_u32 s43, s45, s49
	s_add_co_u32 s18, s50, s31
	s_add_co_ci_u32 s18, s51, s1
	s_mul_i32 s48, s45, s49
	s_add_co_ci_u32 s49, s43, 0
	s_delay_alu instid0(SALU_CYCLE_1) | instskip(NEXT) | instid1(SALU_CYCLE_1)
	s_add_nc_u64 s[48:49], s[18:19], s[48:49]
	s_add_co_u32 s44, s44, s48
	s_cselect_b32 s1, -1, 0
	s_delay_alu instid0(SALU_CYCLE_1) | instskip(SKIP_1) | instid1(SALU_CYCLE_1)
	s_cmp_lg_u32 s1, 0
	s_add_co_ci_u32 s45, s45, s49
	s_mul_u64 s[46:47], s[46:47], s[44:45]
	s_delay_alu instid0(SALU_CYCLE_1)
	s_mul_hi_u32 s49, s44, s47
	s_mul_i32 s48, s44, s47
	s_mul_hi_u32 s18, s44, s46
	s_mul_i32 s31, s45, s46
	s_add_nc_u64 s[48:49], s[18:19], s[48:49]
	s_mul_hi_u32 s1, s45, s46
	s_mul_hi_u32 s43, s45, s47
	s_add_co_u32 s18, s48, s31
	s_add_co_ci_u32 s18, s49, s1
	s_mul_i32 s46, s45, s47
	s_add_co_ci_u32 s47, s43, 0
	s_delay_alu instid0(SALU_CYCLE_1) | instskip(NEXT) | instid1(SALU_CYCLE_1)
	s_add_nc_u64 s[46:47], s[18:19], s[46:47]
	s_add_co_u32 s44, s44, s46
	s_cselect_b32 s1, -1, 0
	v_mul_hi_u32 v54, v46, s44
	s_cmp_lg_u32 s1, 0
	s_add_co_ci_u32 s18, s45, s47
	s_and_b64 s[46:47], s[44:45], s[26:27]
	v_mul_u64_e32 v[48:49], s[18:19], v[46:47]
	v_mul_u64_e32 v[36:37], s[46:47], v[50:51]
	;; [unrolled: 1-line block ×3, first 2 shown]
	s_delay_alu instid0(VALU_DEP_3) | instskip(NEXT) | instid1(VALU_DEP_1)
	v_add_nc_u64_e32 v[48:49], v[54:55], v[48:49]
	v_add_co_u32 v11, vcc_lo, v48, v36
	s_delay_alu instid0(VALU_DEP_2) | instskip(NEXT) | instid1(VALU_DEP_4)
	v_add_co_ci_u32_e32 v54, vcc_lo, v49, v37, vcc_lo
	v_add_co_ci_u32_e32 v53, vcc_lo, 0, v53, vcc_lo
	s_delay_alu instid0(VALU_DEP_1) | instskip(NEXT) | instid1(VALU_DEP_1)
	v_add_nc_u64_e32 v[36:37], v[54:55], v[52:53]
	v_mul_u64_e32 v[48:49], s[36:37], v[36:37]
	s_delay_alu instid0(VALU_DEP_1) | instskip(NEXT) | instid1(VALU_DEP_2)
	v_sub_nc_u32_e32 v11, v50, v49
	v_sub_co_u32 v35, vcc_lo, v46, v48
	s_delay_alu instid0(VALU_DEP_1) | instskip(NEXT) | instid1(VALU_DEP_3)
	v_sub_co_ci_u32_e64 v50, null, v50, v49, vcc_lo
	v_subrev_co_ci_u32_e64 v11, null, s37, v11, vcc_lo
	s_delay_alu instid0(VALU_DEP_3) | instskip(SKIP_1) | instid1(VALU_DEP_3)
	v_sub_co_u32 v39, s1, v35, s36
	v_add_nc_u64_e32 v[48:49], 1, v[36:37]
	v_subrev_co_ci_u32_e64 v11, null, 0, v11, s1
	s_delay_alu instid0(VALU_DEP_3) | instskip(SKIP_1) | instid1(VALU_DEP_3)
	v_cmp_le_u32_e32 vcc_lo, s36, v39
	v_cndmask_b32_e64 v39, 0, -1, vcc_lo
	v_cmp_le_u32_e32 vcc_lo, s37, v11
	v_cndmask_b32_e64 v46, 0, -1, vcc_lo
	;; [unrolled: 2-line block ×4, first 2 shown]
	v_cmp_eq_u32_e32 vcc_lo, s37, v11
	v_cndmask_b32_e32 v11, v46, v39, vcc_lo
	v_cmp_eq_u32_e32 vcc_lo, s37, v50
	v_add_nc_u64_e32 v[46:47], 2, v[36:37]
	v_cndmask_b32_e32 v35, v51, v35, vcc_lo
	s_delay_alu instid0(VALU_DEP_4) | instskip(NEXT) | instid1(VALU_DEP_2)
	v_cmp_ne_u32_e32 vcc_lo, 0, v11
	v_cmp_ne_u32_e64 s1, 0, v35
	s_delay_alu instid0(VALU_DEP_4) | instskip(NEXT) | instid1(VALU_DEP_1)
	v_dual_cndmask_b32 v11, v49, v47, vcc_lo :: v_dual_cndmask_b32 v35, v48, v46, vcc_lo
	v_dual_cndmask_b32 v36, v36, v35, s1 :: v_dual_mov_b32 v35, v34
	s_delay_alu instid0(VALU_DEP_1) | instskip(NEXT) | instid1(VALU_DEP_1)
	v_dual_cndmask_b32 v11, v37, v11, s1 :: v_dual_bitop2_b32 v36, v36, v34 bitop3:0x14
	v_xor_b32_e32 v37, v11, v34
	s_delay_alu instid0(VALU_DEP_1)
	v_sub_nc_u64_e32 v[34:35], v[36:37], v[34:35]
.LBB107_36:                             ;   in Loop: Header=BB107_33 Depth=2
	s_and_not1_saveexec_b32 s1, s42
	s_cbranch_execz .LBB107_38
; %bb.37:                               ;   in Loop: Header=BB107_33 Depth=2
	v_cvt_f32_u32_e32 v11, s8
	s_delay_alu instid0(VALU_DEP_1) | instskip(SKIP_1) | instid1(TRANS32_DEP_1)
	v_rcp_iflag_f32_e32 v11, v11
	v_nop
	v_mul_f32_e32 v11, 0x4f7ffffe, v11
	s_delay_alu instid0(VALU_DEP_1) | instskip(NEXT) | instid1(VALU_DEP_1)
	v_cvt_u32_f32_e32 v11, v11
	v_mul_lo_u32 v34, s39, v11
	s_delay_alu instid0(VALU_DEP_1) | instskip(NEXT) | instid1(VALU_DEP_1)
	v_mul_hi_u32 v34, v11, v34
	v_add_nc_u32_e32 v11, v11, v34
	s_delay_alu instid0(VALU_DEP_1) | instskip(NEXT) | instid1(VALU_DEP_1)
	v_mul_hi_u32 v11, v32, v11
	v_mul_lo_u32 v34, v11, s8
	s_delay_alu instid0(VALU_DEP_1) | instskip(NEXT) | instid1(VALU_DEP_1)
	v_dual_add_nc_u32 v35, 1, v11 :: v_dual_sub_nc_u32 v34, v32, v34
	v_subrev_nc_u32_e32 v36, s8, v34
	v_cmp_le_u32_e32 vcc_lo, s8, v34
	s_delay_alu instid0(VALU_DEP_2) | instskip(NEXT) | instid1(VALU_DEP_1)
	v_dual_cndmask_b32 v34, v34, v36 :: v_dual_cndmask_b32 v11, v11, v35
	v_cmp_le_u32_e32 vcc_lo, s8, v34
	s_delay_alu instid0(VALU_DEP_2) | instskip(NEXT) | instid1(VALU_DEP_1)
	v_add_nc_u32_e32 v35, 1, v11
	v_dual_cndmask_b32 v34, v11, v35 :: v_dual_mov_b32 v35, v10
.LBB107_38:                             ;   in Loop: Header=BB107_33 Depth=2
	s_or_b32 exec_lo, exec_lo, s1
	v_or_b32_e32 v11, s9, v21
                                        ; implicit-def: $vgpr36_vgpr37
	s_mov_b32 s1, exec_lo
	s_delay_alu instid0(VALU_DEP_1)
	v_cmpx_ne_u64_e32 0, v[10:11]
	s_xor_b32 s42, exec_lo, s1
	s_cbranch_execnz .LBB107_41
; %bb.39:                               ;   in Loop: Header=BB107_33 Depth=2
	s_and_not1_saveexec_b32 s1, s42
	s_cbranch_execnz .LBB107_42
.LBB107_40:                             ;   in Loop: Header=BB107_33 Depth=2
	s_or_b32 exec_lo, exec_lo, s1
	s_delay_alu instid0(VALU_DEP_1)
	v_cmp_eq_u64_e32 vcc_lo, v[34:35], v[36:37]
	s_and_b32 exec_lo, exec_lo, vcc_lo
	s_cbranch_execz .LBB107_32
	s_branch .LBB107_43
.LBB107_41:                             ;   in Loop: Header=BB107_33 Depth=2
	s_mov_b32 s31, s30
	v_dual_mov_b32 v49, v10 :: v_dual_ashrrev_i32 v36, 31, v21
	s_add_nc_u64 s[36:37], s[8:9], s[30:31]
	s_delay_alu instid0(SALU_CYCLE_1) | instskip(NEXT) | instid1(VALU_DEP_1)
	s_xor_b64 s[36:37], s[36:37], s[30:31]
	v_mov_b32_e32 v37, v36
	s_cvt_f32_u32 s1, s36
	s_cvt_f32_u32 s18, s37
	s_sub_nc_u64 s[46:47], 0, s[36:37]
	s_delay_alu instid0(VALU_DEP_1) | instskip(NEXT) | instid1(SALU_CYCLE_1)
	v_add_nc_u64_e32 v[46:47], v[20:21], v[36:37]
	s_fmamk_f32 s1, s18, 0x4f800000, s1
	v_mov_b32_e32 v53, v10
	s_delay_alu instid0(SALU_CYCLE_2) | instskip(NEXT) | instid1(VALU_DEP_2)
	v_s_rcp_f32 s1, s1
	v_xor_b32_e32 v48, v46, v36
	s_delay_alu instid0(VALU_DEP_3) | instskip(NEXT) | instid1(TRANS32_DEP_1)
	v_dual_mov_b32 v57, v10 :: v_dual_bitop2_b32 v52, v47, v36 bitop3:0x14
	s_mul_f32 s1, s1, 0x5f7ffffc
	s_delay_alu instid0(SALU_CYCLE_3) | instskip(NEXT) | instid1(SALU_CYCLE_3)
	s_mul_f32 s18, s1, 0x2f800000
	s_trunc_f32 s18, s18
	s_delay_alu instid0(SALU_CYCLE_3) | instskip(SKIP_1) | instid1(SALU_CYCLE_2)
	s_fmamk_f32 s1, s18, 0xcf800000, s1
	s_cvt_u32_f32 s45, s18
	s_cvt_u32_f32 s44, s1
	s_delay_alu instid0(SALU_CYCLE_3) | instskip(NEXT) | instid1(SALU_CYCLE_1)
	s_mul_u64 s[48:49], s[46:47], s[44:45]
	s_mul_hi_u32 s51, s44, s49
	s_mul_i32 s50, s44, s49
	s_mul_hi_u32 s18, s44, s48
	s_mul_i32 s31, s45, s48
	s_add_nc_u64 s[50:51], s[18:19], s[50:51]
	s_mul_hi_u32 s1, s45, s48
	s_mul_hi_u32 s43, s45, s49
	s_add_co_u32 s18, s50, s31
	s_add_co_ci_u32 s18, s51, s1
	s_mul_i32 s48, s45, s49
	s_add_co_ci_u32 s49, s43, 0
	s_delay_alu instid0(SALU_CYCLE_1) | instskip(NEXT) | instid1(SALU_CYCLE_1)
	s_add_nc_u64 s[48:49], s[18:19], s[48:49]
	s_add_co_u32 s44, s44, s48
	s_cselect_b32 s1, -1, 0
	s_delay_alu instid0(SALU_CYCLE_1) | instskip(SKIP_1) | instid1(SALU_CYCLE_1)
	s_cmp_lg_u32 s1, 0
	s_add_co_ci_u32 s45, s45, s49
	s_mul_u64 s[46:47], s[46:47], s[44:45]
	s_delay_alu instid0(SALU_CYCLE_1)
	s_mul_hi_u32 s49, s44, s47
	s_mul_i32 s48, s44, s47
	s_mul_hi_u32 s18, s44, s46
	s_mul_i32 s31, s45, s46
	s_add_nc_u64 s[48:49], s[18:19], s[48:49]
	s_mul_hi_u32 s1, s45, s46
	s_mul_hi_u32 s43, s45, s47
	s_add_co_u32 s18, s48, s31
	s_add_co_ci_u32 s18, s49, s1
	s_mul_i32 s46, s45, s47
	s_add_co_ci_u32 s47, s43, 0
	s_delay_alu instid0(SALU_CYCLE_1) | instskip(NEXT) | instid1(SALU_CYCLE_1)
	s_add_nc_u64 s[46:47], s[18:19], s[46:47]
	s_add_co_u32 s44, s44, s46
	s_cselect_b32 s1, -1, 0
	v_mul_hi_u32 v56, v48, s44
	s_cmp_lg_u32 s1, 0
	s_add_co_ci_u32 s18, s45, s47
	s_and_b64 s[46:47], s[44:45], s[26:27]
	v_mul_u64_e32 v[50:51], s[18:19], v[48:49]
	v_mul_u64_e32 v[46:47], s[46:47], v[52:53]
	;; [unrolled: 1-line block ×3, first 2 shown]
	s_delay_alu instid0(VALU_DEP_3) | instskip(NEXT) | instid1(VALU_DEP_1)
	v_add_nc_u64_e32 v[50:51], v[56:57], v[50:51]
	v_add_co_u32 v11, vcc_lo, v50, v46
	s_delay_alu instid0(VALU_DEP_2) | instskip(NEXT) | instid1(VALU_DEP_4)
	v_add_co_ci_u32_e32 v56, vcc_lo, v51, v47, vcc_lo
	v_add_co_ci_u32_e32 v55, vcc_lo, 0, v55, vcc_lo
	s_delay_alu instid0(VALU_DEP_1) | instskip(NEXT) | instid1(VALU_DEP_1)
	v_add_nc_u64_e32 v[46:47], v[56:57], v[54:55]
	v_mul_u64_e32 v[50:51], s[36:37], v[46:47]
	s_delay_alu instid0(VALU_DEP_1) | instskip(NEXT) | instid1(VALU_DEP_2)
	v_sub_nc_u32_e32 v11, v52, v51
	v_sub_co_u32 v37, vcc_lo, v48, v50
	s_delay_alu instid0(VALU_DEP_1) | instskip(NEXT) | instid1(VALU_DEP_3)
	v_sub_co_ci_u32_e64 v52, null, v52, v51, vcc_lo
	v_subrev_co_ci_u32_e64 v11, null, s37, v11, vcc_lo
	s_delay_alu instid0(VALU_DEP_3) | instskip(SKIP_1) | instid1(VALU_DEP_3)
	v_sub_co_u32 v39, s1, v37, s36
	v_add_nc_u64_e32 v[50:51], 1, v[46:47]
	v_subrev_co_ci_u32_e64 v11, null, 0, v11, s1
	s_delay_alu instid0(VALU_DEP_3) | instskip(SKIP_1) | instid1(VALU_DEP_3)
	v_cmp_le_u32_e32 vcc_lo, s36, v39
	v_cndmask_b32_e64 v39, 0, -1, vcc_lo
	v_cmp_le_u32_e32 vcc_lo, s37, v11
	v_cndmask_b32_e64 v48, 0, -1, vcc_lo
	;; [unrolled: 2-line block ×4, first 2 shown]
	v_cmp_eq_u32_e32 vcc_lo, s37, v11
	v_cndmask_b32_e32 v11, v48, v39, vcc_lo
	v_cmp_eq_u32_e32 vcc_lo, s37, v52
	v_add_nc_u64_e32 v[48:49], 2, v[46:47]
	v_cndmask_b32_e32 v37, v53, v37, vcc_lo
	s_delay_alu instid0(VALU_DEP_4) | instskip(NEXT) | instid1(VALU_DEP_2)
	v_cmp_ne_u32_e32 vcc_lo, 0, v11
	v_cmp_ne_u32_e64 s1, 0, v37
	s_delay_alu instid0(VALU_DEP_4) | instskip(NEXT) | instid1(VALU_DEP_1)
	v_dual_cndmask_b32 v11, v51, v49, vcc_lo :: v_dual_cndmask_b32 v37, v50, v48, vcc_lo
	v_dual_cndmask_b32 v11, v47, v11, s1 :: v_dual_bitop2_b32 v36, s30, v36 bitop3:0x14
	s_delay_alu instid0(VALU_DEP_1) | instskip(NEXT) | instid1(VALU_DEP_2)
	v_dual_cndmask_b32 v39, v46, v37, s1 :: v_dual_mov_b32 v37, v36
	v_xor_b32_e32 v47, v11, v36
	s_delay_alu instid0(VALU_DEP_2) | instskip(NEXT) | instid1(VALU_DEP_1)
	v_xor_b32_e32 v46, v39, v36
	v_sub_nc_u64_e32 v[36:37], v[46:47], v[36:37]
	s_and_not1_saveexec_b32 s1, s42
	s_cbranch_execz .LBB107_40
.LBB107_42:                             ;   in Loop: Header=BB107_33 Depth=2
	v_cvt_f32_u32_e32 v11, s8
	s_delay_alu instid0(VALU_DEP_1) | instskip(SKIP_1) | instid1(TRANS32_DEP_1)
	v_rcp_iflag_f32_e32 v11, v11
	v_nop
	v_mul_f32_e32 v11, 0x4f7ffffe, v11
	s_delay_alu instid0(VALU_DEP_1) | instskip(NEXT) | instid1(VALU_DEP_1)
	v_cvt_u32_f32_e32 v11, v11
	v_mul_lo_u32 v36, s39, v11
	s_delay_alu instid0(VALU_DEP_1) | instskip(NEXT) | instid1(VALU_DEP_1)
	v_mul_hi_u32 v36, v11, v36
	v_add_nc_u32_e32 v11, v11, v36
	s_delay_alu instid0(VALU_DEP_1) | instskip(NEXT) | instid1(VALU_DEP_1)
	v_mul_hi_u32 v11, v20, v11
	v_mul_lo_u32 v36, v11, s8
	s_delay_alu instid0(VALU_DEP_1) | instskip(NEXT) | instid1(VALU_DEP_1)
	v_dual_add_nc_u32 v37, 1, v11 :: v_dual_sub_nc_u32 v36, v20, v36
	v_subrev_nc_u32_e32 v39, s8, v36
	v_cmp_le_u32_e32 vcc_lo, s8, v36
	s_delay_alu instid0(VALU_DEP_2) | instskip(NEXT) | instid1(VALU_DEP_1)
	v_dual_cndmask_b32 v36, v36, v39 :: v_dual_cndmask_b32 v11, v11, v37
	v_cmp_le_u32_e32 vcc_lo, s8, v36
	s_delay_alu instid0(VALU_DEP_2) | instskip(NEXT) | instid1(VALU_DEP_1)
	v_add_nc_u32_e32 v37, 1, v11
	v_dual_cndmask_b32 v36, v11, v37 :: v_dual_mov_b32 v37, v10
	s_or_b32 exec_lo, exec_lo, s1
	s_delay_alu instid0(VALU_DEP_1)
	v_cmp_eq_u64_e32 vcc_lo, v[34:35], v[36:37]
	s_and_b32 exec_lo, exec_lo, vcc_lo
	s_cbranch_execz .LBB107_32
.LBB107_43:                             ;   in Loop: Header=BB107_33 Depth=2
	s_and_b32 vcc_lo, exec_lo, s38
	s_cbranch_vccz .LBB107_45
; %bb.44:                               ;   in Loop: Header=BB107_33 Depth=2
	global_load_b64 v[36:37], v[28:29], off
	v_mul_u64_e32 v[34:35], s[8:9], v[34:35]
	s_delay_alu instid0(VALU_DEP_1) | instskip(NEXT) | instid1(VALU_DEP_1)
	v_sub_nc_u64_e32 v[34:35], v[32:33], v[34:35]
	v_add_nc_u64_e32 v[34:35], v[34:35], v[24:25]
	s_delay_alu instid0(VALU_DEP_1) | instskip(NEXT) | instid1(VALU_DEP_1)
	v_mad_nc_u64_u32 v[46:47], s24, v34, v[30:31]
	v_mad_u32 v11, s25, v34, v47
	s_delay_alu instid0(VALU_DEP_1)
	v_mad_u32 v47, s24, v35, v11
	s_wait_loadcnt 0x0
	global_store_b64 v[46:47], v[36:37], off
	s_cbranch_execnz .LBB107_32
	s_branch .LBB107_46
.LBB107_45:                             ;   in Loop: Header=BB107_33 Depth=2
.LBB107_46:                             ;   in Loop: Header=BB107_33 Depth=2
	v_mov_b32_e32 v11, v38
                                        ; implicit-def: $vgpr34_vgpr35
	s_mov_b32 s1, exec_lo
	s_wait_xcnt 0x0
	s_delay_alu instid0(VALU_DEP_1)
	v_cmpx_ne_u64_e32 0, v[10:11]
	s_xor_b32 s42, exec_lo, s1
	s_cbranch_execz .LBB107_48
; %bb.47:                               ;   in Loop: Header=BB107_33 Depth=2
	s_mov_b32 s31, s30
	v_dual_mov_b32 v37, v10 :: v_dual_ashrrev_i32 v34, 31, v33
	s_add_nc_u64 s[36:37], s[8:9], s[30:31]
	v_mov_b32_e32 v51, v10
	s_xor_b64 s[36:37], s[36:37], s[30:31]
	s_delay_alu instid0(VALU_DEP_2) | instskip(SKIP_3) | instid1(VALU_DEP_1)
	v_mov_b32_e32 v35, v34
	s_cvt_f32_u32 s1, s36
	s_cvt_f32_u32 s18, s37
	s_sub_nc_u64 s[46:47], 0, s[36:37]
	v_add_nc_u64_e32 v[32:33], v[32:33], v[34:35]
	s_delay_alu instid0(SALU_CYCLE_1) | instskip(SKIP_1) | instid1(SALU_CYCLE_2)
	s_fmamk_f32 s1, s18, 0x4f800000, s1
	v_mov_b32_e32 v47, v10
	v_s_rcp_f32 s1, s1
	s_delay_alu instid0(VALU_DEP_2) | instskip(NEXT) | instid1(VALU_DEP_3)
	v_xor_b32_e32 v36, v32, v34
	v_xor_b32_e32 v46, v33, v34
	s_delay_alu instid0(TRANS32_DEP_1) | instskip(NEXT) | instid1(SALU_CYCLE_3)
	s_mul_f32 s1, s1, 0x5f7ffffc
	s_mul_f32 s18, s1, 0x2f800000
	s_delay_alu instid0(SALU_CYCLE_3) | instskip(NEXT) | instid1(SALU_CYCLE_3)
	s_trunc_f32 s18, s18
	s_fmamk_f32 s1, s18, 0xcf800000, s1
	s_cvt_u32_f32 s45, s18
	s_delay_alu instid0(SALU_CYCLE_2) | instskip(NEXT) | instid1(SALU_CYCLE_3)
	s_cvt_u32_f32 s44, s1
	s_mul_u64 s[48:49], s[46:47], s[44:45]
	s_delay_alu instid0(SALU_CYCLE_1)
	s_mul_hi_u32 s51, s44, s49
	s_mul_i32 s50, s44, s49
	s_mul_hi_u32 s18, s44, s48
	s_mul_i32 s31, s45, s48
	s_add_nc_u64 s[50:51], s[18:19], s[50:51]
	s_mul_hi_u32 s1, s45, s48
	s_mul_hi_u32 s43, s45, s49
	s_add_co_u32 s18, s50, s31
	s_add_co_ci_u32 s18, s51, s1
	s_mul_i32 s48, s45, s49
	s_add_co_ci_u32 s49, s43, 0
	s_delay_alu instid0(SALU_CYCLE_1) | instskip(NEXT) | instid1(SALU_CYCLE_1)
	s_add_nc_u64 s[48:49], s[18:19], s[48:49]
	s_add_co_u32 s44, s44, s48
	s_cselect_b32 s1, -1, 0
	s_delay_alu instid0(SALU_CYCLE_1) | instskip(SKIP_1) | instid1(SALU_CYCLE_1)
	s_cmp_lg_u32 s1, 0
	s_add_co_ci_u32 s45, s45, s49
	s_mul_u64 s[46:47], s[46:47], s[44:45]
	s_delay_alu instid0(SALU_CYCLE_1)
	s_mul_hi_u32 s49, s44, s47
	s_mul_i32 s48, s44, s47
	s_mul_hi_u32 s18, s44, s46
	s_mul_i32 s31, s45, s46
	s_add_nc_u64 s[48:49], s[18:19], s[48:49]
	s_mul_hi_u32 s1, s45, s46
	s_mul_hi_u32 s43, s45, s47
	s_add_co_u32 s18, s48, s31
	s_add_co_ci_u32 s18, s49, s1
	s_mul_i32 s46, s45, s47
	s_add_co_ci_u32 s47, s43, 0
	s_delay_alu instid0(SALU_CYCLE_1) | instskip(NEXT) | instid1(SALU_CYCLE_1)
	s_add_nc_u64 s[46:47], s[18:19], s[46:47]
	s_add_co_u32 s44, s44, s46
	s_cselect_b32 s1, -1, 0
	v_mul_hi_u32 v50, v36, s44
	s_cmp_lg_u32 s1, 0
	s_add_co_ci_u32 s18, s45, s47
	s_and_b64 s[46:47], s[44:45], s[26:27]
	v_mul_u64_e32 v[38:39], s[18:19], v[36:37]
	v_mul_u64_e32 v[32:33], s[46:47], v[46:47]
	;; [unrolled: 1-line block ×3, first 2 shown]
	s_delay_alu instid0(VALU_DEP_3) | instskip(NEXT) | instid1(VALU_DEP_1)
	v_add_nc_u64_e32 v[38:39], v[50:51], v[38:39]
	v_add_co_u32 v11, vcc_lo, v38, v32
	s_delay_alu instid0(VALU_DEP_2) | instskip(NEXT) | instid1(VALU_DEP_4)
	v_add_co_ci_u32_e32 v50, vcc_lo, v39, v33, vcc_lo
	v_add_co_ci_u32_e32 v49, vcc_lo, 0, v49, vcc_lo
	s_delay_alu instid0(VALU_DEP_1) | instskip(NEXT) | instid1(VALU_DEP_1)
	v_add_nc_u64_e32 v[32:33], v[50:51], v[48:49]
	v_mul_u64_e32 v[32:33], s[36:37], v[32:33]
	s_delay_alu instid0(VALU_DEP_1) | instskip(NEXT) | instid1(VALU_DEP_2)
	v_sub_nc_u32_e32 v11, v46, v33
	v_sub_co_u32 v32, vcc_lo, v36, v32
	s_delay_alu instid0(VALU_DEP_1) | instskip(NEXT) | instid1(VALU_DEP_3)
	v_sub_co_ci_u32_e64 v33, null, v46, v33, vcc_lo
	v_subrev_co_ci_u32_e64 v11, null, s37, v11, vcc_lo
	s_delay_alu instid0(VALU_DEP_3) | instskip(SKIP_1) | instid1(VALU_DEP_3)
	v_sub_co_u32 v36, vcc_lo, v32, s36
	v_cmp_le_u32_e64 s1, s36, v32
	v_subrev_co_ci_u32_e64 v37, null, 0, v11, vcc_lo
	v_subrev_co_ci_u32_e64 v11, null, s37, v11, vcc_lo
	s_delay_alu instid0(VALU_DEP_3) | instskip(SKIP_2) | instid1(VALU_DEP_2)
	v_cndmask_b32_e64 v38, 0, -1, s1
	v_cmp_le_u32_e64 s1, s36, v36
	v_cmp_le_u32_e32 vcc_lo, s37, v33
	v_cndmask_b32_e64 v39, 0, -1, s1
	v_cmp_le_u32_e64 s1, s37, v37
	v_cndmask_b32_e64 v47, 0, -1, vcc_lo
	v_cmp_eq_u32_e32 vcc_lo, s37, v37
	s_delay_alu instid0(VALU_DEP_3) | instskip(SKIP_1) | instid1(VALU_DEP_2)
	v_cndmask_b32_e64 v46, 0, -1, s1
	v_cmp_eq_u32_e64 s1, s37, v33
	v_cndmask_b32_e32 v39, v46, v39, vcc_lo
	v_sub_co_u32 v46, vcc_lo, v36, s36
	s_delay_alu instid0(VALU_DEP_1) | instskip(NEXT) | instid1(VALU_DEP_3)
	v_subrev_co_ci_u32_e64 v11, null, 0, v11, vcc_lo
	v_cmp_ne_u32_e32 vcc_lo, 0, v39
	s_delay_alu instid0(VALU_DEP_2) | instskip(NEXT) | instid1(VALU_DEP_4)
	v_dual_cndmask_b32 v38, v47, v38, s1 :: v_dual_cndmask_b32 v11, v37, v11, vcc_lo
	v_cndmask_b32_e32 v36, v36, v46, vcc_lo
	s_delay_alu instid0(VALU_DEP_2) | instskip(NEXT) | instid1(VALU_DEP_2)
	v_cmp_ne_u32_e32 vcc_lo, 0, v38
	v_dual_cndmask_b32 v11, v33, v11 :: v_dual_cndmask_b32 v32, v32, v36
	s_delay_alu instid0(VALU_DEP_1) | instskip(NEXT) | instid1(VALU_DEP_2)
	v_xor_b32_e32 v33, v11, v34
	v_xor_b32_e32 v32, v32, v34
	s_delay_alu instid0(VALU_DEP_1)
	v_sub_nc_u64_e32 v[34:35], v[32:33], v[34:35]
                                        ; implicit-def: $vgpr32_vgpr33
.LBB107_48:                             ;   in Loop: Header=BB107_33 Depth=2
	s_and_not1_saveexec_b32 s1, s42
	s_cbranch_execz .LBB107_31
; %bb.49:                               ;   in Loop: Header=BB107_33 Depth=2
	v_cvt_f32_u32_e32 v11, s8
	v_mov_b32_e32 v35, v10
	s_delay_alu instid0(VALU_DEP_2) | instskip(SKIP_1) | instid1(TRANS32_DEP_1)
	v_rcp_iflag_f32_e32 v11, v11
	v_nop
	v_mul_f32_e32 v11, 0x4f7ffffe, v11
	s_delay_alu instid0(VALU_DEP_1) | instskip(NEXT) | instid1(VALU_DEP_1)
	v_cvt_u32_f32_e32 v11, v11
	v_mul_lo_u32 v33, s39, v11
	s_delay_alu instid0(VALU_DEP_1) | instskip(NEXT) | instid1(VALU_DEP_1)
	v_mul_hi_u32 v33, v11, v33
	v_add_nc_u32_e32 v11, v11, v33
	s_delay_alu instid0(VALU_DEP_1) | instskip(NEXT) | instid1(VALU_DEP_1)
	v_mul_hi_u32 v11, v32, v11
	v_mul_lo_u32 v11, v11, s8
	s_delay_alu instid0(VALU_DEP_1) | instskip(NEXT) | instid1(VALU_DEP_1)
	v_sub_nc_u32_e32 v11, v32, v11
	v_subrev_nc_u32_e32 v32, s8, v11
	v_cmp_le_u32_e32 vcc_lo, s8, v11
	s_delay_alu instid0(VALU_DEP_2) | instskip(NEXT) | instid1(VALU_DEP_1)
	v_cndmask_b32_e32 v11, v11, v32, vcc_lo
	v_subrev_nc_u32_e32 v32, s8, v11
	v_cmp_le_u32_e32 vcc_lo, s8, v11
	s_delay_alu instid0(VALU_DEP_2)
	v_cndmask_b32_e32 v34, v11, v32, vcc_lo
	s_branch .LBB107_31
.LBB107_50:                             ;   in Loop: Header=BB107_10 Depth=1
	s_mov_b32 s31, s30
	v_dual_mov_b32 v27, v10 :: v_dual_ashrrev_i32 v22, 31, v21
	s_add_nc_u64 s[34:35], s[8:9], s[30:31]
	v_mov_b32_e32 v35, v10
	s_xor_b64 s[34:35], s[34:35], s[30:31]
	s_delay_alu instid0(VALU_DEP_2) | instskip(SKIP_3) | instid1(VALU_DEP_1)
	v_mov_b32_e32 v23, v22
	s_cvt_f32_u32 s1, s34
	s_cvt_f32_u32 s18, s35
	s_sub_nc_u64 s[44:45], 0, s[34:35]
	v_add_nc_u64_e32 v[24:25], v[20:21], v[22:23]
	s_delay_alu instid0(SALU_CYCLE_1) | instskip(SKIP_1) | instid1(SALU_CYCLE_2)
	s_fmamk_f32 s1, s18, 0x4f800000, s1
	v_mov_b32_e32 v31, v10
	v_s_rcp_f32 s1, s1
	s_delay_alu instid0(VALU_DEP_2) | instskip(NEXT) | instid1(VALU_DEP_3)
	v_xor_b32_e32 v26, v24, v22
	v_xor_b32_e32 v30, v25, v22
	s_delay_alu instid0(TRANS32_DEP_1) | instskip(NEXT) | instid1(SALU_CYCLE_3)
	s_mul_f32 s1, s1, 0x5f7ffffc
	s_mul_f32 s18, s1, 0x2f800000
	s_delay_alu instid0(SALU_CYCLE_3) | instskip(NEXT) | instid1(SALU_CYCLE_3)
	s_trunc_f32 s18, s18
	s_fmamk_f32 s1, s18, 0xcf800000, s1
	s_cvt_u32_f32 s43, s18
	s_delay_alu instid0(SALU_CYCLE_2) | instskip(NEXT) | instid1(SALU_CYCLE_3)
	s_cvt_u32_f32 s42, s1
	s_mul_u64 s[46:47], s[44:45], s[42:43]
	s_delay_alu instid0(SALU_CYCLE_1)
	s_mul_hi_u32 s49, s42, s47
	s_mul_i32 s48, s42, s47
	s_mul_hi_u32 s18, s42, s46
	s_mul_i32 s31, s43, s46
	s_add_nc_u64 s[48:49], s[18:19], s[48:49]
	s_mul_hi_u32 s1, s43, s46
	s_mul_hi_u32 s41, s43, s47
	s_add_co_u32 s18, s48, s31
	s_add_co_ci_u32 s18, s49, s1
	s_mul_i32 s46, s43, s47
	s_add_co_ci_u32 s47, s41, 0
	s_delay_alu instid0(SALU_CYCLE_1) | instskip(NEXT) | instid1(SALU_CYCLE_1)
	s_add_nc_u64 s[46:47], s[18:19], s[46:47]
	s_add_co_u32 s42, s42, s46
	s_cselect_b32 s1, -1, 0
	s_delay_alu instid0(SALU_CYCLE_1) | instskip(SKIP_1) | instid1(SALU_CYCLE_1)
	s_cmp_lg_u32 s1, 0
	s_add_co_ci_u32 s43, s43, s47
	s_mul_u64 s[44:45], s[44:45], s[42:43]
	s_delay_alu instid0(SALU_CYCLE_1)
	s_mul_hi_u32 s47, s42, s45
	s_mul_i32 s46, s42, s45
	s_mul_hi_u32 s18, s42, s44
	s_mul_i32 s31, s43, s44
	s_add_nc_u64 s[46:47], s[18:19], s[46:47]
	s_mul_hi_u32 s1, s43, s44
	s_mul_hi_u32 s41, s43, s45
	s_add_co_u32 s18, s46, s31
	s_add_co_ci_u32 s18, s47, s1
	s_mul_i32 s44, s43, s45
	s_add_co_ci_u32 s45, s41, 0
	s_delay_alu instid0(SALU_CYCLE_1) | instskip(NEXT) | instid1(SALU_CYCLE_1)
	s_add_nc_u64 s[44:45], s[18:19], s[44:45]
	s_add_co_u32 s42, s42, s44
	s_cselect_b32 s1, -1, 0
	v_mul_hi_u32 v34, v26, s42
	s_cmp_lg_u32 s1, 0
	s_add_co_ci_u32 s18, s43, s45
	s_and_b64 s[44:45], s[42:43], s[26:27]
	v_mul_u64_e32 v[28:29], s[18:19], v[26:27]
	v_mul_u64_e32 v[24:25], s[44:45], v[30:31]
	;; [unrolled: 1-line block ×3, first 2 shown]
	s_delay_alu instid0(VALU_DEP_3) | instskip(NEXT) | instid1(VALU_DEP_1)
	v_add_nc_u64_e32 v[28:29], v[34:35], v[28:29]
	v_add_co_u32 v11, vcc_lo, v28, v24
	s_delay_alu instid0(VALU_DEP_2) | instskip(NEXT) | instid1(VALU_DEP_4)
	v_add_co_ci_u32_e32 v34, vcc_lo, v29, v25, vcc_lo
	v_add_co_ci_u32_e32 v33, vcc_lo, 0, v33, vcc_lo
	s_delay_alu instid0(VALU_DEP_1) | instskip(NEXT) | instid1(VALU_DEP_1)
	v_add_nc_u64_e32 v[24:25], v[34:35], v[32:33]
	v_mul_u64_e32 v[28:29], s[34:35], v[24:25]
	s_delay_alu instid0(VALU_DEP_1) | instskip(NEXT) | instid1(VALU_DEP_2)
	v_sub_nc_u32_e32 v11, v30, v29
	v_sub_co_u32 v23, vcc_lo, v26, v28
	s_delay_alu instid0(VALU_DEP_1) | instskip(NEXT) | instid1(VALU_DEP_3)
	v_sub_co_ci_u32_e64 v30, null, v30, v29, vcc_lo
	v_subrev_co_ci_u32_e64 v11, null, s35, v11, vcc_lo
	s_delay_alu instid0(VALU_DEP_3) | instskip(SKIP_1) | instid1(VALU_DEP_3)
	v_sub_co_u32 v26, s1, v23, s34
	v_add_nc_u64_e32 v[28:29], 1, v[24:25]
	v_subrev_co_ci_u32_e64 v11, null, 0, v11, s1
	s_delay_alu instid0(VALU_DEP_3) | instskip(SKIP_1) | instid1(VALU_DEP_3)
	v_cmp_le_u32_e32 vcc_lo, s34, v26
	v_cndmask_b32_e64 v26, 0, -1, vcc_lo
	v_cmp_le_u32_e32 vcc_lo, s35, v11
	v_cndmask_b32_e64 v27, 0, -1, vcc_lo
	;; [unrolled: 2-line block ×4, first 2 shown]
	v_cmp_eq_u32_e32 vcc_lo, s35, v11
	v_cndmask_b32_e32 v11, v27, v26, vcc_lo
	v_cmp_eq_u32_e32 vcc_lo, s35, v30
	v_add_nc_u64_e32 v[26:27], 2, v[24:25]
	v_cndmask_b32_e32 v23, v31, v23, vcc_lo
	s_delay_alu instid0(VALU_DEP_4) | instskip(NEXT) | instid1(VALU_DEP_2)
	v_cmp_ne_u32_e32 vcc_lo, 0, v11
	v_cmp_ne_u32_e64 s1, 0, v23
	s_delay_alu instid0(VALU_DEP_4) | instskip(NEXT) | instid1(VALU_DEP_1)
	v_dual_cndmask_b32 v11, v29, v27, vcc_lo :: v_dual_cndmask_b32 v23, v28, v26, vcc_lo
	v_dual_cndmask_b32 v11, v25, v11, s1 :: v_dual_bitop2_b32 v22, s30, v22 bitop3:0x14
	s_delay_alu instid0(VALU_DEP_1) | instskip(NEXT) | instid1(VALU_DEP_2)
	v_dual_cndmask_b32 v24, v24, v23, s1 :: v_dual_mov_b32 v23, v22
	v_xor_b32_e32 v25, v11, v22
	s_delay_alu instid0(VALU_DEP_2) | instskip(NEXT) | instid1(VALU_DEP_1)
	v_xor_b32_e32 v24, v24, v22
	v_sub_nc_u64_e32 v[22:23], v[24:25], v[22:23]
	s_and_not1_saveexec_b32 s1, s37
	s_cbranch_execz .LBB107_26
.LBB107_51:                             ;   in Loop: Header=BB107_10 Depth=1
	v_cvt_f32_u32_e32 v11, s8
	s_delay_alu instid0(VALU_DEP_1) | instskip(SKIP_1) | instid1(TRANS32_DEP_1)
	v_rcp_iflag_f32_e32 v11, v11
	v_nop
	v_mul_f32_e32 v11, 0x4f7ffffe, v11
	s_delay_alu instid0(VALU_DEP_1) | instskip(NEXT) | instid1(VALU_DEP_1)
	v_cvt_u32_f32_e32 v11, v11
	v_mul_lo_u32 v22, s39, v11
	s_delay_alu instid0(VALU_DEP_1) | instskip(NEXT) | instid1(VALU_DEP_1)
	v_mul_hi_u32 v22, v11, v22
	v_add_nc_u32_e32 v11, v11, v22
	s_delay_alu instid0(VALU_DEP_1) | instskip(NEXT) | instid1(VALU_DEP_1)
	v_mul_hi_u32 v11, v20, v11
	v_mul_lo_u32 v22, v11, s8
	s_delay_alu instid0(VALU_DEP_1) | instskip(NEXT) | instid1(VALU_DEP_1)
	v_dual_add_nc_u32 v23, 1, v11 :: v_dual_sub_nc_u32 v22, v20, v22
	v_subrev_nc_u32_e32 v24, s8, v22
	v_cmp_le_u32_e32 vcc_lo, s8, v22
	s_delay_alu instid0(VALU_DEP_2) | instskip(NEXT) | instid1(VALU_DEP_1)
	v_dual_cndmask_b32 v22, v22, v24 :: v_dual_cndmask_b32 v11, v11, v23
	v_cmp_le_u32_e32 vcc_lo, s8, v22
	s_delay_alu instid0(VALU_DEP_2) | instskip(NEXT) | instid1(VALU_DEP_1)
	v_add_nc_u32_e32 v23, 1, v11
	v_dual_cndmask_b32 v22, v11, v23 :: v_dual_mov_b32 v23, v10
	s_or_b32 exec_lo, exec_lo, s1
	s_delay_alu instid0(SALU_CYCLE_1) | instskip(NEXT) | instid1(VALU_DEP_1)
	s_mov_b32 s1, exec_lo
	v_cmpx_ge_i64_e64 v[22:23], v[18:19]
	s_cbranch_execnz .LBB107_27
	s_branch .LBB107_28
.LBB107_52:
	s_endpgm
	.section	.rodata,"a",@progbits
	.p2align	6, 0x0
	.amdhsa_kernel _ZN9rocsparseL21csr2bsr_65_inf_kernelILj32E21rocsparse_complex_numIfEllEEv20rocsparse_direction_T2_S4_S4_S4_S4_S4_21rocsparse_index_base_PKT0_PKT1_PKS4_S5_PS6_PS9_PS4_SF_SG_SE_
		.amdhsa_group_segment_fixed_size 0
		.amdhsa_private_segment_fixed_size 0
		.amdhsa_kernarg_size 144
		.amdhsa_user_sgpr_count 2
		.amdhsa_user_sgpr_dispatch_ptr 0
		.amdhsa_user_sgpr_queue_ptr 0
		.amdhsa_user_sgpr_kernarg_segment_ptr 1
		.amdhsa_user_sgpr_dispatch_id 0
		.amdhsa_user_sgpr_kernarg_preload_length 0
		.amdhsa_user_sgpr_kernarg_preload_offset 0
		.amdhsa_user_sgpr_private_segment_size 0
		.amdhsa_wavefront_size32 1
		.amdhsa_uses_dynamic_stack 0
		.amdhsa_enable_private_segment 0
		.amdhsa_system_sgpr_workgroup_id_x 1
		.amdhsa_system_sgpr_workgroup_id_y 0
		.amdhsa_system_sgpr_workgroup_id_z 0
		.amdhsa_system_sgpr_workgroup_info 0
		.amdhsa_system_vgpr_workitem_id 0
		.amdhsa_next_free_vgpr 58
		.amdhsa_next_free_sgpr 52
		.amdhsa_named_barrier_count 0
		.amdhsa_reserve_vcc 1
		.amdhsa_float_round_mode_32 0
		.amdhsa_float_round_mode_16_64 0
		.amdhsa_float_denorm_mode_32 3
		.amdhsa_float_denorm_mode_16_64 3
		.amdhsa_fp16_overflow 0
		.amdhsa_memory_ordered 1
		.amdhsa_forward_progress 1
		.amdhsa_inst_pref_size 39
		.amdhsa_round_robin_scheduling 0
		.amdhsa_exception_fp_ieee_invalid_op 0
		.amdhsa_exception_fp_denorm_src 0
		.amdhsa_exception_fp_ieee_div_zero 0
		.amdhsa_exception_fp_ieee_overflow 0
		.amdhsa_exception_fp_ieee_underflow 0
		.amdhsa_exception_fp_ieee_inexact 0
		.amdhsa_exception_int_div_zero 0
	.end_amdhsa_kernel
	.section	.text._ZN9rocsparseL21csr2bsr_65_inf_kernelILj32E21rocsparse_complex_numIfEllEEv20rocsparse_direction_T2_S4_S4_S4_S4_S4_21rocsparse_index_base_PKT0_PKT1_PKS4_S5_PS6_PS9_PS4_SF_SG_SE_,"axG",@progbits,_ZN9rocsparseL21csr2bsr_65_inf_kernelILj32E21rocsparse_complex_numIfEllEEv20rocsparse_direction_T2_S4_S4_S4_S4_S4_21rocsparse_index_base_PKT0_PKT1_PKS4_S5_PS6_PS9_PS4_SF_SG_SE_,comdat
.Lfunc_end107:
	.size	_ZN9rocsparseL21csr2bsr_65_inf_kernelILj32E21rocsparse_complex_numIfEllEEv20rocsparse_direction_T2_S4_S4_S4_S4_S4_21rocsparse_index_base_PKT0_PKT1_PKS4_S5_PS6_PS9_PS4_SF_SG_SE_, .Lfunc_end107-_ZN9rocsparseL21csr2bsr_65_inf_kernelILj32E21rocsparse_complex_numIfEllEEv20rocsparse_direction_T2_S4_S4_S4_S4_S4_21rocsparse_index_base_PKT0_PKT1_PKS4_S5_PS6_PS9_PS4_SF_SG_SE_
                                        ; -- End function
	.set _ZN9rocsparseL21csr2bsr_65_inf_kernelILj32E21rocsparse_complex_numIfEllEEv20rocsparse_direction_T2_S4_S4_S4_S4_S4_21rocsparse_index_base_PKT0_PKT1_PKS4_S5_PS6_PS9_PS4_SF_SG_SE_.num_vgpr, 58
	.set _ZN9rocsparseL21csr2bsr_65_inf_kernelILj32E21rocsparse_complex_numIfEllEEv20rocsparse_direction_T2_S4_S4_S4_S4_S4_21rocsparse_index_base_PKT0_PKT1_PKS4_S5_PS6_PS9_PS4_SF_SG_SE_.num_agpr, 0
	.set _ZN9rocsparseL21csr2bsr_65_inf_kernelILj32E21rocsparse_complex_numIfEllEEv20rocsparse_direction_T2_S4_S4_S4_S4_S4_21rocsparse_index_base_PKT0_PKT1_PKS4_S5_PS6_PS9_PS4_SF_SG_SE_.numbered_sgpr, 52
	.set _ZN9rocsparseL21csr2bsr_65_inf_kernelILj32E21rocsparse_complex_numIfEllEEv20rocsparse_direction_T2_S4_S4_S4_S4_S4_21rocsparse_index_base_PKT0_PKT1_PKS4_S5_PS6_PS9_PS4_SF_SG_SE_.num_named_barrier, 0
	.set _ZN9rocsparseL21csr2bsr_65_inf_kernelILj32E21rocsparse_complex_numIfEllEEv20rocsparse_direction_T2_S4_S4_S4_S4_S4_21rocsparse_index_base_PKT0_PKT1_PKS4_S5_PS6_PS9_PS4_SF_SG_SE_.private_seg_size, 0
	.set _ZN9rocsparseL21csr2bsr_65_inf_kernelILj32E21rocsparse_complex_numIfEllEEv20rocsparse_direction_T2_S4_S4_S4_S4_S4_21rocsparse_index_base_PKT0_PKT1_PKS4_S5_PS6_PS9_PS4_SF_SG_SE_.uses_vcc, 1
	.set _ZN9rocsparseL21csr2bsr_65_inf_kernelILj32E21rocsparse_complex_numIfEllEEv20rocsparse_direction_T2_S4_S4_S4_S4_S4_21rocsparse_index_base_PKT0_PKT1_PKS4_S5_PS6_PS9_PS4_SF_SG_SE_.uses_flat_scratch, 0
	.set _ZN9rocsparseL21csr2bsr_65_inf_kernelILj32E21rocsparse_complex_numIfEllEEv20rocsparse_direction_T2_S4_S4_S4_S4_S4_21rocsparse_index_base_PKT0_PKT1_PKS4_S5_PS6_PS9_PS4_SF_SG_SE_.has_dyn_sized_stack, 0
	.set _ZN9rocsparseL21csr2bsr_65_inf_kernelILj32E21rocsparse_complex_numIfEllEEv20rocsparse_direction_T2_S4_S4_S4_S4_S4_21rocsparse_index_base_PKT0_PKT1_PKS4_S5_PS6_PS9_PS4_SF_SG_SE_.has_recursion, 0
	.set _ZN9rocsparseL21csr2bsr_65_inf_kernelILj32E21rocsparse_complex_numIfEllEEv20rocsparse_direction_T2_S4_S4_S4_S4_S4_21rocsparse_index_base_PKT0_PKT1_PKS4_S5_PS6_PS9_PS4_SF_SG_SE_.has_indirect_call, 0
	.section	.AMDGPU.csdata,"",@progbits
; Kernel info:
; codeLenInByte = 4888
; TotalNumSgprs: 54
; NumVgprs: 58
; ScratchSize: 0
; MemoryBound: 0
; FloatMode: 240
; IeeeMode: 1
; LDSByteSize: 0 bytes/workgroup (compile time only)
; SGPRBlocks: 0
; VGPRBlocks: 3
; NumSGPRsForWavesPerEU: 54
; NumVGPRsForWavesPerEU: 58
; NamedBarCnt: 0
; Occupancy: 16
; WaveLimiterHint : 1
; COMPUTE_PGM_RSRC2:SCRATCH_EN: 0
; COMPUTE_PGM_RSRC2:USER_SGPR: 2
; COMPUTE_PGM_RSRC2:TRAP_HANDLER: 0
; COMPUTE_PGM_RSRC2:TGID_X_EN: 1
; COMPUTE_PGM_RSRC2:TGID_Y_EN: 0
; COMPUTE_PGM_RSRC2:TGID_Z_EN: 0
; COMPUTE_PGM_RSRC2:TIDIG_COMP_CNT: 0
	.section	.text._ZN9rocsparseL35csr2bsr_block_dim_equals_one_kernelILj256EdiiEEvT2_S1_S1_S1_21rocsparse_index_base_PKT0_PKT1_PKS1_S2_PS3_PS6_PS1_,"axG",@progbits,_ZN9rocsparseL35csr2bsr_block_dim_equals_one_kernelILj256EdiiEEvT2_S1_S1_S1_21rocsparse_index_base_PKT0_PKT1_PKS1_S2_PS3_PS6_PS1_,comdat
	.globl	_ZN9rocsparseL35csr2bsr_block_dim_equals_one_kernelILj256EdiiEEvT2_S1_S1_S1_21rocsparse_index_base_PKT0_PKT1_PKS1_S2_PS3_PS6_PS1_ ; -- Begin function _ZN9rocsparseL35csr2bsr_block_dim_equals_one_kernelILj256EdiiEEvT2_S1_S1_S1_21rocsparse_index_base_PKT0_PKT1_PKS1_S2_PS3_PS6_PS1_
	.p2align	8
	.type	_ZN9rocsparseL35csr2bsr_block_dim_equals_one_kernelILj256EdiiEEvT2_S1_S1_S1_21rocsparse_index_base_PKT0_PKT1_PKS1_S2_PS3_PS6_PS1_,@function
_ZN9rocsparseL35csr2bsr_block_dim_equals_one_kernelILj256EdiiEEvT2_S1_S1_S1_21rocsparse_index_base_PKT0_PKT1_PKS1_S2_PS3_PS6_PS1_: ; @_ZN9rocsparseL35csr2bsr_block_dim_equals_one_kernelILj256EdiiEEvT2_S1_S1_S1_21rocsparse_index_base_PKT0_PKT1_PKS1_S2_PS3_PS6_PS1_
; %bb.0:
	s_clause 0x1
	s_load_b32 s2, s[0:1], 0x0
	s_load_b128 s[4:7], s[0:1], 0x18
	s_bfe_u32 s3, ttmp6, 0x4000c
	s_and_b32 s8, ttmp6, 15
	s_add_co_i32 s3, s3, 1
	s_getreg_b32 s9, hwreg(HW_REG_IB_STS2, 6, 4)
	s_mul_i32 s3, ttmp9, s3
	s_delay_alu instid0(SALU_CYCLE_1)
	s_add_co_i32 s8, s8, s3
	s_wait_kmcnt 0x0
	s_ashr_i32 s3, s2, 31
	s_cmp_eq_u32 s9, 0
	s_cselect_b32 s8, ttmp9, s8
	s_lshl_b64 s[2:3], s[2:3], 2
	v_lshl_or_b32 v0, s8, 8, v0
	s_add_nc_u64 s[2:3], s[6:7], s[2:3]
	s_clause 0x1
	s_load_b32 s9, s[2:3], 0x0
	s_load_b32 s10, s[6:7], 0x0
	s_wait_xcnt 0x0
	s_mov_b32 s7, 0
	s_mov_b32 s2, exec_lo
	s_wait_kmcnt 0x0
	s_sub_co_i32 s6, s9, s10
	s_delay_alu instid0(SALU_CYCLE_1)
	v_cmpx_gt_i32_e64 s6, v0
	s_cbranch_execz .LBB108_3
; %bb.1:
	s_clause 0x3
	s_load_b96 s[8:10], s[0:1], 0x28
	s_load_b64 s[2:3], s[0:1], 0x38
	s_load_b32 s11, s[0:1], 0x10
	s_load_b96 s[12:14], s[0:1], 0x48
	s_wait_kmcnt 0x0
	s_sub_co_i32 s0, s10, s11
	s_lshl_b32 s1, s14, 8
.LBB108_2:                              ; =>This Inner Loop Header: Depth=1
	s_clause 0x1
	global_load_b32 v1, v0, s[8:9] scale_offset
	global_load_b64 v[2:3], v0, s[4:5] scale_offset
	s_wait_loadcnt 0x1
	v_add_nc_u32_e32 v1, s0, v1
	global_store_b32 v0, v1, s[12:13] scale_offset
	s_wait_loadcnt 0x0
	global_store_b64 v0, v[2:3], s[2:3] scale_offset
	s_wait_xcnt 0x0
	v_add_nc_u32_e32 v0, s1, v0
	s_delay_alu instid0(VALU_DEP_1) | instskip(SKIP_1) | instid1(SALU_CYCLE_1)
	v_cmp_le_i32_e32 vcc_lo, s6, v0
	s_or_b32 s7, vcc_lo, s7
	s_and_not1_b32 exec_lo, exec_lo, s7
	s_cbranch_execnz .LBB108_2
.LBB108_3:
	s_endpgm
	.section	.rodata,"a",@progbits
	.p2align	6, 0x0
	.amdhsa_kernel _ZN9rocsparseL35csr2bsr_block_dim_equals_one_kernelILj256EdiiEEvT2_S1_S1_S1_21rocsparse_index_base_PKT0_PKT1_PKS1_S2_PS3_PS6_PS1_
		.amdhsa_group_segment_fixed_size 0
		.amdhsa_private_segment_fixed_size 0
		.amdhsa_kernarg_size 336
		.amdhsa_user_sgpr_count 2
		.amdhsa_user_sgpr_dispatch_ptr 0
		.amdhsa_user_sgpr_queue_ptr 0
		.amdhsa_user_sgpr_kernarg_segment_ptr 1
		.amdhsa_user_sgpr_dispatch_id 0
		.amdhsa_user_sgpr_kernarg_preload_length 0
		.amdhsa_user_sgpr_kernarg_preload_offset 0
		.amdhsa_user_sgpr_private_segment_size 0
		.amdhsa_wavefront_size32 1
		.amdhsa_uses_dynamic_stack 0
		.amdhsa_enable_private_segment 0
		.amdhsa_system_sgpr_workgroup_id_x 1
		.amdhsa_system_sgpr_workgroup_id_y 0
		.amdhsa_system_sgpr_workgroup_id_z 0
		.amdhsa_system_sgpr_workgroup_info 0
		.amdhsa_system_vgpr_workitem_id 0
		.amdhsa_next_free_vgpr 4
		.amdhsa_next_free_sgpr 15
		.amdhsa_named_barrier_count 0
		.amdhsa_reserve_vcc 1
		.amdhsa_float_round_mode_32 0
		.amdhsa_float_round_mode_16_64 0
		.amdhsa_float_denorm_mode_32 3
		.amdhsa_float_denorm_mode_16_64 3
		.amdhsa_fp16_overflow 0
		.amdhsa_memory_ordered 1
		.amdhsa_forward_progress 1
		.amdhsa_inst_pref_size 3
		.amdhsa_round_robin_scheduling 0
		.amdhsa_exception_fp_ieee_invalid_op 0
		.amdhsa_exception_fp_denorm_src 0
		.amdhsa_exception_fp_ieee_div_zero 0
		.amdhsa_exception_fp_ieee_overflow 0
		.amdhsa_exception_fp_ieee_underflow 0
		.amdhsa_exception_fp_ieee_inexact 0
		.amdhsa_exception_int_div_zero 0
	.end_amdhsa_kernel
	.section	.text._ZN9rocsparseL35csr2bsr_block_dim_equals_one_kernelILj256EdiiEEvT2_S1_S1_S1_21rocsparse_index_base_PKT0_PKT1_PKS1_S2_PS3_PS6_PS1_,"axG",@progbits,_ZN9rocsparseL35csr2bsr_block_dim_equals_one_kernelILj256EdiiEEvT2_S1_S1_S1_21rocsparse_index_base_PKT0_PKT1_PKS1_S2_PS3_PS6_PS1_,comdat
.Lfunc_end108:
	.size	_ZN9rocsparseL35csr2bsr_block_dim_equals_one_kernelILj256EdiiEEvT2_S1_S1_S1_21rocsparse_index_base_PKT0_PKT1_PKS1_S2_PS3_PS6_PS1_, .Lfunc_end108-_ZN9rocsparseL35csr2bsr_block_dim_equals_one_kernelILj256EdiiEEvT2_S1_S1_S1_21rocsparse_index_base_PKT0_PKT1_PKS1_S2_PS3_PS6_PS1_
                                        ; -- End function
	.set _ZN9rocsparseL35csr2bsr_block_dim_equals_one_kernelILj256EdiiEEvT2_S1_S1_S1_21rocsparse_index_base_PKT0_PKT1_PKS1_S2_PS3_PS6_PS1_.num_vgpr, 4
	.set _ZN9rocsparseL35csr2bsr_block_dim_equals_one_kernelILj256EdiiEEvT2_S1_S1_S1_21rocsparse_index_base_PKT0_PKT1_PKS1_S2_PS3_PS6_PS1_.num_agpr, 0
	.set _ZN9rocsparseL35csr2bsr_block_dim_equals_one_kernelILj256EdiiEEvT2_S1_S1_S1_21rocsparse_index_base_PKT0_PKT1_PKS1_S2_PS3_PS6_PS1_.numbered_sgpr, 15
	.set _ZN9rocsparseL35csr2bsr_block_dim_equals_one_kernelILj256EdiiEEvT2_S1_S1_S1_21rocsparse_index_base_PKT0_PKT1_PKS1_S2_PS3_PS6_PS1_.num_named_barrier, 0
	.set _ZN9rocsparseL35csr2bsr_block_dim_equals_one_kernelILj256EdiiEEvT2_S1_S1_S1_21rocsparse_index_base_PKT0_PKT1_PKS1_S2_PS3_PS6_PS1_.private_seg_size, 0
	.set _ZN9rocsparseL35csr2bsr_block_dim_equals_one_kernelILj256EdiiEEvT2_S1_S1_S1_21rocsparse_index_base_PKT0_PKT1_PKS1_S2_PS3_PS6_PS1_.uses_vcc, 1
	.set _ZN9rocsparseL35csr2bsr_block_dim_equals_one_kernelILj256EdiiEEvT2_S1_S1_S1_21rocsparse_index_base_PKT0_PKT1_PKS1_S2_PS3_PS6_PS1_.uses_flat_scratch, 0
	.set _ZN9rocsparseL35csr2bsr_block_dim_equals_one_kernelILj256EdiiEEvT2_S1_S1_S1_21rocsparse_index_base_PKT0_PKT1_PKS1_S2_PS3_PS6_PS1_.has_dyn_sized_stack, 0
	.set _ZN9rocsparseL35csr2bsr_block_dim_equals_one_kernelILj256EdiiEEvT2_S1_S1_S1_21rocsparse_index_base_PKT0_PKT1_PKS1_S2_PS3_PS6_PS1_.has_recursion, 0
	.set _ZN9rocsparseL35csr2bsr_block_dim_equals_one_kernelILj256EdiiEEvT2_S1_S1_S1_21rocsparse_index_base_PKT0_PKT1_PKS1_S2_PS3_PS6_PS1_.has_indirect_call, 0
	.section	.AMDGPU.csdata,"",@progbits
; Kernel info:
; codeLenInByte = 284
; TotalNumSgprs: 17
; NumVgprs: 4
; ScratchSize: 0
; MemoryBound: 0
; FloatMode: 240
; IeeeMode: 1
; LDSByteSize: 0 bytes/workgroup (compile time only)
; SGPRBlocks: 0
; VGPRBlocks: 0
; NumSGPRsForWavesPerEU: 17
; NumVGPRsForWavesPerEU: 4
; NamedBarCnt: 0
; Occupancy: 16
; WaveLimiterHint : 0
; COMPUTE_PGM_RSRC2:SCRATCH_EN: 0
; COMPUTE_PGM_RSRC2:USER_SGPR: 2
; COMPUTE_PGM_RSRC2:TRAP_HANDLER: 0
; COMPUTE_PGM_RSRC2:TGID_X_EN: 1
; COMPUTE_PGM_RSRC2:TGID_Y_EN: 0
; COMPUTE_PGM_RSRC2:TGID_Z_EN: 0
; COMPUTE_PGM_RSRC2:TIDIG_COMP_CNT: 0
	.section	.text._ZN9rocsparseL42csr2bsr_wavefront_per_row_multipass_kernelILj256ELj16ELj4EdiiEEv20rocsparse_direction_T4_S2_S2_S2_S2_21rocsparse_index_base_PKT2_PKT3_PKS2_S3_PS4_PS7_PS2_,"axG",@progbits,_ZN9rocsparseL42csr2bsr_wavefront_per_row_multipass_kernelILj256ELj16ELj4EdiiEEv20rocsparse_direction_T4_S2_S2_S2_S2_21rocsparse_index_base_PKT2_PKT3_PKS2_S3_PS4_PS7_PS2_,comdat
	.globl	_ZN9rocsparseL42csr2bsr_wavefront_per_row_multipass_kernelILj256ELj16ELj4EdiiEEv20rocsparse_direction_T4_S2_S2_S2_S2_21rocsparse_index_base_PKT2_PKT3_PKS2_S3_PS4_PS7_PS2_ ; -- Begin function _ZN9rocsparseL42csr2bsr_wavefront_per_row_multipass_kernelILj256ELj16ELj4EdiiEEv20rocsparse_direction_T4_S2_S2_S2_S2_21rocsparse_index_base_PKT2_PKT3_PKS2_S3_PS4_PS7_PS2_
	.p2align	8
	.type	_ZN9rocsparseL42csr2bsr_wavefront_per_row_multipass_kernelILj256ELj16ELj4EdiiEEv20rocsparse_direction_T4_S2_S2_S2_S2_21rocsparse_index_base_PKT2_PKT3_PKS2_S3_PS4_PS7_PS2_,@function
_ZN9rocsparseL42csr2bsr_wavefront_per_row_multipass_kernelILj256ELj16ELj4EdiiEEv20rocsparse_direction_T4_S2_S2_S2_S2_21rocsparse_index_base_PKT2_PKT3_PKS2_S3_PS4_PS7_PS2_: ; @_ZN9rocsparseL42csr2bsr_wavefront_per_row_multipass_kernelILj256ELj16ELj4EdiiEEv20rocsparse_direction_T4_S2_S2_S2_S2_21rocsparse_index_base_PKT2_PKT3_PKS2_S3_PS4_PS7_PS2_
; %bb.0:
	s_clause 0x1
	s_load_b128 s[4:7], s[0:1], 0xc
	s_load_b64 s[12:13], s[0:1], 0x0
	s_bfe_u32 s2, ttmp6, 0x4000c
	s_and_b32 s3, ttmp6, 15
	s_add_co_i32 s2, s2, 1
	s_getreg_b32 s8, hwreg(HW_REG_IB_STS2, 6, 4)
	s_mul_i32 s2, ttmp9, s2
	v_dual_lshrrev_b32 v14, 4, v0 :: v_dual_mov_b32 v2, 0
	s_add_co_i32 s3, s3, s2
	s_cmp_eq_u32 s8, 0
	v_bfe_u32 v3, v0, 2, 2
	s_cselect_b32 s2, ttmp9, s3
	s_load_b64 s[8:9], s[0:1], 0x28
	v_lshl_or_b32 v1, s2, 4, v14
	v_mov_b32_e32 v22, 0
	s_wait_kmcnt 0x0
	s_delay_alu instid0(VALU_DEP_2) | instskip(SKIP_1) | instid1(VALU_DEP_2)
	v_mad_u32 v4, v1, s6, v3
	v_cmp_gt_i32_e32 vcc_lo, s6, v3
	v_cmp_gt_i32_e64 s2, s13, v4
	s_and_b32 s2, vcc_lo, s2
	s_delay_alu instid0(SALU_CYCLE_1)
	s_and_saveexec_b32 s3, s2
	s_cbranch_execz .LBB109_2
; %bb.1:
	global_load_b32 v5, v4, s[8:9] scale_offset
	s_wait_loadcnt 0x0
	v_subrev_nc_u32_e32 v22, s7, v5
.LBB109_2:
	s_or_b32 exec_lo, exec_lo, s3
	v_mov_b32_e32 v15, 0
	s_and_saveexec_b32 s3, s2
	s_cbranch_execz .LBB109_4
; %bb.3:
	global_load_b32 v4, v4, s[8:9] offset:4 scale_offset
	s_wait_loadcnt 0x0
	v_subrev_nc_u32_e32 v15, s7, v4
.LBB109_4:
	s_or_b32 exec_lo, exec_lo, s3
	s_load_b32 s16, s[0:1], 0x38
	s_mov_b32 s3, exec_lo
	v_cmpx_gt_i32_e64 s4, v1
	s_cbranch_execz .LBB109_6
; %bb.5:
	s_load_b64 s[8:9], s[0:1], 0x48
	s_wait_kmcnt 0x0
	global_load_b32 v1, v1, s[8:9] scale_offset
	s_wait_loadcnt 0x0
	v_subrev_nc_u32_e32 v2, s16, v1
.LBB109_6:
	s_or_b32 exec_lo, exec_lo, s3
	s_cmp_lt_i32 s5, 1
	s_cbranch_scc1 .LBB109_24
; %bb.7:
	s_load_b64 s[18:19], s[0:1], 0x40
	v_dual_lshlrev_b32 v4, 5, v3 :: v_dual_bitop2_b32 v16, 3, v0 bitop3:0x40
	v_and_b32_e32 v1, 0xf0, v0
	v_mbcnt_lo_u32_b32 v10, -1, 0
	s_clause 0x2
	s_load_b64 s[2:3], s[0:1], 0x50
	s_load_b64 s[8:9], s[0:1], 0x30
	;; [unrolled: 1-line block ×3, first 2 shown]
	v_mul_lo_u32 v0, s6, v16
	v_lshlrev_b32_e32 v6, 3, v16
	v_lshl_or_b32 v17, v1, 3, v4
	v_dual_mov_b32 v1, 0 :: v_dual_bitop2_b32 v4, 2, v10 bitop3:0x14
	v_xor_b32_e32 v7, 1, v10
	s_wait_xcnt 0x0
	v_cmp_gt_u32_e64 s0, s6, v16
	s_mov_b32 s13, 0
	v_cmp_gt_i32_e64 s1, 32, v4
	v_dual_mov_b32 v26, 1 :: v_dual_bitop2_b32 v18, v17, v6 bitop3:0x54
	s_delay_alu instid0(VALU_DEP_2)
	v_dual_cndmask_b32 v8, v10, v4, s1 :: v_dual_bitop2_b32 v12, 8, v10 bitop3:0x14
	s_wait_kmcnt 0x0
	v_lshl_add_u64 v[4:5], v[0:1], 3, s[18:19]
	v_lshlrev_b32_e32 v0, 3, v3
	s_and_b32 s1, vcc_lo, s0
	v_cmp_gt_i32_e32 vcc_lo, 32, v7
	s_cmp_lg_u32 s12, 0
	v_lshlrev_b32_e32 v19, 2, v8
	s_cselect_b32 s4, -1, 0
	s_abs_i32 s17, s6
	v_add_nc_u64_e32 v[4:5], v[4:5], v[0:1]
	v_mul_lo_u32 v0, s6, v3
	v_cndmask_b32_e32 v7, v10, v7, vcc_lo
	s_cvt_f32_u32 s0, s17
	v_cmp_gt_i32_e32 vcc_lo, 32, v12
	v_lshlrev_b32_e32 v3, 2, v10
	s_mov_b32 s12, s6
	v_rcp_iflag_f32_e32 v11, s0
	v_dual_mov_b32 v7, v1 :: v_dual_lshlrev_b32 v20, 2, v7
	s_delay_alu instid0(VALU_DEP_2) | instskip(SKIP_3) | instid1(TRANS32_DEP_1)
	v_or_b32_e32 v21, 12, v3
	s_mul_u64 s[14:15], s[12:13], s[12:13]
	v_lshl_add_u64 v[8:9], v[0:1], 3, s[18:19]
	v_xor_b32_e32 v0, 4, v10
	v_readfirstlane_b32 s0, v11
	v_cndmask_b32_e32 v11, v10, v12, vcc_lo
	s_sub_co_i32 s12, 0, s17
	v_add_nc_u64_e32 v[6:7], v[8:9], v[6:7]
	v_cmp_gt_i32_e32 vcc_lo, 32, v0
	s_mul_f32 s0, s0, 0x4f7ffffe
	v_mov_b64_e32 v[8:9], 0
	v_lshlrev_b32_e32 v23, 2, v11
	s_ashr_i32 s18, s6, 31
	v_cndmask_b32_e32 v0, v10, v0, vcc_lo
	s_cvt_u32_f32 s0, s0
	v_dual_mov_b32 v3, 0 :: v_dual_bitop2_b32 v25, 60, v3 bitop3:0x54
	s_mov_b32 s19, s13
	s_delay_alu instid0(SALU_CYCLE_1) | instskip(SKIP_2) | instid1(SALU_CYCLE_1)
	s_mul_i32 s12, s12, s0
	v_lshlrev_b32_e32 v24, 2, v0
	s_mul_hi_u32 s12, s0, s12
	s_add_co_i32 s12, s0, s12
	s_branch .LBB109_10
.LBB109_8:                              ;   in Loop: Header=BB109_10 Depth=1
	s_wait_xcnt 0x0
	s_or_b32 exec_lo, exec_lo, s20
	v_mov_b32_e32 v0, 1
.LBB109_9:                              ;   in Loop: Header=BB109_10 Depth=1
	s_or_b32 exec_lo, exec_lo, s0
	ds_bpermute_b32 v3, v23, v27
	s_wait_storecnt_dscnt 0x0
	v_dual_add_nc_u32 v2, v0, v2 :: v_dual_min_i32 v3, v3, v27
	ds_bpermute_b32 v10, v24, v3
	s_wait_dscnt 0x0
	v_min_i32_e32 v3, v10, v3
	ds_bpermute_b32 v10, v19, v3
	s_wait_dscnt 0x0
	v_min_i32_e32 v3, v10, v3
	;; [unrolled: 3-line block ×3, first 2 shown]
	ds_bpermute_b32 v3, v25, v3
	s_wait_dscnt 0x0
	v_cmp_le_i32_e32 vcc_lo, s5, v3
	s_or_b32 s19, vcc_lo, s19
	s_delay_alu instid0(SALU_CYCLE_1)
	s_and_not1_b32 exec_lo, exec_lo, s19
	s_cbranch_execz .LBB109_24
.LBB109_10:                             ; =>This Loop Header: Depth=1
                                        ;     Child Loop BB109_13 Depth 2
	v_dual_mov_b32 v27, s5 :: v_dual_add_nc_u32 v10, v22, v16
	v_mov_b32_e32 v11, v15
	s_mov_b32 s20, exec_lo
	ds_store_b8 v14, v1 offset:2048
	ds_store_b64 v18, v[8:9]
	s_wait_dscnt 0x0
	v_cmpx_lt_i32_e64 v10, v15
	s_cbranch_execz .LBB109_18
; %bb.11:                               ;   in Loop: Header=BB109_10 Depth=1
	v_mul_lo_u32 v12, v3, s6
	v_dual_mov_b32 v27, s5 :: v_dual_mov_b32 v11, v15
	s_mov_b32 s21, 0
	s_branch .LBB109_13
.LBB109_12:                             ;   in Loop: Header=BB109_13 Depth=2
	s_wait_xcnt 0x0
	s_or_b32 exec_lo, exec_lo, s0
	v_add_nc_u32_e32 v10, 4, v10
	s_xor_b32 s22, vcc_lo, -1
	s_delay_alu instid0(VALU_DEP_1) | instskip(SKIP_1) | instid1(SALU_CYCLE_1)
	v_cmp_ge_i32_e64 s0, v10, v15
	s_or_b32 s0, s22, s0
	s_and_b32 s0, exec_lo, s0
	s_delay_alu instid0(SALU_CYCLE_1) | instskip(NEXT) | instid1(SALU_CYCLE_1)
	s_or_b32 s21, s0, s21
	s_and_not1_b32 exec_lo, exec_lo, s21
	s_cbranch_execz .LBB109_17
.LBB109_13:                             ;   Parent Loop BB109_10 Depth=1
                                        ; =>  This Inner Loop Header: Depth=2
	global_load_b32 v0, v10, s[8:9] scale_offset
	s_wait_loadcnt 0x0
	v_subrev_nc_u32_e32 v13, s7, v0
	s_delay_alu instid0(VALU_DEP_1) | instskip(NEXT) | instid1(VALU_DEP_1)
	v_sub_nc_u32_e32 v0, 0, v13
	v_max_i32_e32 v0, v13, v0
	s_delay_alu instid0(VALU_DEP_1) | instskip(NEXT) | instid1(VALU_DEP_1)
	v_mul_u64_e32 v[28:29], s[12:13], v[0:1]
	v_mul_lo_u32 v22, v29, s17
	s_delay_alu instid0(VALU_DEP_1) | instskip(NEXT) | instid1(VALU_DEP_1)
	v_dual_sub_nc_u32 v0, v0, v22 :: v_dual_add_nc_u32 v22, 1, v29
	v_cmp_le_u32_e32 vcc_lo, s17, v0
	s_delay_alu instid0(VALU_DEP_2) | instskip(SKIP_1) | instid1(VALU_DEP_1)
	v_dual_cndmask_b32 v22, v29, v22 :: v_dual_ashrrev_i32 v29, 31, v13
	v_subrev_nc_u32_e32 v28, s17, v0
	v_dual_cndmask_b32 v0, v0, v28, vcc_lo :: v_dual_add_nc_u32 v28, 1, v22
	s_delay_alu instid0(VALU_DEP_1) | instskip(NEXT) | instid1(VALU_DEP_2)
	v_cmp_le_u32_e32 vcc_lo, s17, v0
	v_dual_cndmask_b32 v0, v22, v28, vcc_lo :: v_dual_bitop2_b32 v29, s18, v29 bitop3:0x14
	s_delay_alu instid0(VALU_DEP_1) | instskip(NEXT) | instid1(VALU_DEP_1)
	v_xor_b32_e32 v0, v0, v29
	v_dual_sub_nc_u32 v22, v0, v29 :: v_dual_mov_b32 v0, v11
	s_delay_alu instid0(VALU_DEP_1) | instskip(SKIP_3) | instid1(SALU_CYCLE_1)
	v_cmp_ne_u32_e64 s0, v22, v3
	v_cmp_eq_u32_e32 vcc_lo, v22, v3
	s_wait_xcnt 0x0
	s_and_saveexec_b32 s22, s0
	s_xor_b32 s0, exec_lo, s22
; %bb.14:                               ;   in Loop: Header=BB109_13 Depth=2
	v_min_i32_e32 v27, v22, v27
                                        ; implicit-def: $vgpr13
                                        ; implicit-def: $vgpr0
; %bb.15:                               ;   in Loop: Header=BB109_13 Depth=2
	s_or_saveexec_b32 s0, s0
	v_mov_b32_e32 v11, v10
	s_xor_b32 exec_lo, exec_lo, s0
	s_cbranch_execz .LBB109_12
; %bb.16:                               ;   in Loop: Header=BB109_13 Depth=2
	v_ashrrev_i32_e32 v11, 31, v10
	s_delay_alu instid0(VALU_DEP_1)
	v_lshl_add_u64 v[28:29], v[10:11], 3, s[10:11]
	v_sub_nc_u32_e32 v11, v13, v12
	global_load_b64 v[28:29], v[28:29], off
	v_lshl_add_u32 v13, v11, 3, v17
	v_mov_b32_e32 v11, v0
	ds_store_b8 v14, v26 offset:2048
	s_wait_loadcnt 0x0
	ds_store_b64 v13, v[28:29]
	s_branch .LBB109_12
.LBB109_17:                             ;   in Loop: Header=BB109_10 Depth=1
	s_or_b32 exec_lo, exec_lo, s21
.LBB109_18:                             ;   in Loop: Header=BB109_10 Depth=1
	s_delay_alu instid0(SALU_CYCLE_1)
	s_or_b32 exec_lo, exec_lo, s20
	ds_bpermute_b32 v0, v19, v11
	s_wait_dscnt 0x0
	v_min_i32_e32 v0, v0, v11
	ds_load_u8 v11, v14 offset:2048
	ds_bpermute_b32 v10, v20, v0
	s_wait_dscnt 0x0
	v_min_i32_e32 v0, v10, v0
	ds_bpermute_b32 v22, v21, v0
	v_and_b32_e32 v0, 1, v11
	s_delay_alu instid0(VALU_DEP_1)
	v_cmp_eq_u32_e32 vcc_lo, 1, v0
	v_mov_b32_e32 v0, 0
	s_and_saveexec_b32 s0, vcc_lo
	s_cbranch_execz .LBB109_9
; %bb.19:                               ;   in Loop: Header=BB109_10 Depth=1
	v_add_nc_u32_e32 v0, s16, v3
	global_store_b32 v2, v0, s[2:3] scale_offset
	s_wait_xcnt 0x0
	s_and_saveexec_b32 s20, s1
	s_cbranch_execz .LBB109_8
; %bb.20:                               ;   in Loop: Header=BB109_10 Depth=1
	v_ashrrev_i32_e32 v3, 31, v2
	ds_load_b64 v[12:13], v18
	s_and_b32 vcc_lo, exec_lo, s4
	v_mul_u64_e32 v[10:11], s[14:15], v[2:3]
	s_cbranch_vccz .LBB109_22
; %bb.21:                               ;   in Loop: Header=BB109_10 Depth=1
	s_delay_alu instid0(VALU_DEP_1)
	v_lshl_add_u64 v[28:29], v[10:11], 3, v[4:5]
	s_wait_dscnt 0x0
	global_store_b64 v[28:29], v[12:13], off
	s_cbranch_execnz .LBB109_8
	s_branch .LBB109_23
.LBB109_22:                             ;   in Loop: Header=BB109_10 Depth=1
.LBB109_23:                             ;   in Loop: Header=BB109_10 Depth=1
	s_delay_alu instid0(VALU_DEP_1)
	v_lshl_add_u64 v[10:11], v[10:11], 3, v[6:7]
	s_wait_dscnt 0x0
	global_store_b64 v[10:11], v[12:13], off
	s_branch .LBB109_8
.LBB109_24:
	s_endpgm
	.section	.rodata,"a",@progbits
	.p2align	6, 0x0
	.amdhsa_kernel _ZN9rocsparseL42csr2bsr_wavefront_per_row_multipass_kernelILj256ELj16ELj4EdiiEEv20rocsparse_direction_T4_S2_S2_S2_S2_21rocsparse_index_base_PKT2_PKT3_PKS2_S3_PS4_PS7_PS2_
		.amdhsa_group_segment_fixed_size 2064
		.amdhsa_private_segment_fixed_size 0
		.amdhsa_kernarg_size 88
		.amdhsa_user_sgpr_count 2
		.amdhsa_user_sgpr_dispatch_ptr 0
		.amdhsa_user_sgpr_queue_ptr 0
		.amdhsa_user_sgpr_kernarg_segment_ptr 1
		.amdhsa_user_sgpr_dispatch_id 0
		.amdhsa_user_sgpr_kernarg_preload_length 0
		.amdhsa_user_sgpr_kernarg_preload_offset 0
		.amdhsa_user_sgpr_private_segment_size 0
		.amdhsa_wavefront_size32 1
		.amdhsa_uses_dynamic_stack 0
		.amdhsa_enable_private_segment 0
		.amdhsa_system_sgpr_workgroup_id_x 1
		.amdhsa_system_sgpr_workgroup_id_y 0
		.amdhsa_system_sgpr_workgroup_id_z 0
		.amdhsa_system_sgpr_workgroup_info 0
		.amdhsa_system_vgpr_workitem_id 0
		.amdhsa_next_free_vgpr 30
		.amdhsa_next_free_sgpr 23
		.amdhsa_named_barrier_count 0
		.amdhsa_reserve_vcc 1
		.amdhsa_float_round_mode_32 0
		.amdhsa_float_round_mode_16_64 0
		.amdhsa_float_denorm_mode_32 3
		.amdhsa_float_denorm_mode_16_64 3
		.amdhsa_fp16_overflow 0
		.amdhsa_memory_ordered 1
		.amdhsa_forward_progress 1
		.amdhsa_inst_pref_size 11
		.amdhsa_round_robin_scheduling 0
		.amdhsa_exception_fp_ieee_invalid_op 0
		.amdhsa_exception_fp_denorm_src 0
		.amdhsa_exception_fp_ieee_div_zero 0
		.amdhsa_exception_fp_ieee_overflow 0
		.amdhsa_exception_fp_ieee_underflow 0
		.amdhsa_exception_fp_ieee_inexact 0
		.amdhsa_exception_int_div_zero 0
	.end_amdhsa_kernel
	.section	.text._ZN9rocsparseL42csr2bsr_wavefront_per_row_multipass_kernelILj256ELj16ELj4EdiiEEv20rocsparse_direction_T4_S2_S2_S2_S2_21rocsparse_index_base_PKT2_PKT3_PKS2_S3_PS4_PS7_PS2_,"axG",@progbits,_ZN9rocsparseL42csr2bsr_wavefront_per_row_multipass_kernelILj256ELj16ELj4EdiiEEv20rocsparse_direction_T4_S2_S2_S2_S2_21rocsparse_index_base_PKT2_PKT3_PKS2_S3_PS4_PS7_PS2_,comdat
.Lfunc_end109:
	.size	_ZN9rocsparseL42csr2bsr_wavefront_per_row_multipass_kernelILj256ELj16ELj4EdiiEEv20rocsparse_direction_T4_S2_S2_S2_S2_21rocsparse_index_base_PKT2_PKT3_PKS2_S3_PS4_PS7_PS2_, .Lfunc_end109-_ZN9rocsparseL42csr2bsr_wavefront_per_row_multipass_kernelILj256ELj16ELj4EdiiEEv20rocsparse_direction_T4_S2_S2_S2_S2_21rocsparse_index_base_PKT2_PKT3_PKS2_S3_PS4_PS7_PS2_
                                        ; -- End function
	.set _ZN9rocsparseL42csr2bsr_wavefront_per_row_multipass_kernelILj256ELj16ELj4EdiiEEv20rocsparse_direction_T4_S2_S2_S2_S2_21rocsparse_index_base_PKT2_PKT3_PKS2_S3_PS4_PS7_PS2_.num_vgpr, 30
	.set _ZN9rocsparseL42csr2bsr_wavefront_per_row_multipass_kernelILj256ELj16ELj4EdiiEEv20rocsparse_direction_T4_S2_S2_S2_S2_21rocsparse_index_base_PKT2_PKT3_PKS2_S3_PS4_PS7_PS2_.num_agpr, 0
	.set _ZN9rocsparseL42csr2bsr_wavefront_per_row_multipass_kernelILj256ELj16ELj4EdiiEEv20rocsparse_direction_T4_S2_S2_S2_S2_21rocsparse_index_base_PKT2_PKT3_PKS2_S3_PS4_PS7_PS2_.numbered_sgpr, 23
	.set _ZN9rocsparseL42csr2bsr_wavefront_per_row_multipass_kernelILj256ELj16ELj4EdiiEEv20rocsparse_direction_T4_S2_S2_S2_S2_21rocsparse_index_base_PKT2_PKT3_PKS2_S3_PS4_PS7_PS2_.num_named_barrier, 0
	.set _ZN9rocsparseL42csr2bsr_wavefront_per_row_multipass_kernelILj256ELj16ELj4EdiiEEv20rocsparse_direction_T4_S2_S2_S2_S2_21rocsparse_index_base_PKT2_PKT3_PKS2_S3_PS4_PS7_PS2_.private_seg_size, 0
	.set _ZN9rocsparseL42csr2bsr_wavefront_per_row_multipass_kernelILj256ELj16ELj4EdiiEEv20rocsparse_direction_T4_S2_S2_S2_S2_21rocsparse_index_base_PKT2_PKT3_PKS2_S3_PS4_PS7_PS2_.uses_vcc, 1
	.set _ZN9rocsparseL42csr2bsr_wavefront_per_row_multipass_kernelILj256ELj16ELj4EdiiEEv20rocsparse_direction_T4_S2_S2_S2_S2_21rocsparse_index_base_PKT2_PKT3_PKS2_S3_PS4_PS7_PS2_.uses_flat_scratch, 0
	.set _ZN9rocsparseL42csr2bsr_wavefront_per_row_multipass_kernelILj256ELj16ELj4EdiiEEv20rocsparse_direction_T4_S2_S2_S2_S2_21rocsparse_index_base_PKT2_PKT3_PKS2_S3_PS4_PS7_PS2_.has_dyn_sized_stack, 0
	.set _ZN9rocsparseL42csr2bsr_wavefront_per_row_multipass_kernelILj256ELj16ELj4EdiiEEv20rocsparse_direction_T4_S2_S2_S2_S2_21rocsparse_index_base_PKT2_PKT3_PKS2_S3_PS4_PS7_PS2_.has_recursion, 0
	.set _ZN9rocsparseL42csr2bsr_wavefront_per_row_multipass_kernelILj256ELj16ELj4EdiiEEv20rocsparse_direction_T4_S2_S2_S2_S2_21rocsparse_index_base_PKT2_PKT3_PKS2_S3_PS4_PS7_PS2_.has_indirect_call, 0
	.section	.AMDGPU.csdata,"",@progbits
; Kernel info:
; codeLenInByte = 1324
; TotalNumSgprs: 25
; NumVgprs: 30
; ScratchSize: 0
; MemoryBound: 0
; FloatMode: 240
; IeeeMode: 1
; LDSByteSize: 2064 bytes/workgroup (compile time only)
; SGPRBlocks: 0
; VGPRBlocks: 1
; NumSGPRsForWavesPerEU: 25
; NumVGPRsForWavesPerEU: 30
; NamedBarCnt: 0
; Occupancy: 16
; WaveLimiterHint : 0
; COMPUTE_PGM_RSRC2:SCRATCH_EN: 0
; COMPUTE_PGM_RSRC2:USER_SGPR: 2
; COMPUTE_PGM_RSRC2:TRAP_HANDLER: 0
; COMPUTE_PGM_RSRC2:TGID_X_EN: 1
; COMPUTE_PGM_RSRC2:TGID_Y_EN: 0
; COMPUTE_PGM_RSRC2:TGID_Z_EN: 0
; COMPUTE_PGM_RSRC2:TIDIG_COMP_CNT: 0
	.section	.text._ZN9rocsparseL42csr2bsr_wavefront_per_row_multipass_kernelILj256ELj64ELj8EdiiEEv20rocsparse_direction_T4_S2_S2_S2_S2_21rocsparse_index_base_PKT2_PKT3_PKS2_S3_PS4_PS7_PS2_,"axG",@progbits,_ZN9rocsparseL42csr2bsr_wavefront_per_row_multipass_kernelILj256ELj64ELj8EdiiEEv20rocsparse_direction_T4_S2_S2_S2_S2_21rocsparse_index_base_PKT2_PKT3_PKS2_S3_PS4_PS7_PS2_,comdat
	.globl	_ZN9rocsparseL42csr2bsr_wavefront_per_row_multipass_kernelILj256ELj64ELj8EdiiEEv20rocsparse_direction_T4_S2_S2_S2_S2_21rocsparse_index_base_PKT2_PKT3_PKS2_S3_PS4_PS7_PS2_ ; -- Begin function _ZN9rocsparseL42csr2bsr_wavefront_per_row_multipass_kernelILj256ELj64ELj8EdiiEEv20rocsparse_direction_T4_S2_S2_S2_S2_21rocsparse_index_base_PKT2_PKT3_PKS2_S3_PS4_PS7_PS2_
	.p2align	8
	.type	_ZN9rocsparseL42csr2bsr_wavefront_per_row_multipass_kernelILj256ELj64ELj8EdiiEEv20rocsparse_direction_T4_S2_S2_S2_S2_21rocsparse_index_base_PKT2_PKT3_PKS2_S3_PS4_PS7_PS2_,@function
_ZN9rocsparseL42csr2bsr_wavefront_per_row_multipass_kernelILj256ELj64ELj8EdiiEEv20rocsparse_direction_T4_S2_S2_S2_S2_21rocsparse_index_base_PKT2_PKT3_PKS2_S3_PS4_PS7_PS2_: ; @_ZN9rocsparseL42csr2bsr_wavefront_per_row_multipass_kernelILj256ELj64ELj8EdiiEEv20rocsparse_direction_T4_S2_S2_S2_S2_21rocsparse_index_base_PKT2_PKT3_PKS2_S3_PS4_PS7_PS2_
; %bb.0:
	s_clause 0x1
	s_load_b128 s[4:7], s[0:1], 0xc
	s_load_b64 s[12:13], s[0:1], 0x0
	s_bfe_u32 s2, ttmp6, 0x4000c
	s_and_b32 s3, ttmp6, 15
	s_add_co_i32 s2, s2, 1
	s_getreg_b32 s8, hwreg(HW_REG_IB_STS2, 6, 4)
	s_mul_i32 s2, ttmp9, s2
	v_dual_lshrrev_b32 v14, 6, v0 :: v_dual_mov_b32 v2, 0
	s_add_co_i32 s3, s3, s2
	s_cmp_eq_u32 s8, 0
	v_bfe_u32 v3, v0, 3, 3
	s_cselect_b32 s2, ttmp9, s3
	s_load_b64 s[8:9], s[0:1], 0x28
	v_lshl_or_b32 v1, s2, 2, v14
	v_mov_b32_e32 v23, 0
	s_wait_kmcnt 0x0
	s_delay_alu instid0(VALU_DEP_2) | instskip(SKIP_1) | instid1(VALU_DEP_2)
	v_mad_u32 v4, v1, s6, v3
	v_cmp_gt_i32_e32 vcc_lo, s6, v3
	v_cmp_gt_i32_e64 s2, s13, v4
	s_and_b32 s2, vcc_lo, s2
	s_delay_alu instid0(SALU_CYCLE_1)
	s_and_saveexec_b32 s3, s2
	s_cbranch_execz .LBB110_2
; %bb.1:
	global_load_b32 v5, v4, s[8:9] scale_offset
	s_wait_loadcnt 0x0
	v_subrev_nc_u32_e32 v23, s7, v5
.LBB110_2:
	s_or_b32 exec_lo, exec_lo, s3
	v_mov_b32_e32 v15, 0
	s_and_saveexec_b32 s3, s2
	s_cbranch_execz .LBB110_4
; %bb.3:
	global_load_b32 v4, v4, s[8:9] offset:4 scale_offset
	s_wait_loadcnt 0x0
	v_subrev_nc_u32_e32 v15, s7, v4
.LBB110_4:
	s_or_b32 exec_lo, exec_lo, s3
	s_load_b32 s16, s[0:1], 0x38
	s_mov_b32 s3, exec_lo
	v_cmpx_gt_i32_e64 s4, v1
	s_cbranch_execz .LBB110_6
; %bb.5:
	s_load_b64 s[8:9], s[0:1], 0x48
	s_wait_kmcnt 0x0
	global_load_b32 v1, v1, s[8:9] scale_offset
	s_wait_loadcnt 0x0
	v_subrev_nc_u32_e32 v2, s16, v1
.LBB110_6:
	s_or_b32 exec_lo, exec_lo, s3
	s_cmp_lt_i32 s5, 1
	s_cbranch_scc1 .LBB110_24
; %bb.7:
	s_load_b64 s[14:15], s[0:1], 0x40
	v_dual_lshlrev_b32 v5, 6, v3 :: v_dual_bitop2_b32 v16, 7, v0 bitop3:0x40
	v_and_b32_e32 v4, 0xc0, v0
	v_mbcnt_lo_u32_b32 v10, -1, 0
	v_mov_b32_e32 v1, 0
	s_delay_alu instid0(VALU_DEP_4)
	v_mul_lo_u32 v0, s6, v16
	s_clause 0x2
	s_load_b64 s[2:3], s[0:1], 0x50
	s_load_b64 s[8:9], s[0:1], 0x30
	;; [unrolled: 1-line block ×3, first 2 shown]
	v_lshl_or_b32 v17, v4, 3, v5
	v_dual_lshlrev_b32 v6, 3, v16 :: v_dual_bitop2_b32 v4, 4, v10 bitop3:0x14
	v_xor_b32_e32 v7, 2, v10
	s_wait_xcnt 0x0
	v_cmp_gt_u32_e64 s0, s6, v16
	s_mov_b32 s13, 0
	v_cmp_gt_i32_e64 s1, 32, v4
	v_xor_b32_e32 v8, 1, v10
	v_lshl_or_b32 v22, v10, 2, 28
	v_bfrev_b32_e32 v27, 0.5
	s_mov_b32 s19, s13
	v_cndmask_b32_e64 v9, v10, v4, s1
	s_wait_kmcnt 0x0
	v_lshl_add_u64 v[4:5], v[0:1], 3, s[14:15]
	v_dual_lshlrev_b32 v0, 3, v3 :: v_dual_bitop2_b32 v18, v17, v6 bitop3:0x54
	v_cmp_gt_i32_e64 s1, 32, v7
	v_dual_mov_b32 v28, 1 :: v_dual_lshlrev_b32 v19, 2, v9
	s_delay_alu instid0(VALU_DEP_3) | instskip(SKIP_1) | instid1(VALU_DEP_4)
	v_add_nc_u64_e32 v[4:5], v[4:5], v[0:1]
	v_mul_lo_u32 v0, s6, v3
	v_cndmask_b32_e64 v7, v10, v7, s1
	v_cmp_gt_i32_e64 s1, 32, v8
	s_delay_alu instid0(VALU_DEP_1)
	v_dual_lshlrev_b32 v20, 2, v7 :: v_dual_cndmask_b32 v3, v10, v8, s1
	s_and_b32 s1, vcc_lo, s0
	s_cmp_lg_u32 s12, 0
	v_mov_b32_e32 v7, v1
	v_lshl_add_u64 v[8:9], v[0:1], 3, s[14:15]
	v_lshlrev_b32_e32 v21, 2, v3
	s_cselect_b32 s4, -1, 0
	s_abs_i32 s17, s6
	s_mov_b32 s12, s6
	s_cvt_f32_u32 s0, s17
	v_add_nc_u64_e32 v[6:7], v[8:9], v[6:7]
	v_xor_b32_e32 v9, 8, v10
	v_or_b32_e32 v3, 32, v10
	v_rcp_iflag_f32_e32 v0, s0
	s_mul_u64 s[14:15], s[12:13], s[12:13]
	s_sub_co_i32 s12, 0, s17
	s_ashr_i32 s18, s6, 31
	v_cmp_gt_i32_e32 vcc_lo, 32, v3
	v_xor_b32_e32 v8, 16, v10
	s_delay_alu instid0(TRANS32_DEP_1) | instskip(SKIP_1) | instid1(VALU_DEP_3)
	v_readfirstlane_b32 s0, v0
	v_cndmask_b32_e32 v0, v10, v3, vcc_lo
	v_cmp_gt_i32_e32 vcc_lo, 32, v8
	s_mul_f32 s0, s0, 0x4f7ffffe
	v_cndmask_b32_e32 v3, v10, v8, vcc_lo
	v_cmp_gt_i32_e32 vcc_lo, 32, v9
	s_delay_alu instid0(SALU_CYCLE_1) | instskip(NEXT) | instid1(VALU_DEP_2)
	s_cvt_u32_f32 s0, s0
	v_dual_lshlrev_b32 v24, 2, v0 :: v_dual_lshlrev_b32 v25, 2, v3
	v_cndmask_b32_e32 v8, v10, v9, vcc_lo
	s_delay_alu instid0(SALU_CYCLE_1) | instskip(SKIP_2) | instid1(VALU_DEP_2)
	s_mul_i32 s12, s12, s0
	v_mov_b32_e32 v3, 0
	s_mul_hi_u32 s12, s0, s12
	v_lshlrev_b32_e32 v26, 2, v8
	v_mov_b64_e32 v[8:9], 0
	s_add_co_i32 s12, s0, s12
	s_branch .LBB110_10
.LBB110_8:                              ;   in Loop: Header=BB110_10 Depth=1
	s_wait_xcnt 0x0
	s_or_b32 exec_lo, exec_lo, s20
	v_mov_b32_e32 v0, 1
.LBB110_9:                              ;   in Loop: Header=BB110_10 Depth=1
	s_or_b32 exec_lo, exec_lo, s0
	ds_bpermute_b32 v3, v24, v29
	s_wait_storecnt_dscnt 0x0
	v_dual_add_nc_u32 v2, v0, v2 :: v_dual_min_i32 v3, v3, v29
	ds_bpermute_b32 v10, v25, v3
	s_wait_dscnt 0x0
	v_min_i32_e32 v3, v10, v3
	ds_bpermute_b32 v10, v26, v3
	s_wait_dscnt 0x0
	v_min_i32_e32 v3, v10, v3
	;; [unrolled: 3-line block ×5, first 2 shown]
	ds_bpermute_b32 v3, v27, v3
	s_wait_dscnt 0x0
	v_cmp_le_i32_e32 vcc_lo, s5, v3
	s_or_b32 s19, vcc_lo, s19
	s_delay_alu instid0(SALU_CYCLE_1)
	s_and_not1_b32 exec_lo, exec_lo, s19
	s_cbranch_execz .LBB110_24
.LBB110_10:                             ; =>This Loop Header: Depth=1
                                        ;     Child Loop BB110_13 Depth 2
	v_dual_mov_b32 v29, s5 :: v_dual_add_nc_u32 v10, v23, v16
	v_mov_b32_e32 v11, v15
	s_mov_b32 s20, exec_lo
	ds_store_b8 v14, v1 offset:2048
	ds_store_b64 v18, v[8:9]
	s_wait_dscnt 0x0
	v_cmpx_lt_i32_e64 v10, v15
	s_cbranch_execz .LBB110_18
; %bb.11:                               ;   in Loop: Header=BB110_10 Depth=1
	v_mul_lo_u32 v12, v3, s6
	v_dual_mov_b32 v29, s5 :: v_dual_mov_b32 v11, v15
	s_mov_b32 s21, 0
	s_branch .LBB110_13
.LBB110_12:                             ;   in Loop: Header=BB110_13 Depth=2
	s_wait_xcnt 0x0
	s_or_b32 exec_lo, exec_lo, s0
	v_add_nc_u32_e32 v10, 8, v10
	s_xor_b32 s22, vcc_lo, -1
	s_delay_alu instid0(VALU_DEP_1) | instskip(SKIP_1) | instid1(SALU_CYCLE_1)
	v_cmp_ge_i32_e64 s0, v10, v15
	s_or_b32 s0, s22, s0
	s_and_b32 s0, exec_lo, s0
	s_delay_alu instid0(SALU_CYCLE_1) | instskip(NEXT) | instid1(SALU_CYCLE_1)
	s_or_b32 s21, s0, s21
	s_and_not1_b32 exec_lo, exec_lo, s21
	s_cbranch_execz .LBB110_17
.LBB110_13:                             ;   Parent Loop BB110_10 Depth=1
                                        ; =>  This Inner Loop Header: Depth=2
	global_load_b32 v0, v10, s[8:9] scale_offset
	s_wait_loadcnt 0x0
	v_subrev_nc_u32_e32 v13, s7, v0
	s_delay_alu instid0(VALU_DEP_1) | instskip(NEXT) | instid1(VALU_DEP_1)
	v_sub_nc_u32_e32 v0, 0, v13
	v_max_i32_e32 v0, v13, v0
	s_delay_alu instid0(VALU_DEP_1) | instskip(NEXT) | instid1(VALU_DEP_1)
	v_mul_u64_e32 v[30:31], s[12:13], v[0:1]
	v_mul_lo_u32 v23, v31, s17
	s_delay_alu instid0(VALU_DEP_1) | instskip(SKIP_1) | instid1(VALU_DEP_2)
	v_sub_nc_u32_e32 v0, v0, v23
	v_add_nc_u32_e32 v23, 1, v31
	v_cmp_le_u32_e32 vcc_lo, s17, v0
	s_delay_alu instid0(VALU_DEP_2) | instskip(SKIP_1) | instid1(VALU_DEP_1)
	v_dual_cndmask_b32 v23, v31, v23, vcc_lo :: v_dual_ashrrev_i32 v31, 31, v13
	v_subrev_nc_u32_e32 v30, s17, v0
	v_dual_cndmask_b32 v0, v0, v30, vcc_lo :: v_dual_add_nc_u32 v30, 1, v23
	s_delay_alu instid0(VALU_DEP_1) | instskip(NEXT) | instid1(VALU_DEP_2)
	v_cmp_le_u32_e32 vcc_lo, s17, v0
	v_dual_cndmask_b32 v0, v23, v30, vcc_lo :: v_dual_bitop2_b32 v31, s18, v31 bitop3:0x14
	s_delay_alu instid0(VALU_DEP_1) | instskip(NEXT) | instid1(VALU_DEP_1)
	v_xor_b32_e32 v0, v0, v31
	v_dual_mov_b32 v0, v11 :: v_dual_sub_nc_u32 v23, v0, v31
	s_delay_alu instid0(VALU_DEP_1) | instskip(SKIP_3) | instid1(SALU_CYCLE_1)
	v_cmp_ne_u32_e64 s0, v23, v3
	v_cmp_eq_u32_e32 vcc_lo, v23, v3
	s_wait_xcnt 0x0
	s_and_saveexec_b32 s22, s0
	s_xor_b32 s0, exec_lo, s22
; %bb.14:                               ;   in Loop: Header=BB110_13 Depth=2
	v_min_i32_e32 v29, v23, v29
                                        ; implicit-def: $vgpr13
                                        ; implicit-def: $vgpr0
; %bb.15:                               ;   in Loop: Header=BB110_13 Depth=2
	s_or_saveexec_b32 s0, s0
	v_mov_b32_e32 v11, v10
	s_xor_b32 exec_lo, exec_lo, s0
	s_cbranch_execz .LBB110_12
; %bb.16:                               ;   in Loop: Header=BB110_13 Depth=2
	v_ashrrev_i32_e32 v11, 31, v10
	s_delay_alu instid0(VALU_DEP_1)
	v_lshl_add_u64 v[30:31], v[10:11], 3, s[10:11]
	v_sub_nc_u32_e32 v11, v13, v12
	global_load_b64 v[30:31], v[30:31], off
	v_lshl_add_u32 v13, v11, 3, v17
	v_mov_b32_e32 v11, v0
	ds_store_b8 v14, v28 offset:2048
	s_wait_loadcnt 0x0
	ds_store_b64 v13, v[30:31]
	s_branch .LBB110_12
.LBB110_17:                             ;   in Loop: Header=BB110_10 Depth=1
	s_or_b32 exec_lo, exec_lo, s21
.LBB110_18:                             ;   in Loop: Header=BB110_10 Depth=1
	s_delay_alu instid0(SALU_CYCLE_1)
	s_or_b32 exec_lo, exec_lo, s20
	ds_bpermute_b32 v0, v19, v11
	s_wait_dscnt 0x0
	v_min_i32_e32 v0, v0, v11
	ds_load_u8 v11, v14 offset:2048
	ds_bpermute_b32 v10, v20, v0
	s_wait_dscnt 0x0
	v_min_i32_e32 v0, v10, v0
	ds_bpermute_b32 v10, v21, v0
	s_wait_dscnt 0x0
	v_min_i32_e32 v0, v10, v0
	ds_bpermute_b32 v23, v22, v0
	v_and_b32_e32 v0, 1, v11
	s_delay_alu instid0(VALU_DEP_1)
	v_cmp_eq_u32_e32 vcc_lo, 1, v0
	v_mov_b32_e32 v0, 0
	s_and_saveexec_b32 s0, vcc_lo
	s_cbranch_execz .LBB110_9
; %bb.19:                               ;   in Loop: Header=BB110_10 Depth=1
	v_add_nc_u32_e32 v0, s16, v3
	global_store_b32 v2, v0, s[2:3] scale_offset
	s_wait_xcnt 0x0
	s_and_saveexec_b32 s20, s1
	s_cbranch_execz .LBB110_8
; %bb.20:                               ;   in Loop: Header=BB110_10 Depth=1
	v_ashrrev_i32_e32 v3, 31, v2
	ds_load_b64 v[12:13], v18
	s_and_b32 vcc_lo, exec_lo, s4
	v_mul_u64_e32 v[10:11], s[14:15], v[2:3]
	s_cbranch_vccz .LBB110_22
; %bb.21:                               ;   in Loop: Header=BB110_10 Depth=1
	s_delay_alu instid0(VALU_DEP_1)
	v_lshl_add_u64 v[30:31], v[10:11], 3, v[4:5]
	s_wait_dscnt 0x0
	global_store_b64 v[30:31], v[12:13], off
	s_cbranch_execnz .LBB110_8
	s_branch .LBB110_23
.LBB110_22:                             ;   in Loop: Header=BB110_10 Depth=1
.LBB110_23:                             ;   in Loop: Header=BB110_10 Depth=1
	s_delay_alu instid0(VALU_DEP_1)
	v_lshl_add_u64 v[10:11], v[10:11], 3, v[6:7]
	s_wait_dscnt 0x0
	global_store_b64 v[10:11], v[12:13], off
	s_branch .LBB110_8
.LBB110_24:
	s_endpgm
	.section	.rodata,"a",@progbits
	.p2align	6, 0x0
	.amdhsa_kernel _ZN9rocsparseL42csr2bsr_wavefront_per_row_multipass_kernelILj256ELj64ELj8EdiiEEv20rocsparse_direction_T4_S2_S2_S2_S2_21rocsparse_index_base_PKT2_PKT3_PKS2_S3_PS4_PS7_PS2_
		.amdhsa_group_segment_fixed_size 2056
		.amdhsa_private_segment_fixed_size 0
		.amdhsa_kernarg_size 88
		.amdhsa_user_sgpr_count 2
		.amdhsa_user_sgpr_dispatch_ptr 0
		.amdhsa_user_sgpr_queue_ptr 0
		.amdhsa_user_sgpr_kernarg_segment_ptr 1
		.amdhsa_user_sgpr_dispatch_id 0
		.amdhsa_user_sgpr_kernarg_preload_length 0
		.amdhsa_user_sgpr_kernarg_preload_offset 0
		.amdhsa_user_sgpr_private_segment_size 0
		.amdhsa_wavefront_size32 1
		.amdhsa_uses_dynamic_stack 0
		.amdhsa_enable_private_segment 0
		.amdhsa_system_sgpr_workgroup_id_x 1
		.amdhsa_system_sgpr_workgroup_id_y 0
		.amdhsa_system_sgpr_workgroup_id_z 0
		.amdhsa_system_sgpr_workgroup_info 0
		.amdhsa_system_vgpr_workitem_id 0
		.amdhsa_next_free_vgpr 32
		.amdhsa_next_free_sgpr 23
		.amdhsa_named_barrier_count 0
		.amdhsa_reserve_vcc 1
		.amdhsa_float_round_mode_32 0
		.amdhsa_float_round_mode_16_64 0
		.amdhsa_float_denorm_mode_32 3
		.amdhsa_float_denorm_mode_16_64 3
		.amdhsa_fp16_overflow 0
		.amdhsa_memory_ordered 1
		.amdhsa_forward_progress 1
		.amdhsa_inst_pref_size 12
		.amdhsa_round_robin_scheduling 0
		.amdhsa_exception_fp_ieee_invalid_op 0
		.amdhsa_exception_fp_denorm_src 0
		.amdhsa_exception_fp_ieee_div_zero 0
		.amdhsa_exception_fp_ieee_overflow 0
		.amdhsa_exception_fp_ieee_underflow 0
		.amdhsa_exception_fp_ieee_inexact 0
		.amdhsa_exception_int_div_zero 0
	.end_amdhsa_kernel
	.section	.text._ZN9rocsparseL42csr2bsr_wavefront_per_row_multipass_kernelILj256ELj64ELj8EdiiEEv20rocsparse_direction_T4_S2_S2_S2_S2_21rocsparse_index_base_PKT2_PKT3_PKS2_S3_PS4_PS7_PS2_,"axG",@progbits,_ZN9rocsparseL42csr2bsr_wavefront_per_row_multipass_kernelILj256ELj64ELj8EdiiEEv20rocsparse_direction_T4_S2_S2_S2_S2_21rocsparse_index_base_PKT2_PKT3_PKS2_S3_PS4_PS7_PS2_,comdat
.Lfunc_end110:
	.size	_ZN9rocsparseL42csr2bsr_wavefront_per_row_multipass_kernelILj256ELj64ELj8EdiiEEv20rocsparse_direction_T4_S2_S2_S2_S2_21rocsparse_index_base_PKT2_PKT3_PKS2_S3_PS4_PS7_PS2_, .Lfunc_end110-_ZN9rocsparseL42csr2bsr_wavefront_per_row_multipass_kernelILj256ELj64ELj8EdiiEEv20rocsparse_direction_T4_S2_S2_S2_S2_21rocsparse_index_base_PKT2_PKT3_PKS2_S3_PS4_PS7_PS2_
                                        ; -- End function
	.set _ZN9rocsparseL42csr2bsr_wavefront_per_row_multipass_kernelILj256ELj64ELj8EdiiEEv20rocsparse_direction_T4_S2_S2_S2_S2_21rocsparse_index_base_PKT2_PKT3_PKS2_S3_PS4_PS7_PS2_.num_vgpr, 32
	.set _ZN9rocsparseL42csr2bsr_wavefront_per_row_multipass_kernelILj256ELj64ELj8EdiiEEv20rocsparse_direction_T4_S2_S2_S2_S2_21rocsparse_index_base_PKT2_PKT3_PKS2_S3_PS4_PS7_PS2_.num_agpr, 0
	.set _ZN9rocsparseL42csr2bsr_wavefront_per_row_multipass_kernelILj256ELj64ELj8EdiiEEv20rocsparse_direction_T4_S2_S2_S2_S2_21rocsparse_index_base_PKT2_PKT3_PKS2_S3_PS4_PS7_PS2_.numbered_sgpr, 23
	.set _ZN9rocsparseL42csr2bsr_wavefront_per_row_multipass_kernelILj256ELj64ELj8EdiiEEv20rocsparse_direction_T4_S2_S2_S2_S2_21rocsparse_index_base_PKT2_PKT3_PKS2_S3_PS4_PS7_PS2_.num_named_barrier, 0
	.set _ZN9rocsparseL42csr2bsr_wavefront_per_row_multipass_kernelILj256ELj64ELj8EdiiEEv20rocsparse_direction_T4_S2_S2_S2_S2_21rocsparse_index_base_PKT2_PKT3_PKS2_S3_PS4_PS7_PS2_.private_seg_size, 0
	.set _ZN9rocsparseL42csr2bsr_wavefront_per_row_multipass_kernelILj256ELj64ELj8EdiiEEv20rocsparse_direction_T4_S2_S2_S2_S2_21rocsparse_index_base_PKT2_PKT3_PKS2_S3_PS4_PS7_PS2_.uses_vcc, 1
	.set _ZN9rocsparseL42csr2bsr_wavefront_per_row_multipass_kernelILj256ELj64ELj8EdiiEEv20rocsparse_direction_T4_S2_S2_S2_S2_21rocsparse_index_base_PKT2_PKT3_PKS2_S3_PS4_PS7_PS2_.uses_flat_scratch, 0
	.set _ZN9rocsparseL42csr2bsr_wavefront_per_row_multipass_kernelILj256ELj64ELj8EdiiEEv20rocsparse_direction_T4_S2_S2_S2_S2_21rocsparse_index_base_PKT2_PKT3_PKS2_S3_PS4_PS7_PS2_.has_dyn_sized_stack, 0
	.set _ZN9rocsparseL42csr2bsr_wavefront_per_row_multipass_kernelILj256ELj64ELj8EdiiEEv20rocsparse_direction_T4_S2_S2_S2_S2_21rocsparse_index_base_PKT2_PKT3_PKS2_S3_PS4_PS7_PS2_.has_recursion, 0
	.set _ZN9rocsparseL42csr2bsr_wavefront_per_row_multipass_kernelILj256ELj64ELj8EdiiEEv20rocsparse_direction_T4_S2_S2_S2_S2_21rocsparse_index_base_PKT2_PKT3_PKS2_S3_PS4_PS7_PS2_.has_indirect_call, 0
	.section	.AMDGPU.csdata,"",@progbits
; Kernel info:
; codeLenInByte = 1428
; TotalNumSgprs: 25
; NumVgprs: 32
; ScratchSize: 0
; MemoryBound: 0
; FloatMode: 240
; IeeeMode: 1
; LDSByteSize: 2056 bytes/workgroup (compile time only)
; SGPRBlocks: 0
; VGPRBlocks: 1
; NumSGPRsForWavesPerEU: 25
; NumVGPRsForWavesPerEU: 32
; NamedBarCnt: 0
; Occupancy: 16
; WaveLimiterHint : 0
; COMPUTE_PGM_RSRC2:SCRATCH_EN: 0
; COMPUTE_PGM_RSRC2:USER_SGPR: 2
; COMPUTE_PGM_RSRC2:TRAP_HANDLER: 0
; COMPUTE_PGM_RSRC2:TGID_X_EN: 1
; COMPUTE_PGM_RSRC2:TGID_Y_EN: 0
; COMPUTE_PGM_RSRC2:TGID_Z_EN: 0
; COMPUTE_PGM_RSRC2:TIDIG_COMP_CNT: 0
	.section	.text._ZN9rocsparseL42csr2bsr_wavefront_per_row_multipass_kernelILj256ELj32ELj8EdiiEEv20rocsparse_direction_T4_S2_S2_S2_S2_21rocsparse_index_base_PKT2_PKT3_PKS2_S3_PS4_PS7_PS2_,"axG",@progbits,_ZN9rocsparseL42csr2bsr_wavefront_per_row_multipass_kernelILj256ELj32ELj8EdiiEEv20rocsparse_direction_T4_S2_S2_S2_S2_21rocsparse_index_base_PKT2_PKT3_PKS2_S3_PS4_PS7_PS2_,comdat
	.globl	_ZN9rocsparseL42csr2bsr_wavefront_per_row_multipass_kernelILj256ELj32ELj8EdiiEEv20rocsparse_direction_T4_S2_S2_S2_S2_21rocsparse_index_base_PKT2_PKT3_PKS2_S3_PS4_PS7_PS2_ ; -- Begin function _ZN9rocsparseL42csr2bsr_wavefront_per_row_multipass_kernelILj256ELj32ELj8EdiiEEv20rocsparse_direction_T4_S2_S2_S2_S2_21rocsparse_index_base_PKT2_PKT3_PKS2_S3_PS4_PS7_PS2_
	.p2align	8
	.type	_ZN9rocsparseL42csr2bsr_wavefront_per_row_multipass_kernelILj256ELj32ELj8EdiiEEv20rocsparse_direction_T4_S2_S2_S2_S2_21rocsparse_index_base_PKT2_PKT3_PKS2_S3_PS4_PS7_PS2_,@function
_ZN9rocsparseL42csr2bsr_wavefront_per_row_multipass_kernelILj256ELj32ELj8EdiiEEv20rocsparse_direction_T4_S2_S2_S2_S2_21rocsparse_index_base_PKT2_PKT3_PKS2_S3_PS4_PS7_PS2_: ; @_ZN9rocsparseL42csr2bsr_wavefront_per_row_multipass_kernelILj256ELj32ELj8EdiiEEv20rocsparse_direction_T4_S2_S2_S2_S2_21rocsparse_index_base_PKT2_PKT3_PKS2_S3_PS4_PS7_PS2_
; %bb.0:
	s_clause 0x1
	s_load_b128 s[4:7], s[0:1], 0xc
	s_load_b64 s[12:13], s[0:1], 0x0
	s_bfe_u32 s2, ttmp6, 0x4000c
	s_and_b32 s3, ttmp6, 15
	s_add_co_i32 s2, s2, 1
	s_getreg_b32 s8, hwreg(HW_REG_IB_STS2, 6, 4)
	s_mul_i32 s2, ttmp9, s2
	v_dual_mov_b32 v2, 0 :: v_dual_lshrrev_b32 v1, 5, v0
	s_add_co_i32 s3, s3, s2
	s_cmp_eq_u32 s8, 0
	v_bfe_u32 v3, v0, 2, 3
	s_cselect_b32 s2, ttmp9, s3
	s_load_b64 s[8:9], s[0:1], 0x28
	v_lshl_or_b32 v4, s2, 3, v1
	v_mov_b32_e32 v31, 0
	s_wait_kmcnt 0x0
	s_delay_alu instid0(VALU_DEP_2) | instskip(SKIP_1) | instid1(VALU_DEP_2)
	v_mad_u32 v5, v4, s6, v3
	v_cmp_gt_i32_e32 vcc_lo, s6, v3
	v_cmp_gt_i32_e64 s2, s13, v5
	s_and_b32 s2, vcc_lo, s2
	s_delay_alu instid0(SALU_CYCLE_1)
	s_and_saveexec_b32 s3, s2
	s_cbranch_execz .LBB111_2
; %bb.1:
	global_load_b32 v6, v5, s[8:9] scale_offset
	s_wait_loadcnt 0x0
	v_subrev_nc_u32_e32 v31, s7, v6
.LBB111_2:
	s_or_b32 exec_lo, exec_lo, s3
	v_mov_b32_e32 v22, 0
	s_and_saveexec_b32 s3, s2
	s_cbranch_execz .LBB111_4
; %bb.3:
	global_load_b32 v5, v5, s[8:9] offset:4 scale_offset
	s_wait_loadcnt 0x0
	v_subrev_nc_u32_e32 v22, s7, v5
.LBB111_4:
	s_or_b32 exec_lo, exec_lo, s3
	s_load_b32 s16, s[0:1], 0x38
	s_mov_b32 s3, exec_lo
	v_cmpx_gt_i32_e64 s4, v4
	s_cbranch_execz .LBB111_6
; %bb.5:
	s_load_b64 s[8:9], s[0:1], 0x48
	s_wait_kmcnt 0x0
	global_load_b32 v2, v4, s[8:9] scale_offset
	s_wait_loadcnt 0x0
	v_subrev_nc_u32_e32 v2, s16, v2
.LBB111_6:
	s_or_b32 exec_lo, exec_lo, s3
	s_cmp_lt_i32 s5, 1
	s_cbranch_scc1 .LBB111_29
; %bb.7:
	s_clause 0x3
	s_load_b64 s[18:19], s[0:1], 0x40
	s_load_b64 s[2:3], s[0:1], 0x50
	;; [unrolled: 1-line block ×4, first 2 shown]
	v_mbcnt_lo_u32_b32 v10, -1, 0
	v_dual_lshlrev_b32 v6, 6, v3 :: v_dual_bitop2_b32 v0, 3, v0 bitop3:0x40
	v_dual_mov_b32 v5, 0 :: v_dual_lshlrev_b32 v4, 3, v3
	s_delay_alu instid0(VALU_DEP_3) | instskip(SKIP_1) | instid1(VALU_DEP_3)
	v_xor_b32_e32 v8, 2, v10
	s_cmp_lg_u32 s12, 0
	v_lshl_or_b32 v23, v1, 9, v6
	s_cselect_b32 s4, -1, 0
	s_abs_i32 s17, s6
	s_wait_xcnt 0x0
	v_cmp_gt_i32_e64 s0, 32, v8
	v_xor_b32_e32 v9, 1, v10
	s_cvt_f32_u32 s1, s17
	s_mov_b32 s13, 0
	s_mov_b32 s12, s6
	v_lshl_or_b32 v24, v10, 2, 12
	s_wait_kmcnt 0x0
	v_add_nc_u64_e32 v[6:7], s[18:19], v[4:5]
	v_mul_lo_u32 v4, s6, v3
	v_cndmask_b32_e64 v3, v10, v8, s0
	v_cmp_gt_i32_e64 s0, 32, v9
	s_mul_u64 s[14:15], s[12:13], s[12:13]
	v_xor_b32_e32 v11, 16, v10
	v_mov_b64_e32 v[14:15], 0
	v_dual_lshlrev_b32 v26, 2, v3 :: v_dual_cndmask_b32 v8, v10, v9, s0
	v_xor_b32_e32 v12, 8, v10
	s_delay_alu instid0(VALU_DEP_4)
	v_cmp_gt_i32_e64 s0, 32, v11
	v_xor_b32_e32 v3, 4, v10
	v_lshl_or_b32 v25, v0, 3, v23
	v_lshlrev_b32_e32 v27, 2, v8
	v_lshl_add_u64 v[8:9], v[4:5], 3, s[18:19]
	v_cndmask_b32_e64 v4, v10, v11, s0
	v_cmp_gt_i32_e64 s0, 32, v12
	v_rcp_iflag_f32_e32 v11, s1
	s_sub_co_i32 s19, 0, s17
	v_dual_mov_b32 v13, v5 :: v_dual_mov_b32 v33, 1
	v_cndmask_b32_e64 v12, v10, v12, s0
	v_cmp_gt_i32_e64 s0, 32, v3
	v_mov_b32_e32 v20, 0
	s_delay_alu instid0(TRANS32_DEP_1)
	v_readfirstlane_b32 s1, v11
	v_mov_b32_e32 v32, 0x7c
	s_mov_b32 s20, s13
	v_cndmask_b32_e64 v3, v10, v3, s0
	v_mul_lo_u32 v10, v0, s6
	s_mul_f32 s12, s1, 0x4f7ffffe
	v_lshlrev_b32_e32 v28, 2, v4
	v_cmp_gt_u32_e64 s0, s6, v0
	v_dual_lshlrev_b32 v30, 2, v3 :: v_dual_bitop2_b32 v3, 4, v0 bitop3:0x54
	v_mov_b32_e32 v11, v5
	s_cvt_u32_f32 s12, s12
	v_lshlrev_b32_e32 v29, 2, v12
	s_and_b32 s18, s0, vcc_lo
	v_cmp_gt_u32_e64 s1, s6, v3
	s_mul_i32 s19, s19, s12
	v_lshl_add_u32 v12, s6, 2, v10
	s_mul_hi_u32 s0, s12, s19
	s_ashr_i32 s19, s6, 31
	s_and_b32 s1, vcc_lo, s1
	s_add_co_i32 s12, s12, s0
	s_branch .LBB111_10
.LBB111_8:                              ;   in Loop: Header=BB111_10 Depth=1
	s_wait_xcnt 0x0
	s_or_b32 exec_lo, exec_lo, s21
	v_mov_b32_e32 v3, 1
.LBB111_9:                              ;   in Loop: Header=BB111_10 Depth=1
	s_or_b32 exec_lo, exec_lo, s0
	ds_bpermute_b32 v4, v28, v34
	s_wait_storecnt_dscnt 0x0
	v_add_nc_u32_e32 v2, v3, v2
	v_min_i32_e32 v4, v4, v34
	ds_bpermute_b32 v16, v29, v4
	s_wait_dscnt 0x0
	v_min_i32_e32 v4, v16, v4
	ds_bpermute_b32 v16, v30, v4
	s_wait_dscnt 0x0
	;; [unrolled: 3-line block ×5, first 2 shown]
	v_cmp_le_i32_e32 vcc_lo, s5, v20
	s_or_b32 s20, vcc_lo, s20
	s_delay_alu instid0(SALU_CYCLE_1)
	s_and_not1_b32 exec_lo, exec_lo, s20
	s_cbranch_execz .LBB111_29
.LBB111_10:                             ; =>This Loop Header: Depth=1
                                        ;     Child Loop BB111_13 Depth 2
	v_dual_add_nc_u32 v16, v31, v0 :: v_dual_mov_b32 v34, s5
	v_mov_b32_e32 v17, v22
	s_mov_b32 s21, exec_lo
	ds_store_b8 v1, v5 offset:4096
	ds_store_2addr_b64 v25, v[14:15], v[14:15] offset1:4
	s_wait_dscnt 0x0
	v_cmpx_lt_i32_e64 v16, v22
	s_cbranch_execz .LBB111_18
; %bb.11:                               ;   in Loop: Header=BB111_10 Depth=1
	v_mul_lo_u32 v3, v20, s6
	v_dual_mov_b32 v34, s5 :: v_dual_mov_b32 v17, v22
	s_mov_b32 s22, 0
	s_branch .LBB111_13
.LBB111_12:                             ;   in Loop: Header=BB111_13 Depth=2
	s_wait_xcnt 0x0
	s_or_b32 exec_lo, exec_lo, s0
	v_add_nc_u32_e32 v16, 4, v16
	s_xor_b32 s23, vcc_lo, -1
	s_delay_alu instid0(VALU_DEP_1) | instskip(SKIP_1) | instid1(SALU_CYCLE_1)
	v_cmp_ge_i32_e64 s0, v16, v22
	s_or_b32 s0, s23, s0
	s_and_b32 s0, exec_lo, s0
	s_delay_alu instid0(SALU_CYCLE_1) | instskip(NEXT) | instid1(SALU_CYCLE_1)
	s_or_b32 s22, s0, s22
	s_and_not1_b32 exec_lo, exec_lo, s22
	s_cbranch_execz .LBB111_17
.LBB111_13:                             ;   Parent Loop BB111_10 Depth=1
                                        ; =>  This Inner Loop Header: Depth=2
	global_load_b32 v4, v16, s[8:9] scale_offset
	s_wait_loadcnt 0x0
	v_subrev_nc_u32_e32 v18, s7, v4
	s_delay_alu instid0(VALU_DEP_1) | instskip(NEXT) | instid1(VALU_DEP_1)
	v_dual_sub_nc_u32 v4, 0, v18 :: v_dual_ashrrev_i32 v31, 31, v18
	v_max_i32_e32 v4, v18, v4
	s_delay_alu instid0(VALU_DEP_1) | instskip(NEXT) | instid1(VALU_DEP_1)
	v_mul_u64_e32 v[36:37], s[12:13], v[4:5]
	v_mul_lo_u32 v19, v37, s17
	s_delay_alu instid0(VALU_DEP_1) | instskip(NEXT) | instid1(VALU_DEP_1)
	v_dual_sub_nc_u32 v4, v4, v19 :: v_dual_add_nc_u32 v19, 1, v37
	v_subrev_nc_u32_e32 v21, s17, v4
	v_cmp_le_u32_e32 vcc_lo, s17, v4
	s_delay_alu instid0(VALU_DEP_2) | instskip(NEXT) | instid1(VALU_DEP_1)
	v_dual_cndmask_b32 v19, v37, v19 :: v_dual_cndmask_b32 v4, v4, v21
	v_add_nc_u32_e32 v21, 1, v19
	s_delay_alu instid0(VALU_DEP_2) | instskip(NEXT) | instid1(VALU_DEP_2)
	v_cmp_le_u32_e32 vcc_lo, s17, v4
	v_dual_cndmask_b32 v4, v19, v21, vcc_lo :: v_dual_bitop2_b32 v31, s19, v31 bitop3:0x14
	s_delay_alu instid0(VALU_DEP_1) | instskip(NEXT) | instid1(VALU_DEP_1)
	v_xor_b32_e32 v4, v4, v31
	v_dual_mov_b32 v4, v17 :: v_dual_sub_nc_u32 v19, v4, v31
	s_delay_alu instid0(VALU_DEP_1) | instskip(SKIP_3) | instid1(SALU_CYCLE_1)
	v_cmp_ne_u32_e64 s0, v19, v20
	v_cmp_eq_u32_e32 vcc_lo, v19, v20
	s_wait_xcnt 0x0
	s_and_saveexec_b32 s23, s0
	s_xor_b32 s0, exec_lo, s23
; %bb.14:                               ;   in Loop: Header=BB111_13 Depth=2
	v_min_i32_e32 v34, v19, v34
                                        ; implicit-def: $vgpr18
                                        ; implicit-def: $vgpr4
; %bb.15:                               ;   in Loop: Header=BB111_13 Depth=2
	s_or_saveexec_b32 s0, s0
	v_mov_b32_e32 v17, v16
	s_xor_b32 exec_lo, exec_lo, s0
	s_cbranch_execz .LBB111_12
; %bb.16:                               ;   in Loop: Header=BB111_13 Depth=2
	v_ashrrev_i32_e32 v17, 31, v16
	s_delay_alu instid0(VALU_DEP_1)
	v_lshl_add_u64 v[36:37], v[16:17], 3, s[10:11]
	v_sub_nc_u32_e32 v17, v18, v3
	global_load_b64 v[36:37], v[36:37], off
	v_lshl_add_u32 v18, v17, 3, v23
	v_mov_b32_e32 v17, v4
	ds_store_b8 v1, v33 offset:4096
	s_wait_loadcnt 0x0
	ds_store_b64 v18, v[36:37]
	s_branch .LBB111_12
.LBB111_17:                             ;   in Loop: Header=BB111_10 Depth=1
	s_or_b32 exec_lo, exec_lo, s22
.LBB111_18:                             ;   in Loop: Header=BB111_10 Depth=1
	s_delay_alu instid0(SALU_CYCLE_1)
	s_or_b32 exec_lo, exec_lo, s21
	ds_bpermute_b32 v3, v26, v17
	s_wait_dscnt 0x0
	ds_load_u8 v16, v1 offset:4096
	v_min_i32_e32 v3, v3, v17
	ds_bpermute_b32 v4, v27, v3
	s_wait_dscnt 0x0
	v_min_i32_e32 v3, v4, v3
	ds_bpermute_b32 v31, v24, v3
	v_and_b32_e32 v3, 1, v16
	s_delay_alu instid0(VALU_DEP_1)
	v_cmp_eq_u32_e32 vcc_lo, 1, v3
	v_mov_b32_e32 v3, 0
	s_and_saveexec_b32 s0, vcc_lo
	s_cbranch_execz .LBB111_9
; %bb.19:                               ;   in Loop: Header=BB111_10 Depth=1
	v_ashrrev_i32_e32 v3, 31, v2
	s_delay_alu instid0(VALU_DEP_1) | instskip(SKIP_3) | instid1(VALU_DEP_1)
	v_mul_u64_e32 v[16:17], s[14:15], v[2:3]
	v_add_nc_u32_e32 v3, s16, v20
	global_store_b32 v2, v3, s[2:3] scale_offset
	v_lshlrev_b64_e32 v[16:17], 3, v[16:17]
	v_add_nc_u64_e32 v[18:19], v[6:7], v[16:17]
	v_add_nc_u64_e32 v[16:17], v[8:9], v[16:17]
	s_wait_xcnt 0x0
	s_and_saveexec_b32 s21, s18
	s_cbranch_execz .LBB111_23
; %bb.20:                               ;   in Loop: Header=BB111_10 Depth=1
	ds_load_b64 v[20:21], v25
	s_and_b32 vcc_lo, exec_lo, s4
	s_cbranch_vccz .LBB111_26
; %bb.21:                               ;   in Loop: Header=BB111_10 Depth=1
	v_lshl_add_u64 v[36:37], v[10:11], 3, v[18:19]
	s_wait_dscnt 0x0
	global_store_b64 v[36:37], v[20:21], off
	s_cbranch_execnz .LBB111_23
.LBB111_22:                             ;   in Loop: Header=BB111_10 Depth=1
	v_lshlrev_b32_e32 v4, 3, v0
	s_wait_xcnt 0x0
	s_delay_alu instid0(VALU_DEP_1)
	v_add_nc_u64_e32 v[36:37], v[16:17], v[4:5]
	s_wait_dscnt 0x0
	global_store_b64 v[36:37], v[20:21], off
.LBB111_23:                             ;   in Loop: Header=BB111_10 Depth=1
	s_wait_xcnt 0x0
	s_or_b32 exec_lo, exec_lo, s21
	s_and_saveexec_b32 s21, s1
	s_cbranch_execz .LBB111_8
; %bb.24:                               ;   in Loop: Header=BB111_10 Depth=1
	s_and_not1_b32 vcc_lo, exec_lo, s4
	s_cbranch_vccnz .LBB111_27
; %bb.25:                               ;   in Loop: Header=BB111_10 Depth=1
	s_wait_dscnt 0x0
	ds_load_b64 v[20:21], v25 offset:32
	v_lshl_add_u64 v[18:19], v[12:13], 3, v[18:19]
	s_wait_dscnt 0x0
	global_store_b64 v[18:19], v[20:21], off
	s_cbranch_execnz .LBB111_8
	s_branch .LBB111_28
.LBB111_26:                             ;   in Loop: Header=BB111_10 Depth=1
	s_branch .LBB111_22
.LBB111_27:                             ;   in Loop: Header=BB111_10 Depth=1
.LBB111_28:                             ;   in Loop: Header=BB111_10 Depth=1
	s_wait_xcnt 0x0
	ds_load_b64 v[18:19], v25 offset:32
	v_lshlrev_b32_e32 v4, 3, v0
	s_delay_alu instid0(VALU_DEP_1)
	v_add_nc_u64_e32 v[16:17], v[16:17], v[4:5]
	s_wait_dscnt 0x0
	global_store_b64 v[16:17], v[18:19], off offset:32
	s_branch .LBB111_8
.LBB111_29:
	s_endpgm
	.section	.rodata,"a",@progbits
	.p2align	6, 0x0
	.amdhsa_kernel _ZN9rocsparseL42csr2bsr_wavefront_per_row_multipass_kernelILj256ELj32ELj8EdiiEEv20rocsparse_direction_T4_S2_S2_S2_S2_21rocsparse_index_base_PKT2_PKT3_PKS2_S3_PS4_PS7_PS2_
		.amdhsa_group_segment_fixed_size 4104
		.amdhsa_private_segment_fixed_size 0
		.amdhsa_kernarg_size 88
		.amdhsa_user_sgpr_count 2
		.amdhsa_user_sgpr_dispatch_ptr 0
		.amdhsa_user_sgpr_queue_ptr 0
		.amdhsa_user_sgpr_kernarg_segment_ptr 1
		.amdhsa_user_sgpr_dispatch_id 0
		.amdhsa_user_sgpr_kernarg_preload_length 0
		.amdhsa_user_sgpr_kernarg_preload_offset 0
		.amdhsa_user_sgpr_private_segment_size 0
		.amdhsa_wavefront_size32 1
		.amdhsa_uses_dynamic_stack 0
		.amdhsa_enable_private_segment 0
		.amdhsa_system_sgpr_workgroup_id_x 1
		.amdhsa_system_sgpr_workgroup_id_y 0
		.amdhsa_system_sgpr_workgroup_id_z 0
		.amdhsa_system_sgpr_workgroup_info 0
		.amdhsa_system_vgpr_workitem_id 0
		.amdhsa_next_free_vgpr 38
		.amdhsa_next_free_sgpr 24
		.amdhsa_named_barrier_count 0
		.amdhsa_reserve_vcc 1
		.amdhsa_float_round_mode_32 0
		.amdhsa_float_round_mode_16_64 0
		.amdhsa_float_denorm_mode_32 3
		.amdhsa_float_denorm_mode_16_64 3
		.amdhsa_fp16_overflow 0
		.amdhsa_memory_ordered 1
		.amdhsa_forward_progress 1
		.amdhsa_inst_pref_size 12
		.amdhsa_round_robin_scheduling 0
		.amdhsa_exception_fp_ieee_invalid_op 0
		.amdhsa_exception_fp_denorm_src 0
		.amdhsa_exception_fp_ieee_div_zero 0
		.amdhsa_exception_fp_ieee_overflow 0
		.amdhsa_exception_fp_ieee_underflow 0
		.amdhsa_exception_fp_ieee_inexact 0
		.amdhsa_exception_int_div_zero 0
	.end_amdhsa_kernel
	.section	.text._ZN9rocsparseL42csr2bsr_wavefront_per_row_multipass_kernelILj256ELj32ELj8EdiiEEv20rocsparse_direction_T4_S2_S2_S2_S2_21rocsparse_index_base_PKT2_PKT3_PKS2_S3_PS4_PS7_PS2_,"axG",@progbits,_ZN9rocsparseL42csr2bsr_wavefront_per_row_multipass_kernelILj256ELj32ELj8EdiiEEv20rocsparse_direction_T4_S2_S2_S2_S2_21rocsparse_index_base_PKT2_PKT3_PKS2_S3_PS4_PS7_PS2_,comdat
.Lfunc_end111:
	.size	_ZN9rocsparseL42csr2bsr_wavefront_per_row_multipass_kernelILj256ELj32ELj8EdiiEEv20rocsparse_direction_T4_S2_S2_S2_S2_21rocsparse_index_base_PKT2_PKT3_PKS2_S3_PS4_PS7_PS2_, .Lfunc_end111-_ZN9rocsparseL42csr2bsr_wavefront_per_row_multipass_kernelILj256ELj32ELj8EdiiEEv20rocsparse_direction_T4_S2_S2_S2_S2_21rocsparse_index_base_PKT2_PKT3_PKS2_S3_PS4_PS7_PS2_
                                        ; -- End function
	.set _ZN9rocsparseL42csr2bsr_wavefront_per_row_multipass_kernelILj256ELj32ELj8EdiiEEv20rocsparse_direction_T4_S2_S2_S2_S2_21rocsparse_index_base_PKT2_PKT3_PKS2_S3_PS4_PS7_PS2_.num_vgpr, 38
	.set _ZN9rocsparseL42csr2bsr_wavefront_per_row_multipass_kernelILj256ELj32ELj8EdiiEEv20rocsparse_direction_T4_S2_S2_S2_S2_21rocsparse_index_base_PKT2_PKT3_PKS2_S3_PS4_PS7_PS2_.num_agpr, 0
	.set _ZN9rocsparseL42csr2bsr_wavefront_per_row_multipass_kernelILj256ELj32ELj8EdiiEEv20rocsparse_direction_T4_S2_S2_S2_S2_21rocsparse_index_base_PKT2_PKT3_PKS2_S3_PS4_PS7_PS2_.numbered_sgpr, 24
	.set _ZN9rocsparseL42csr2bsr_wavefront_per_row_multipass_kernelILj256ELj32ELj8EdiiEEv20rocsparse_direction_T4_S2_S2_S2_S2_21rocsparse_index_base_PKT2_PKT3_PKS2_S3_PS4_PS7_PS2_.num_named_barrier, 0
	.set _ZN9rocsparseL42csr2bsr_wavefront_per_row_multipass_kernelILj256ELj32ELj8EdiiEEv20rocsparse_direction_T4_S2_S2_S2_S2_21rocsparse_index_base_PKT2_PKT3_PKS2_S3_PS4_PS7_PS2_.private_seg_size, 0
	.set _ZN9rocsparseL42csr2bsr_wavefront_per_row_multipass_kernelILj256ELj32ELj8EdiiEEv20rocsparse_direction_T4_S2_S2_S2_S2_21rocsparse_index_base_PKT2_PKT3_PKS2_S3_PS4_PS7_PS2_.uses_vcc, 1
	.set _ZN9rocsparseL42csr2bsr_wavefront_per_row_multipass_kernelILj256ELj32ELj8EdiiEEv20rocsparse_direction_T4_S2_S2_S2_S2_21rocsparse_index_base_PKT2_PKT3_PKS2_S3_PS4_PS7_PS2_.uses_flat_scratch, 0
	.set _ZN9rocsparseL42csr2bsr_wavefront_per_row_multipass_kernelILj256ELj32ELj8EdiiEEv20rocsparse_direction_T4_S2_S2_S2_S2_21rocsparse_index_base_PKT2_PKT3_PKS2_S3_PS4_PS7_PS2_.has_dyn_sized_stack, 0
	.set _ZN9rocsparseL42csr2bsr_wavefront_per_row_multipass_kernelILj256ELj32ELj8EdiiEEv20rocsparse_direction_T4_S2_S2_S2_S2_21rocsparse_index_base_PKT2_PKT3_PKS2_S3_PS4_PS7_PS2_.has_recursion, 0
	.set _ZN9rocsparseL42csr2bsr_wavefront_per_row_multipass_kernelILj256ELj32ELj8EdiiEEv20rocsparse_direction_T4_S2_S2_S2_S2_21rocsparse_index_base_PKT2_PKT3_PKS2_S3_PS4_PS7_PS2_.has_indirect_call, 0
	.section	.AMDGPU.csdata,"",@progbits
; Kernel info:
; codeLenInByte = 1508
; TotalNumSgprs: 26
; NumVgprs: 38
; ScratchSize: 0
; MemoryBound: 0
; FloatMode: 240
; IeeeMode: 1
; LDSByteSize: 4104 bytes/workgroup (compile time only)
; SGPRBlocks: 0
; VGPRBlocks: 2
; NumSGPRsForWavesPerEU: 26
; NumVGPRsForWavesPerEU: 38
; NamedBarCnt: 0
; Occupancy: 16
; WaveLimiterHint : 0
; COMPUTE_PGM_RSRC2:SCRATCH_EN: 0
; COMPUTE_PGM_RSRC2:USER_SGPR: 2
; COMPUTE_PGM_RSRC2:TRAP_HANDLER: 0
; COMPUTE_PGM_RSRC2:TGID_X_EN: 1
; COMPUTE_PGM_RSRC2:TGID_Y_EN: 0
; COMPUTE_PGM_RSRC2:TGID_Z_EN: 0
; COMPUTE_PGM_RSRC2:TIDIG_COMP_CNT: 0
	.section	.text._ZN9rocsparseL42csr2bsr_wavefront_per_row_multipass_kernelILj256ELj64ELj16EdiiEEv20rocsparse_direction_T4_S2_S2_S2_S2_21rocsparse_index_base_PKT2_PKT3_PKS2_S3_PS4_PS7_PS2_,"axG",@progbits,_ZN9rocsparseL42csr2bsr_wavefront_per_row_multipass_kernelILj256ELj64ELj16EdiiEEv20rocsparse_direction_T4_S2_S2_S2_S2_21rocsparse_index_base_PKT2_PKT3_PKS2_S3_PS4_PS7_PS2_,comdat
	.globl	_ZN9rocsparseL42csr2bsr_wavefront_per_row_multipass_kernelILj256ELj64ELj16EdiiEEv20rocsparse_direction_T4_S2_S2_S2_S2_21rocsparse_index_base_PKT2_PKT3_PKS2_S3_PS4_PS7_PS2_ ; -- Begin function _ZN9rocsparseL42csr2bsr_wavefront_per_row_multipass_kernelILj256ELj64ELj16EdiiEEv20rocsparse_direction_T4_S2_S2_S2_S2_21rocsparse_index_base_PKT2_PKT3_PKS2_S3_PS4_PS7_PS2_
	.p2align	8
	.type	_ZN9rocsparseL42csr2bsr_wavefront_per_row_multipass_kernelILj256ELj64ELj16EdiiEEv20rocsparse_direction_T4_S2_S2_S2_S2_21rocsparse_index_base_PKT2_PKT3_PKS2_S3_PS4_PS7_PS2_,@function
_ZN9rocsparseL42csr2bsr_wavefront_per_row_multipass_kernelILj256ELj64ELj16EdiiEEv20rocsparse_direction_T4_S2_S2_S2_S2_21rocsparse_index_base_PKT2_PKT3_PKS2_S3_PS4_PS7_PS2_: ; @_ZN9rocsparseL42csr2bsr_wavefront_per_row_multipass_kernelILj256ELj64ELj16EdiiEEv20rocsparse_direction_T4_S2_S2_S2_S2_21rocsparse_index_base_PKT2_PKT3_PKS2_S3_PS4_PS7_PS2_
; %bb.0:
	s_clause 0x1
	s_load_b128 s[4:7], s[0:1], 0xc
	s_load_b64 s[14:15], s[0:1], 0x0
	s_bfe_u32 s2, ttmp6, 0x4000c
	s_and_b32 s3, ttmp6, 15
	s_add_co_i32 s2, s2, 1
	s_getreg_b32 s8, hwreg(HW_REG_IB_STS2, 6, 4)
	s_mul_i32 s2, ttmp9, s2
	v_dual_mov_b32 v2, 0 :: v_dual_lshrrev_b32 v1, 6, v0
	s_add_co_i32 s3, s3, s2
	s_cmp_eq_u32 s8, 0
	v_bfe_u32 v3, v0, 2, 4
	s_cselect_b32 s2, ttmp9, s3
	s_load_b64 s[8:9], s[0:1], 0x28
	v_lshl_or_b32 v4, s2, 2, v1
	v_mov_b32_e32 v38, 0
	s_wait_kmcnt 0x0
	s_delay_alu instid0(VALU_DEP_2) | instskip(SKIP_1) | instid1(VALU_DEP_2)
	v_mad_u32 v5, v4, s6, v3
	v_cmp_gt_i32_e32 vcc_lo, s6, v3
	v_cmp_gt_i32_e64 s2, s15, v5
	s_and_b32 s2, vcc_lo, s2
	s_delay_alu instid0(SALU_CYCLE_1)
	s_and_saveexec_b32 s3, s2
	s_cbranch_execz .LBB112_2
; %bb.1:
	global_load_b32 v6, v5, s[8:9] scale_offset
	s_wait_loadcnt 0x0
	v_subrev_nc_u32_e32 v38, s7, v6
.LBB112_2:
	s_or_b32 exec_lo, exec_lo, s3
	v_mov_b32_e32 v28, 0
	s_and_saveexec_b32 s3, s2
	s_cbranch_execz .LBB112_4
; %bb.3:
	global_load_b32 v5, v5, s[8:9] offset:4 scale_offset
	s_wait_loadcnt 0x0
	v_subrev_nc_u32_e32 v28, s7, v5
.LBB112_4:
	s_or_b32 exec_lo, exec_lo, s3
	s_load_b32 s18, s[0:1], 0x38
	s_mov_b32 s3, exec_lo
	v_cmpx_gt_i32_e64 s4, v4
	s_cbranch_execz .LBB112_6
; %bb.5:
	s_load_b64 s[8:9], s[0:1], 0x48
	s_wait_kmcnt 0x0
	global_load_b32 v2, v4, s[8:9] scale_offset
	s_wait_loadcnt 0x0
	v_subrev_nc_u32_e32 v2, s18, v2
.LBB112_6:
	s_or_b32 exec_lo, exec_lo, s3
	s_cmp_lt_i32 s5, 1
	s_cbranch_scc1 .LBB112_39
; %bb.7:
	s_clause 0x3
	s_load_b64 s[2:3], s[0:1], 0x40
	s_load_b64 s[8:9], s[0:1], 0x50
	;; [unrolled: 1-line block ×4, first 2 shown]
	v_mbcnt_lo_u32_b32 v10, -1, 0
	v_dual_lshlrev_b32 v6, 7, v3 :: v_dual_bitop2_b32 v0, 3, v0 bitop3:0x40
	v_dual_mov_b32 v5, 0 :: v_dual_lshlrev_b32 v4, 3, v3
	s_delay_alu instid0(VALU_DEP_3) | instskip(SKIP_1) | instid1(VALU_DEP_4)
	v_xor_b32_e32 v9, 1, v10
	v_xor_b32_e32 v8, 2, v10
	v_lshl_or_b32 v29, v1, 11, v6
	s_cmp_lg_u32 s14, 0
	v_lshl_or_b32 v30, v10, 2, 12
	s_cselect_b32 s4, -1, 0
	s_wait_xcnt 0x0
	v_cmp_gt_i32_e64 s0, 32, v8
	s_abs_i32 s19, s6
	s_mov_b32 s15, 0
	s_cvt_f32_u32 s1, s19
	s_mov_b32 s14, s6
	s_wait_kmcnt 0x0
	v_add_nc_u64_e32 v[6:7], s[2:3], v[4:5]
	v_mul_lo_u32 v4, s6, v3
	v_dual_cndmask_b32 v8, v10, v8, s0 :: v_dual_bitop2_b32 v3, 32, v10 bitop3:0x54
	v_cmp_gt_i32_e64 s0, 32, v9
	s_mul_u64 s[16:17], s[14:15], s[14:15]
	s_lshl_b32 s14, s6, 2
	v_lshlrev_b32_e32 v32, 2, v8
	v_dual_mov_b32 v17, v5 :: v_dual_bitop2_b32 v16, 12, v0 bitop3:0x54
	v_dual_cndmask_b32 v9, v10, v9, s0 :: v_dual_bitop2_b32 v11, 16, v10 bitop3:0x14
	v_cmp_gt_i32_e64 s0, 32, v3
	v_xor_b32_e32 v12, 8, v10
	v_mov_b64_e32 v[18:19], 0
	s_delay_alu instid0(VALU_DEP_4)
	v_lshlrev_b32_e32 v33, 2, v9
	v_lshl_add_u64 v[8:9], v[4:5], 3, s[2:3]
	v_cndmask_b32_e64 v3, v10, v3, s0
	v_cmp_gt_i32_e64 s0, 32, v11
	v_dual_mov_b32 v13, v5 :: v_dual_bitop2_b32 v4, 4, v10 bitop3:0x14
	v_cmp_gt_u32_e64 s3, s6, v16
	s_delay_alu instid0(VALU_DEP_4) | instskip(NEXT) | instid1(VALU_DEP_4)
	v_lshlrev_b32_e32 v34, 2, v3
	v_cndmask_b32_e64 v11, v10, v11, s0
	v_cmp_gt_i32_e64 s0, 32, v12
	v_or_b32_e32 v3, 4, v0
	v_lshl_or_b32 v31, v0, 3, v29
	v_bfrev_b32_e32 v39, 0.5
	s_delay_alu instid0(VALU_DEP_4) | instskip(SKIP_2) | instid1(VALU_DEP_3)
	v_dual_lshlrev_b32 v35, 2, v11 :: v_dual_cndmask_b32 v12, v10, v12, s0
	v_cmp_gt_i32_e64 s0, 32, v4
	v_dual_mov_b32 v15, v5 :: v_dual_mov_b32 v11, v5
	v_dual_mov_b32 v21, 0 :: v_dual_lshlrev_b32 v36, 2, v12
	s_delay_alu instid0(VALU_DEP_3)
	v_cndmask_b32_e64 v4, v10, v4, s0
	v_mul_lo_u32 v10, v0, s6
	v_cmp_gt_u32_e64 s0, s6, v0
	s_and_b32 s3, vcc_lo, s3
	s_mov_b32 s22, s15
	v_lshlrev_b32_e32 v37, 2, v4
	v_rcp_iflag_f32_e32 v4, s1
	v_cmp_gt_u32_e64 s1, s6, v3
	v_dual_mov_b32 v40, 1 :: v_dual_bitop2_b32 v3, 8, v0 bitop3:0x54
	v_dual_lshlrev_b32 v20, 3, v0 :: v_dual_add_nc_u32 v12, s14, v10
	s_delay_alu instid0(TRANS32_DEP_1) | instskip(NEXT) | instid1(VALU_DEP_3)
	v_readfirstlane_b32 s20, v4
	v_cmp_gt_u32_e64 s2, s6, v3
	s_and_b32 s1, vcc_lo, s1
	v_add_nc_u32_e32 v14, s14, v12
	s_mul_f32 s21, s20, 0x4f7ffffe
	s_and_b32 s20, s0, vcc_lo
	s_and_b32 s2, vcc_lo, s2
	s_delay_alu instid0(SALU_CYCLE_1) | instskip(SKIP_4) | instid1(SALU_CYCLE_1)
	s_cvt_u32_f32 s0, s21
	v_add_nc_u32_e32 v16, s14, v14
	s_sub_co_i32 s14, 0, s19
	s_ashr_i32 s21, s6, 31
	s_mul_i32 s14, s14, s0
	s_mul_hi_u32 s14, s0, s14
	s_delay_alu instid0(SALU_CYCLE_1)
	s_add_co_i32 s14, s0, s14
	s_branch .LBB112_10
.LBB112_8:                              ;   in Loop: Header=BB112_10 Depth=1
	s_wait_xcnt 0x0
	s_or_b32 exec_lo, exec_lo, s23
	v_mov_b32_e32 v3, 1
.LBB112_9:                              ;   in Loop: Header=BB112_10 Depth=1
	s_or_b32 exec_lo, exec_lo, s0
	ds_bpermute_b32 v4, v34, v41
	s_wait_storecnt_dscnt 0x0
	v_dual_add_nc_u32 v2, v3, v2 :: v_dual_min_i32 v4, v4, v41
	ds_bpermute_b32 v21, v35, v4
	s_wait_dscnt 0x0
	v_min_i32_e32 v4, v21, v4
	ds_bpermute_b32 v21, v36, v4
	s_wait_dscnt 0x0
	v_min_i32_e32 v4, v21, v4
	;; [unrolled: 3-line block ×5, first 2 shown]
	ds_bpermute_b32 v21, v39, v4
	s_wait_dscnt 0x0
	v_cmp_le_i32_e32 vcc_lo, s5, v21
	s_or_b32 s22, vcc_lo, s22
	s_delay_alu instid0(SALU_CYCLE_1)
	s_and_not1_b32 exec_lo, exec_lo, s22
	s_cbranch_execz .LBB112_39
.LBB112_10:                             ; =>This Loop Header: Depth=1
                                        ;     Child Loop BB112_13 Depth 2
	v_dual_mov_b32 v41, s5 :: v_dual_add_nc_u32 v22, v38, v0
	v_mov_b32_e32 v23, v28
	s_mov_b32 s23, exec_lo
	ds_store_b8 v1, v5 offset:8192
	ds_store_2addr_b64 v31, v[18:19], v[18:19] offset1:4
	ds_store_2addr_b64 v31, v[18:19], v[18:19] offset0:8 offset1:12
	s_wait_dscnt 0x0
	v_cmpx_lt_i32_e64 v22, v28
	s_cbranch_execz .LBB112_18
; %bb.11:                               ;   in Loop: Header=BB112_10 Depth=1
	v_mul_lo_u32 v3, v21, s6
	v_dual_mov_b32 v41, s5 :: v_dual_mov_b32 v23, v28
	s_mov_b32 s24, 0
	s_branch .LBB112_13
.LBB112_12:                             ;   in Loop: Header=BB112_13 Depth=2
	s_wait_xcnt 0x0
	s_or_b32 exec_lo, exec_lo, s0
	v_add_nc_u32_e32 v22, 4, v22
	s_xor_b32 s25, vcc_lo, -1
	s_delay_alu instid0(VALU_DEP_1) | instskip(SKIP_1) | instid1(SALU_CYCLE_1)
	v_cmp_ge_i32_e64 s0, v22, v28
	s_or_b32 s0, s25, s0
	s_and_b32 s0, exec_lo, s0
	s_delay_alu instid0(SALU_CYCLE_1) | instskip(NEXT) | instid1(SALU_CYCLE_1)
	s_or_b32 s24, s0, s24
	s_and_not1_b32 exec_lo, exec_lo, s24
	s_cbranch_execz .LBB112_17
.LBB112_13:                             ;   Parent Loop BB112_10 Depth=1
                                        ; =>  This Inner Loop Header: Depth=2
	global_load_b32 v4, v22, s[10:11] scale_offset
	s_wait_loadcnt 0x0
	v_subrev_nc_u32_e32 v24, s7, v4
	s_delay_alu instid0(VALU_DEP_1) | instskip(NEXT) | instid1(VALU_DEP_1)
	v_sub_nc_u32_e32 v4, 0, v24
	v_max_i32_e32 v4, v24, v4
	s_delay_alu instid0(VALU_DEP_1) | instskip(NEXT) | instid1(VALU_DEP_1)
	v_mul_u64_e32 v[26:27], s[14:15], v[4:5]
	v_mul_lo_u32 v25, v27, s19
	s_delay_alu instid0(VALU_DEP_1) | instskip(NEXT) | instid1(VALU_DEP_1)
	v_dual_sub_nc_u32 v4, v4, v25 :: v_dual_add_nc_u32 v25, 1, v27
	v_cmp_le_u32_e32 vcc_lo, s19, v4
	s_delay_alu instid0(VALU_DEP_2) | instskip(SKIP_1) | instid1(VALU_DEP_1)
	v_dual_cndmask_b32 v25, v27, v25, vcc_lo :: v_dual_ashrrev_i32 v27, 31, v24
	v_subrev_nc_u32_e32 v26, s19, v4
	v_dual_cndmask_b32 v4, v4, v26, vcc_lo :: v_dual_add_nc_u32 v26, 1, v25
	s_delay_alu instid0(VALU_DEP_1) | instskip(NEXT) | instid1(VALU_DEP_2)
	v_cmp_le_u32_e32 vcc_lo, s19, v4
	v_dual_cndmask_b32 v4, v25, v26, vcc_lo :: v_dual_bitop2_b32 v27, s21, v27 bitop3:0x14
	s_delay_alu instid0(VALU_DEP_1) | instskip(NEXT) | instid1(VALU_DEP_1)
	v_xor_b32_e32 v4, v4, v27
	v_dual_mov_b32 v4, v23 :: v_dual_sub_nc_u32 v25, v4, v27
	s_delay_alu instid0(VALU_DEP_1) | instskip(SKIP_3) | instid1(SALU_CYCLE_1)
	v_cmp_ne_u32_e64 s0, v25, v21
	v_cmp_eq_u32_e32 vcc_lo, v25, v21
	s_wait_xcnt 0x0
	s_and_saveexec_b32 s25, s0
	s_xor_b32 s0, exec_lo, s25
; %bb.14:                               ;   in Loop: Header=BB112_13 Depth=2
	v_min_i32_e32 v41, v25, v41
                                        ; implicit-def: $vgpr24
                                        ; implicit-def: $vgpr4
; %bb.15:                               ;   in Loop: Header=BB112_13 Depth=2
	s_or_saveexec_b32 s0, s0
	v_mov_b32_e32 v23, v22
	s_xor_b32 exec_lo, exec_lo, s0
	s_cbranch_execz .LBB112_12
; %bb.16:                               ;   in Loop: Header=BB112_13 Depth=2
	v_ashrrev_i32_e32 v23, 31, v22
	s_delay_alu instid0(VALU_DEP_1)
	v_lshl_add_u64 v[26:27], v[22:23], 3, s[12:13]
	v_sub_nc_u32_e32 v23, v24, v3
	global_load_b64 v[26:27], v[26:27], off
	v_lshl_add_u32 v24, v23, 3, v29
	v_mov_b32_e32 v23, v4
	ds_store_b8 v1, v40 offset:8192
	s_wait_loadcnt 0x0
	ds_store_b64 v24, v[26:27]
	s_branch .LBB112_12
.LBB112_17:                             ;   in Loop: Header=BB112_10 Depth=1
	s_or_b32 exec_lo, exec_lo, s24
.LBB112_18:                             ;   in Loop: Header=BB112_10 Depth=1
	s_delay_alu instid0(SALU_CYCLE_1)
	s_or_b32 exec_lo, exec_lo, s23
	ds_bpermute_b32 v3, v32, v23
	s_wait_dscnt 0x0
	ds_load_u8 v22, v1 offset:8192
	v_min_i32_e32 v3, v3, v23
	ds_bpermute_b32 v4, v33, v3
	s_wait_dscnt 0x0
	v_min_i32_e32 v3, v4, v3
	ds_bpermute_b32 v38, v30, v3
	v_and_b32_e32 v3, 1, v22
	s_delay_alu instid0(VALU_DEP_1)
	v_cmp_eq_u32_e32 vcc_lo, 1, v3
	v_mov_b32_e32 v3, 0
	s_and_saveexec_b32 s0, vcc_lo
	s_cbranch_execz .LBB112_9
; %bb.19:                               ;   in Loop: Header=BB112_10 Depth=1
	v_ashrrev_i32_e32 v3, 31, v2
	s_delay_alu instid0(VALU_DEP_1) | instskip(SKIP_3) | instid1(VALU_DEP_1)
	v_mul_u64_e32 v[22:23], s[16:17], v[2:3]
	v_add_nc_u32_e32 v3, s18, v21
	global_store_b32 v2, v3, s[8:9] scale_offset
	v_lshlrev_b64_e32 v[22:23], 3, v[22:23]
	v_add_nc_u64_e32 v[24:25], v[6:7], v[22:23]
	v_add_nc_u64_e32 v[22:23], v[8:9], v[22:23]
	s_wait_xcnt 0x0
	s_and_saveexec_b32 s23, s20
	s_cbranch_execz .LBB112_23
; %bb.20:                               ;   in Loop: Header=BB112_10 Depth=1
	ds_load_b64 v[26:27], v31
	s_and_b32 vcc_lo, exec_lo, s4
	s_cbranch_vccz .LBB112_34
; %bb.21:                               ;   in Loop: Header=BB112_10 Depth=1
	v_lshl_add_u64 v[42:43], v[10:11], 3, v[24:25]
	s_wait_dscnt 0x0
	global_store_b64 v[42:43], v[26:27], off
	s_cbranch_execnz .LBB112_23
.LBB112_22:                             ;   in Loop: Header=BB112_10 Depth=1
	v_mov_b32_e32 v21, v5
	s_wait_xcnt 0x0
	s_delay_alu instid0(VALU_DEP_1)
	v_add_nc_u64_e32 v[42:43], v[22:23], v[20:21]
	s_wait_dscnt 0x0
	global_store_b64 v[42:43], v[26:27], off
.LBB112_23:                             ;   in Loop: Header=BB112_10 Depth=1
	s_wait_xcnt 0x0
	s_or_b32 exec_lo, exec_lo, s23
	s_and_saveexec_b32 s23, s1
	s_cbranch_execz .LBB112_27
; %bb.24:                               ;   in Loop: Header=BB112_10 Depth=1
	s_and_not1_b32 vcc_lo, exec_lo, s4
	s_cbranch_vccnz .LBB112_35
; %bb.25:                               ;   in Loop: Header=BB112_10 Depth=1
	s_wait_dscnt 0x0
	ds_load_b64 v[26:27], v31 offset:32
	v_lshl_add_u64 v[42:43], v[12:13], 3, v[24:25]
	s_wait_dscnt 0x0
	global_store_b64 v[42:43], v[26:27], off
	s_cbranch_execnz .LBB112_27
.LBB112_26:                             ;   in Loop: Header=BB112_10 Depth=1
	s_wait_dscnt 0x0
	s_wait_xcnt 0x0
	ds_load_b64 v[26:27], v31 offset:32
	v_mov_b32_e32 v21, v5
	s_delay_alu instid0(VALU_DEP_1)
	v_add_nc_u64_e32 v[42:43], v[22:23], v[20:21]
	s_wait_dscnt 0x0
	global_store_b64 v[42:43], v[26:27], off offset:32
.LBB112_27:                             ;   in Loop: Header=BB112_10 Depth=1
	s_wait_xcnt 0x0
	s_or_b32 exec_lo, exec_lo, s23
	s_and_saveexec_b32 s23, s2
	s_cbranch_execz .LBB112_31
; %bb.28:                               ;   in Loop: Header=BB112_10 Depth=1
	s_and_not1_b32 vcc_lo, exec_lo, s4
	s_cbranch_vccnz .LBB112_36
; %bb.29:                               ;   in Loop: Header=BB112_10 Depth=1
	s_wait_dscnt 0x0
	ds_load_b64 v[26:27], v31 offset:64
	v_lshl_add_u64 v[42:43], v[14:15], 3, v[24:25]
	s_wait_dscnt 0x0
	global_store_b64 v[42:43], v[26:27], off
	s_cbranch_execnz .LBB112_31
.LBB112_30:                             ;   in Loop: Header=BB112_10 Depth=1
	s_wait_dscnt 0x0
	s_wait_xcnt 0x0
	ds_load_b64 v[26:27], v31 offset:64
	v_mov_b32_e32 v21, v5
	s_delay_alu instid0(VALU_DEP_1)
	v_add_nc_u64_e32 v[42:43], v[22:23], v[20:21]
	s_wait_dscnt 0x0
	global_store_b64 v[42:43], v[26:27], off offset:64
.LBB112_31:                             ;   in Loop: Header=BB112_10 Depth=1
	s_wait_xcnt 0x0
	s_or_b32 exec_lo, exec_lo, s23
	s_and_saveexec_b32 s23, s3
	s_cbranch_execz .LBB112_8
; %bb.32:                               ;   in Loop: Header=BB112_10 Depth=1
	s_and_not1_b32 vcc_lo, exec_lo, s4
	s_cbranch_vccnz .LBB112_37
; %bb.33:                               ;   in Loop: Header=BB112_10 Depth=1
	s_wait_dscnt 0x0
	ds_load_b64 v[26:27], v31 offset:96
	v_lshl_add_u64 v[24:25], v[16:17], 3, v[24:25]
	s_wait_dscnt 0x0
	global_store_b64 v[24:25], v[26:27], off
	s_cbranch_execnz .LBB112_8
	s_branch .LBB112_38
.LBB112_34:                             ;   in Loop: Header=BB112_10 Depth=1
	s_branch .LBB112_22
.LBB112_35:                             ;   in Loop: Header=BB112_10 Depth=1
	s_branch .LBB112_26
.LBB112_36:                             ;   in Loop: Header=BB112_10 Depth=1
	s_branch .LBB112_30
.LBB112_37:                             ;   in Loop: Header=BB112_10 Depth=1
.LBB112_38:                             ;   in Loop: Header=BB112_10 Depth=1
	s_wait_xcnt 0x0
	ds_load_b64 v[24:25], v31 offset:96
	v_mov_b32_e32 v21, v5
	s_delay_alu instid0(VALU_DEP_1)
	v_add_nc_u64_e32 v[22:23], v[22:23], v[20:21]
	s_wait_dscnt 0x0
	global_store_b64 v[22:23], v[24:25], off offset:96
	s_branch .LBB112_8
.LBB112_39:
	s_endpgm
	.section	.rodata,"a",@progbits
	.p2align	6, 0x0
	.amdhsa_kernel _ZN9rocsparseL42csr2bsr_wavefront_per_row_multipass_kernelILj256ELj64ELj16EdiiEEv20rocsparse_direction_T4_S2_S2_S2_S2_21rocsparse_index_base_PKT2_PKT3_PKS2_S3_PS4_PS7_PS2_
		.amdhsa_group_segment_fixed_size 8200
		.amdhsa_private_segment_fixed_size 0
		.amdhsa_kernarg_size 88
		.amdhsa_user_sgpr_count 2
		.amdhsa_user_sgpr_dispatch_ptr 0
		.amdhsa_user_sgpr_queue_ptr 0
		.amdhsa_user_sgpr_kernarg_segment_ptr 1
		.amdhsa_user_sgpr_dispatch_id 0
		.amdhsa_user_sgpr_kernarg_preload_length 0
		.amdhsa_user_sgpr_kernarg_preload_offset 0
		.amdhsa_user_sgpr_private_segment_size 0
		.amdhsa_wavefront_size32 1
		.amdhsa_uses_dynamic_stack 0
		.amdhsa_enable_private_segment 0
		.amdhsa_system_sgpr_workgroup_id_x 1
		.amdhsa_system_sgpr_workgroup_id_y 0
		.amdhsa_system_sgpr_workgroup_id_z 0
		.amdhsa_system_sgpr_workgroup_info 0
		.amdhsa_system_vgpr_workitem_id 0
		.amdhsa_next_free_vgpr 44
		.amdhsa_next_free_sgpr 26
		.amdhsa_named_barrier_count 0
		.amdhsa_reserve_vcc 1
		.amdhsa_float_round_mode_32 0
		.amdhsa_float_round_mode_16_64 0
		.amdhsa_float_denorm_mode_32 3
		.amdhsa_float_denorm_mode_16_64 3
		.amdhsa_fp16_overflow 0
		.amdhsa_memory_ordered 1
		.amdhsa_forward_progress 1
		.amdhsa_inst_pref_size 15
		.amdhsa_round_robin_scheduling 0
		.amdhsa_exception_fp_ieee_invalid_op 0
		.amdhsa_exception_fp_denorm_src 0
		.amdhsa_exception_fp_ieee_div_zero 0
		.amdhsa_exception_fp_ieee_overflow 0
		.amdhsa_exception_fp_ieee_underflow 0
		.amdhsa_exception_fp_ieee_inexact 0
		.amdhsa_exception_int_div_zero 0
	.end_amdhsa_kernel
	.section	.text._ZN9rocsparseL42csr2bsr_wavefront_per_row_multipass_kernelILj256ELj64ELj16EdiiEEv20rocsparse_direction_T4_S2_S2_S2_S2_21rocsparse_index_base_PKT2_PKT3_PKS2_S3_PS4_PS7_PS2_,"axG",@progbits,_ZN9rocsparseL42csr2bsr_wavefront_per_row_multipass_kernelILj256ELj64ELj16EdiiEEv20rocsparse_direction_T4_S2_S2_S2_S2_21rocsparse_index_base_PKT2_PKT3_PKS2_S3_PS4_PS7_PS2_,comdat
.Lfunc_end112:
	.size	_ZN9rocsparseL42csr2bsr_wavefront_per_row_multipass_kernelILj256ELj64ELj16EdiiEEv20rocsparse_direction_T4_S2_S2_S2_S2_21rocsparse_index_base_PKT2_PKT3_PKS2_S3_PS4_PS7_PS2_, .Lfunc_end112-_ZN9rocsparseL42csr2bsr_wavefront_per_row_multipass_kernelILj256ELj64ELj16EdiiEEv20rocsparse_direction_T4_S2_S2_S2_S2_21rocsparse_index_base_PKT2_PKT3_PKS2_S3_PS4_PS7_PS2_
                                        ; -- End function
	.set _ZN9rocsparseL42csr2bsr_wavefront_per_row_multipass_kernelILj256ELj64ELj16EdiiEEv20rocsparse_direction_T4_S2_S2_S2_S2_21rocsparse_index_base_PKT2_PKT3_PKS2_S3_PS4_PS7_PS2_.num_vgpr, 44
	.set _ZN9rocsparseL42csr2bsr_wavefront_per_row_multipass_kernelILj256ELj64ELj16EdiiEEv20rocsparse_direction_T4_S2_S2_S2_S2_21rocsparse_index_base_PKT2_PKT3_PKS2_S3_PS4_PS7_PS2_.num_agpr, 0
	.set _ZN9rocsparseL42csr2bsr_wavefront_per_row_multipass_kernelILj256ELj64ELj16EdiiEEv20rocsparse_direction_T4_S2_S2_S2_S2_21rocsparse_index_base_PKT2_PKT3_PKS2_S3_PS4_PS7_PS2_.numbered_sgpr, 26
	.set _ZN9rocsparseL42csr2bsr_wavefront_per_row_multipass_kernelILj256ELj64ELj16EdiiEEv20rocsparse_direction_T4_S2_S2_S2_S2_21rocsparse_index_base_PKT2_PKT3_PKS2_S3_PS4_PS7_PS2_.num_named_barrier, 0
	.set _ZN9rocsparseL42csr2bsr_wavefront_per_row_multipass_kernelILj256ELj64ELj16EdiiEEv20rocsparse_direction_T4_S2_S2_S2_S2_21rocsparse_index_base_PKT2_PKT3_PKS2_S3_PS4_PS7_PS2_.private_seg_size, 0
	.set _ZN9rocsparseL42csr2bsr_wavefront_per_row_multipass_kernelILj256ELj64ELj16EdiiEEv20rocsparse_direction_T4_S2_S2_S2_S2_21rocsparse_index_base_PKT2_PKT3_PKS2_S3_PS4_PS7_PS2_.uses_vcc, 1
	.set _ZN9rocsparseL42csr2bsr_wavefront_per_row_multipass_kernelILj256ELj64ELj16EdiiEEv20rocsparse_direction_T4_S2_S2_S2_S2_21rocsparse_index_base_PKT2_PKT3_PKS2_S3_PS4_PS7_PS2_.uses_flat_scratch, 0
	.set _ZN9rocsparseL42csr2bsr_wavefront_per_row_multipass_kernelILj256ELj64ELj16EdiiEEv20rocsparse_direction_T4_S2_S2_S2_S2_21rocsparse_index_base_PKT2_PKT3_PKS2_S3_PS4_PS7_PS2_.has_dyn_sized_stack, 0
	.set _ZN9rocsparseL42csr2bsr_wavefront_per_row_multipass_kernelILj256ELj64ELj16EdiiEEv20rocsparse_direction_T4_S2_S2_S2_S2_21rocsparse_index_base_PKT2_PKT3_PKS2_S3_PS4_PS7_PS2_.has_recursion, 0
	.set _ZN9rocsparseL42csr2bsr_wavefront_per_row_multipass_kernelILj256ELj64ELj16EdiiEEv20rocsparse_direction_T4_S2_S2_S2_S2_21rocsparse_index_base_PKT2_PKT3_PKS2_S3_PS4_PS7_PS2_.has_indirect_call, 0
	.section	.AMDGPU.csdata,"",@progbits
; Kernel info:
; codeLenInByte = 1868
; TotalNumSgprs: 28
; NumVgprs: 44
; ScratchSize: 0
; MemoryBound: 0
; FloatMode: 240
; IeeeMode: 1
; LDSByteSize: 8200 bytes/workgroup (compile time only)
; SGPRBlocks: 0
; VGPRBlocks: 2
; NumSGPRsForWavesPerEU: 28
; NumVGPRsForWavesPerEU: 44
; NamedBarCnt: 0
; Occupancy: 16
; WaveLimiterHint : 0
; COMPUTE_PGM_RSRC2:SCRATCH_EN: 0
; COMPUTE_PGM_RSRC2:USER_SGPR: 2
; COMPUTE_PGM_RSRC2:TRAP_HANDLER: 0
; COMPUTE_PGM_RSRC2:TGID_X_EN: 1
; COMPUTE_PGM_RSRC2:TGID_Y_EN: 0
; COMPUTE_PGM_RSRC2:TGID_Z_EN: 0
; COMPUTE_PGM_RSRC2:TIDIG_COMP_CNT: 0
	.section	.text._ZN9rocsparseL42csr2bsr_wavefront_per_row_multipass_kernelILj256ELj32ELj16EdiiEEv20rocsparse_direction_T4_S2_S2_S2_S2_21rocsparse_index_base_PKT2_PKT3_PKS2_S3_PS4_PS7_PS2_,"axG",@progbits,_ZN9rocsparseL42csr2bsr_wavefront_per_row_multipass_kernelILj256ELj32ELj16EdiiEEv20rocsparse_direction_T4_S2_S2_S2_S2_21rocsparse_index_base_PKT2_PKT3_PKS2_S3_PS4_PS7_PS2_,comdat
	.globl	_ZN9rocsparseL42csr2bsr_wavefront_per_row_multipass_kernelILj256ELj32ELj16EdiiEEv20rocsparse_direction_T4_S2_S2_S2_S2_21rocsparse_index_base_PKT2_PKT3_PKS2_S3_PS4_PS7_PS2_ ; -- Begin function _ZN9rocsparseL42csr2bsr_wavefront_per_row_multipass_kernelILj256ELj32ELj16EdiiEEv20rocsparse_direction_T4_S2_S2_S2_S2_21rocsparse_index_base_PKT2_PKT3_PKS2_S3_PS4_PS7_PS2_
	.p2align	8
	.type	_ZN9rocsparseL42csr2bsr_wavefront_per_row_multipass_kernelILj256ELj32ELj16EdiiEEv20rocsparse_direction_T4_S2_S2_S2_S2_21rocsparse_index_base_PKT2_PKT3_PKS2_S3_PS4_PS7_PS2_,@function
_ZN9rocsparseL42csr2bsr_wavefront_per_row_multipass_kernelILj256ELj32ELj16EdiiEEv20rocsparse_direction_T4_S2_S2_S2_S2_21rocsparse_index_base_PKT2_PKT3_PKS2_S3_PS4_PS7_PS2_: ; @_ZN9rocsparseL42csr2bsr_wavefront_per_row_multipass_kernelILj256ELj32ELj16EdiiEEv20rocsparse_direction_T4_S2_S2_S2_S2_21rocsparse_index_base_PKT2_PKT3_PKS2_S3_PS4_PS7_PS2_
; %bb.0:
	s_clause 0x1
	s_load_b128 s[8:11], s[0:1], 0xc
	s_load_b64 s[4:5], s[0:1], 0x0
	s_bfe_u32 s2, ttmp6, 0x4000c
	s_and_b32 s3, ttmp6, 15
	s_add_co_i32 s2, s2, 1
	s_getreg_b32 s6, hwreg(HW_REG_IB_STS2, 6, 4)
	s_mul_i32 s2, ttmp9, s2
	v_dual_mov_b32 v2, 0 :: v_dual_lshrrev_b32 v1, 5, v0
	s_add_co_i32 s3, s3, s2
	s_cmp_eq_u32 s6, 0
	v_bfe_u32 v3, v0, 1, 4
	s_cselect_b32 s2, ttmp9, s3
	s_load_b64 s[6:7], s[0:1], 0x28
	v_lshl_or_b32 v4, s2, 3, v1
	v_mov_b32_e32 v46, 0
	s_wait_kmcnt 0x0
	s_delay_alu instid0(VALU_DEP_2) | instskip(SKIP_1) | instid1(VALU_DEP_2)
	v_mad_u32 v5, v4, s10, v3
	v_cmp_gt_i32_e32 vcc_lo, s10, v3
	v_cmp_gt_i32_e64 s2, s5, v5
	s_and_b32 s2, vcc_lo, s2
	s_delay_alu instid0(SALU_CYCLE_1)
	s_and_saveexec_b32 s3, s2
	s_cbranch_execz .LBB113_2
; %bb.1:
	global_load_b32 v6, v5, s[6:7] scale_offset
	s_wait_loadcnt 0x0
	v_subrev_nc_u32_e32 v46, s11, v6
.LBB113_2:
	s_or_b32 exec_lo, exec_lo, s3
	v_mov_b32_e32 v36, 0
	s_and_saveexec_b32 s3, s2
	s_cbranch_execz .LBB113_4
; %bb.3:
	global_load_b32 v5, v5, s[6:7] offset:4 scale_offset
	s_wait_loadcnt 0x0
	v_subrev_nc_u32_e32 v36, s11, v5
.LBB113_4:
	s_or_b32 exec_lo, exec_lo, s3
	s_load_b32 s22, s[0:1], 0x38
	s_mov_b32 s3, exec_lo
	v_cmpx_gt_i32_e64 s8, v4
	s_cbranch_execz .LBB113_6
; %bb.5:
	s_load_b64 s[6:7], s[0:1], 0x48
	s_wait_kmcnt 0x0
	global_load_b32 v2, v4, s[6:7] scale_offset
	s_wait_loadcnt 0x0
	v_subrev_nc_u32_e32 v2, s22, v2
.LBB113_6:
	s_or_b32 exec_lo, exec_lo, s3
	s_cmp_lt_i32 s9, 1
	s_cbranch_scc1 .LBB113_59
; %bb.7:
	v_mbcnt_lo_u32_b32 v9, -1, 0
	s_load_b64 s[2:3], s[0:1], 0x40
	v_lshlrev_b32_e32 v4, 7, v3
	s_clause 0x2
	s_load_b64 s[12:13], s[0:1], 0x50
	s_load_b64 s[14:15], s[0:1], 0x30
	;; [unrolled: 1-line block ×3, first 2 shown]
	s_mov_b32 s19, 0
	v_xor_b32_e32 v5, 1, v9
	s_cmp_lg_u32 s4, 0
	v_lshl_or_b32 v37, v1, 11, v4
	s_mov_b32 s18, s10
	s_cselect_b32 s8, -1, 0
	s_wait_xcnt 0x0
	v_cmp_gt_i32_e64 s0, 32, v5
	v_and_b32_e32 v0, 1, v0
	s_mul_u64 s[20:21], s[18:19], s[18:19]
	s_lshl_b32 s18, s10, 1
	v_lshl_or_b32 v38, v9, 2, 4
	v_dual_cndmask_b32 v4, v9, v5, s0 :: v_dual_mov_b32 v5, 0
	v_xor_b32_e32 v8, 16, v9
	s_abs_i32 s23, s10
	v_or_b32_e32 v24, 14, v0
	s_delay_alu instid0(VALU_DEP_3) | instskip(NEXT) | instid1(VALU_DEP_3)
	v_dual_lshlrev_b32 v40, 2, v4 :: v_dual_lshlrev_b32 v4, 3, v3
	v_cmp_gt_i32_e64 s0, 32, v8
	s_cvt_f32_u32 s6, s23
	v_mov_b32_e32 v25, v5
	v_cmp_gt_u32_e64 s7, s10, v24
	s_wait_kmcnt 0x0
	v_add_nc_u64_e32 v[6:7], s[2:3], v[4:5]
	v_mul_lo_u32 v4, s10, v3
	v_dual_cndmask_b32 v12, v9, v8, s0 :: v_dual_bitop2_b32 v3, 8, v9 bitop3:0x14
	v_mul_lo_u32 v8, v0, s10
	v_mov_b64_e32 v[26:27], 0
	v_lshl_or_b32 v39, v0, 3, v37
	s_delay_alu instid0(VALU_DEP_4) | instskip(SKIP_4) | instid1(VALU_DEP_2)
	v_cmp_gt_i32_e64 s0, 32, v3
	v_dual_mov_b32 v29, 0 :: v_dual_bitop2_b32 v10, 4, v9 bitop3:0x14
	s_and_b32 s7, vcc_lo, s7
	s_mov_b32 s26, s19
	v_cndmask_b32_e64 v3, v9, v3, s0
	v_cmp_gt_i32_e64 s0, 32, v10
	v_dual_lshlrev_b32 v41, 2, v12 :: v_dual_bitop2_b32 v11, 2, v9 bitop3:0x14
	v_dual_mov_b32 v15, v5 :: v_dual_add_nc_u32 v12, s18, v8
	s_delay_alu instid0(VALU_DEP_3) | instskip(NEXT) | instid1(VALU_DEP_3)
	v_cndmask_b32_e64 v13, v9, v10, s0
	v_cmp_gt_i32_e64 s0, 32, v11
	v_dual_lshlrev_b32 v42, 2, v3 :: v_dual_bitop2_b32 v3, 2, v0 bitop3:0x54
	s_delay_alu instid0(VALU_DEP_3) | instskip(NEXT) | instid1(VALU_DEP_3)
	v_dual_mov_b32 v17, v5 :: v_dual_lshlrev_b32 v43, 2, v13
	v_cndmask_b32_e64 v9, v9, v11, s0
	v_lshl_add_u64 v[10:11], v[4:5], 3, s[2:3]
	v_dual_mov_b32 v13, v5 :: v_dual_bitop2_b32 v4, 4, v0 bitop3:0x54
	s_delay_alu instid0(VALU_DEP_3) | instskip(SKIP_1) | instid1(VALU_DEP_3)
	v_dual_add_nc_u32 v14, s18, v12 :: v_dual_lshlrev_b32 v44, 2, v9
	v_mov_b32_e32 v45, 0x7c
	v_cmp_gt_u32_e64 s2, s10, v4
	v_dual_mov_b32 v19, v5 :: v_dual_bitop2_b32 v4, 8, v0 bitop3:0x54
	v_mov_b32_e32 v9, v5
	v_cmp_gt_u32_e64 s1, s10, v3
	v_dual_add_nc_u32 v16, s18, v14 :: v_dual_bitop2_b32 v3, 6, v0 bitop3:0x54
	s_delay_alu instid0(VALU_DEP_4) | instskip(SKIP_2) | instid1(VALU_DEP_3)
	v_cmp_gt_u32_e64 s4, s10, v4
	v_rcp_iflag_f32_e32 v4, s6
	v_cmp_gt_u32_e64 s0, s10, v0
	v_cmp_gt_u32_e64 s3, s10, v3
	v_dual_mov_b32 v21, v5 :: v_dual_add_nc_u32 v18, s18, v16
	v_or_b32_e32 v3, 10, v0
	s_and_b32 s24, s0, vcc_lo
	s_delay_alu instid0(TRANS32_DEP_1) | instskip(NEXT) | instid1(VALU_DEP_3)
	v_readfirstlane_b32 s25, v4
	v_dual_mov_b32 v47, 1 :: v_dual_add_nc_u32 v20, s18, v18
	s_delay_alu instid0(VALU_DEP_3) | instskip(SKIP_4) | instid1(VALU_DEP_3)
	v_cmp_gt_u32_e64 s5, s10, v3
	v_dual_mov_b32 v23, v5 :: v_dual_bitop2_b32 v3, 12, v0 bitop3:0x54
	s_mul_f32 s0, s25, 0x4f7ffffe
	v_add_nc_u32_e32 v22, s18, v20
	v_lshlrev_b32_e32 v28, 3, v0
	v_cmp_gt_u32_e64 s6, s10, v3
	s_cvt_u32_f32 s0, s0
	s_and_b32 s1, vcc_lo, s1
	v_add_nc_u32_e32 v24, s18, v22
	s_sub_co_i32 s18, 0, s23
	s_and_b32 s2, vcc_lo, s2
	s_mul_i32 s18, s18, s0
	s_and_b32 s3, vcc_lo, s3
	s_mul_hi_u32 s18, s0, s18
	s_and_b32 s4, vcc_lo, s4
	s_and_b32 s5, vcc_lo, s5
	;; [unrolled: 1-line block ×3, first 2 shown]
	s_ashr_i32 s25, s10, 31
	s_add_co_i32 s18, s0, s18
	s_branch .LBB113_10
.LBB113_8:                              ;   in Loop: Header=BB113_10 Depth=1
	s_wait_xcnt 0x0
	s_or_b32 exec_lo, exec_lo, s27
	v_mov_b32_e32 v3, 1
.LBB113_9:                              ;   in Loop: Header=BB113_10 Depth=1
	s_or_b32 exec_lo, exec_lo, s0
	ds_bpermute_b32 v4, v41, v48
	s_wait_storecnt_dscnt 0x0
	v_dual_add_nc_u32 v2, v3, v2 :: v_dual_min_i32 v4, v4, v48
	ds_bpermute_b32 v29, v42, v4
	s_wait_dscnt 0x0
	v_min_i32_e32 v4, v29, v4
	ds_bpermute_b32 v29, v43, v4
	s_wait_dscnt 0x0
	v_min_i32_e32 v4, v29, v4
	;; [unrolled: 3-line block ×4, first 2 shown]
	ds_bpermute_b32 v29, v45, v4
	s_wait_dscnt 0x0
	v_cmp_le_i32_e32 vcc_lo, s9, v29
	s_or_b32 s26, vcc_lo, s26
	s_delay_alu instid0(SALU_CYCLE_1)
	s_and_not1_b32 exec_lo, exec_lo, s26
	s_cbranch_execz .LBB113_59
.LBB113_10:                             ; =>This Loop Header: Depth=1
                                        ;     Child Loop BB113_13 Depth 2
	v_dual_add_nc_u32 v30, v46, v0 :: v_dual_mov_b32 v48, s9
	v_mov_b32_e32 v31, v36
	s_mov_b32 s27, exec_lo
	ds_store_b8 v1, v5 offset:16384
	ds_store_2addr_b64 v39, v[26:27], v[26:27] offset1:2
	ds_store_2addr_b64 v39, v[26:27], v[26:27] offset0:4 offset1:6
	ds_store_2addr_b64 v39, v[26:27], v[26:27] offset0:8 offset1:10
	;; [unrolled: 1-line block ×3, first 2 shown]
	s_wait_dscnt 0x0
	v_cmpx_lt_i32_e64 v30, v36
	s_cbranch_execz .LBB113_18
; %bb.11:                               ;   in Loop: Header=BB113_10 Depth=1
	v_mul_lo_u32 v3, v29, s10
	v_dual_mov_b32 v48, s9 :: v_dual_mov_b32 v31, v36
	s_mov_b32 s28, 0
	s_branch .LBB113_13
.LBB113_12:                             ;   in Loop: Header=BB113_13 Depth=2
	s_wait_xcnt 0x0
	s_or_b32 exec_lo, exec_lo, s0
	v_add_nc_u32_e32 v30, 2, v30
	s_xor_b32 s29, vcc_lo, -1
	s_delay_alu instid0(VALU_DEP_1) | instskip(SKIP_1) | instid1(SALU_CYCLE_1)
	v_cmp_ge_i32_e64 s0, v30, v36
	s_or_b32 s0, s29, s0
	s_and_b32 s0, exec_lo, s0
	s_delay_alu instid0(SALU_CYCLE_1) | instskip(NEXT) | instid1(SALU_CYCLE_1)
	s_or_b32 s28, s0, s28
	s_and_not1_b32 exec_lo, exec_lo, s28
	s_cbranch_execz .LBB113_17
.LBB113_13:                             ;   Parent Loop BB113_10 Depth=1
                                        ; =>  This Inner Loop Header: Depth=2
	global_load_b32 v4, v30, s[14:15] scale_offset
	s_wait_loadcnt 0x0
	v_subrev_nc_u32_e32 v32, s11, v4
	s_delay_alu instid0(VALU_DEP_1) | instskip(NEXT) | instid1(VALU_DEP_1)
	v_sub_nc_u32_e32 v4, 0, v32
	v_max_i32_e32 v4, v32, v4
	s_delay_alu instid0(VALU_DEP_1) | instskip(NEXT) | instid1(VALU_DEP_1)
	v_mul_u64_e32 v[34:35], s[18:19], v[4:5]
	v_mul_lo_u32 v33, v35, s23
	s_delay_alu instid0(VALU_DEP_1) | instskip(NEXT) | instid1(VALU_DEP_1)
	v_dual_sub_nc_u32 v4, v4, v33 :: v_dual_add_nc_u32 v33, 1, v35
	v_cmp_le_u32_e32 vcc_lo, s23, v4
	s_delay_alu instid0(VALU_DEP_2) | instskip(SKIP_1) | instid1(VALU_DEP_1)
	v_dual_cndmask_b32 v33, v35, v33, vcc_lo :: v_dual_ashrrev_i32 v35, 31, v32
	v_subrev_nc_u32_e32 v34, s23, v4
	v_dual_cndmask_b32 v4, v4, v34, vcc_lo :: v_dual_add_nc_u32 v34, 1, v33
	s_delay_alu instid0(VALU_DEP_1) | instskip(NEXT) | instid1(VALU_DEP_2)
	v_cmp_le_u32_e32 vcc_lo, s23, v4
	v_dual_cndmask_b32 v4, v33, v34, vcc_lo :: v_dual_bitop2_b32 v35, s25, v35 bitop3:0x14
	s_delay_alu instid0(VALU_DEP_1) | instskip(NEXT) | instid1(VALU_DEP_1)
	v_xor_b32_e32 v4, v4, v35
	v_dual_mov_b32 v4, v31 :: v_dual_sub_nc_u32 v33, v4, v35
	s_delay_alu instid0(VALU_DEP_1) | instskip(SKIP_3) | instid1(SALU_CYCLE_1)
	v_cmp_ne_u32_e64 s0, v33, v29
	v_cmp_eq_u32_e32 vcc_lo, v33, v29
	s_wait_xcnt 0x0
	s_and_saveexec_b32 s29, s0
	s_xor_b32 s0, exec_lo, s29
; %bb.14:                               ;   in Loop: Header=BB113_13 Depth=2
	v_min_i32_e32 v48, v33, v48
                                        ; implicit-def: $vgpr32
                                        ; implicit-def: $vgpr4
; %bb.15:                               ;   in Loop: Header=BB113_13 Depth=2
	s_or_saveexec_b32 s0, s0
	v_mov_b32_e32 v31, v30
	s_xor_b32 exec_lo, exec_lo, s0
	s_cbranch_execz .LBB113_12
; %bb.16:                               ;   in Loop: Header=BB113_13 Depth=2
	v_ashrrev_i32_e32 v31, 31, v30
	s_delay_alu instid0(VALU_DEP_1)
	v_lshl_add_u64 v[34:35], v[30:31], 3, s[16:17]
	v_sub_nc_u32_e32 v31, v32, v3
	global_load_b64 v[34:35], v[34:35], off
	v_lshl_add_u32 v32, v31, 3, v37
	v_mov_b32_e32 v31, v4
	ds_store_b8 v1, v47 offset:16384
	s_wait_loadcnt 0x0
	ds_store_b64 v32, v[34:35]
	s_branch .LBB113_12
.LBB113_17:                             ;   in Loop: Header=BB113_10 Depth=1
	s_or_b32 exec_lo, exec_lo, s28
.LBB113_18:                             ;   in Loop: Header=BB113_10 Depth=1
	s_delay_alu instid0(SALU_CYCLE_1)
	s_or_b32 exec_lo, exec_lo, s27
	ds_bpermute_b32 v3, v40, v31
	s_wait_dscnt 0x0
	ds_load_u8 v4, v1 offset:16384
	v_min_i32_e32 v3, v3, v31
	ds_bpermute_b32 v46, v38, v3
	s_wait_dscnt 0x1
	v_and_b32_e32 v3, 1, v4
	s_delay_alu instid0(VALU_DEP_1)
	v_cmp_eq_u32_e32 vcc_lo, 1, v3
	v_mov_b32_e32 v3, 0
	s_and_saveexec_b32 s0, vcc_lo
	s_cbranch_execz .LBB113_9
; %bb.19:                               ;   in Loop: Header=BB113_10 Depth=1
	v_ashrrev_i32_e32 v3, 31, v2
	s_delay_alu instid0(VALU_DEP_1) | instskip(SKIP_3) | instid1(VALU_DEP_1)
	v_mul_u64_e32 v[30:31], s[20:21], v[2:3]
	v_add_nc_u32_e32 v3, s22, v29
	global_store_b32 v2, v3, s[12:13] scale_offset
	v_lshlrev_b64_e32 v[30:31], 3, v[30:31]
	v_add_nc_u64_e32 v[32:33], v[6:7], v[30:31]
	v_add_nc_u64_e32 v[30:31], v[10:11], v[30:31]
	s_wait_xcnt 0x0
	s_and_saveexec_b32 s27, s24
	s_cbranch_execz .LBB113_23
; %bb.20:                               ;   in Loop: Header=BB113_10 Depth=1
	ds_load_b64 v[34:35], v39
	s_and_b32 vcc_lo, exec_lo, s8
	s_cbranch_vccz .LBB113_50
; %bb.21:                               ;   in Loop: Header=BB113_10 Depth=1
	v_lshl_add_u64 v[50:51], v[8:9], 3, v[32:33]
	s_wait_dscnt 0x0
	global_store_b64 v[50:51], v[34:35], off
	s_cbranch_execnz .LBB113_23
.LBB113_22:                             ;   in Loop: Header=BB113_10 Depth=1
	v_mov_b32_e32 v29, v5
	s_wait_xcnt 0x0
	s_delay_alu instid0(VALU_DEP_1)
	v_add_nc_u64_e32 v[50:51], v[30:31], v[28:29]
	s_wait_dscnt 0x0
	global_store_b64 v[50:51], v[34:35], off
.LBB113_23:                             ;   in Loop: Header=BB113_10 Depth=1
	s_wait_xcnt 0x0
	s_or_b32 exec_lo, exec_lo, s27
	s_and_saveexec_b32 s27, s1
	s_cbranch_execz .LBB113_27
; %bb.24:                               ;   in Loop: Header=BB113_10 Depth=1
	s_and_not1_b32 vcc_lo, exec_lo, s8
	s_cbranch_vccnz .LBB113_51
; %bb.25:                               ;   in Loop: Header=BB113_10 Depth=1
	s_wait_dscnt 0x0
	ds_load_b64 v[34:35], v39 offset:16
	v_lshl_add_u64 v[50:51], v[12:13], 3, v[32:33]
	s_wait_dscnt 0x0
	global_store_b64 v[50:51], v[34:35], off
	s_cbranch_execnz .LBB113_27
.LBB113_26:                             ;   in Loop: Header=BB113_10 Depth=1
	s_wait_dscnt 0x0
	s_wait_xcnt 0x0
	ds_load_b64 v[34:35], v39 offset:16
	v_mov_b32_e32 v29, v5
	s_delay_alu instid0(VALU_DEP_1)
	v_add_nc_u64_e32 v[50:51], v[30:31], v[28:29]
	s_wait_dscnt 0x0
	global_store_b64 v[50:51], v[34:35], off offset:16
.LBB113_27:                             ;   in Loop: Header=BB113_10 Depth=1
	s_wait_xcnt 0x0
	s_or_b32 exec_lo, exec_lo, s27
	s_and_saveexec_b32 s27, s2
	s_cbranch_execz .LBB113_31
; %bb.28:                               ;   in Loop: Header=BB113_10 Depth=1
	s_and_not1_b32 vcc_lo, exec_lo, s8
	s_cbranch_vccnz .LBB113_52
; %bb.29:                               ;   in Loop: Header=BB113_10 Depth=1
	s_wait_dscnt 0x0
	ds_load_b64 v[34:35], v39 offset:32
	v_lshl_add_u64 v[50:51], v[14:15], 3, v[32:33]
	s_wait_dscnt 0x0
	global_store_b64 v[50:51], v[34:35], off
	s_cbranch_execnz .LBB113_31
.LBB113_30:                             ;   in Loop: Header=BB113_10 Depth=1
	s_wait_dscnt 0x0
	s_wait_xcnt 0x0
	ds_load_b64 v[34:35], v39 offset:32
	v_mov_b32_e32 v29, v5
	s_delay_alu instid0(VALU_DEP_1)
	v_add_nc_u64_e32 v[50:51], v[30:31], v[28:29]
	s_wait_dscnt 0x0
	global_store_b64 v[50:51], v[34:35], off offset:32
.LBB113_31:                             ;   in Loop: Header=BB113_10 Depth=1
	s_wait_xcnt 0x0
	s_or_b32 exec_lo, exec_lo, s27
	s_and_saveexec_b32 s27, s3
	s_cbranch_execz .LBB113_35
; %bb.32:                               ;   in Loop: Header=BB113_10 Depth=1
	s_and_not1_b32 vcc_lo, exec_lo, s8
	s_cbranch_vccnz .LBB113_53
; %bb.33:                               ;   in Loop: Header=BB113_10 Depth=1
	s_wait_dscnt 0x0
	ds_load_b64 v[34:35], v39 offset:48
	v_lshl_add_u64 v[50:51], v[16:17], 3, v[32:33]
	s_wait_dscnt 0x0
	global_store_b64 v[50:51], v[34:35], off
	s_cbranch_execnz .LBB113_35
.LBB113_34:                             ;   in Loop: Header=BB113_10 Depth=1
	s_wait_dscnt 0x0
	s_wait_xcnt 0x0
	ds_load_b64 v[34:35], v39 offset:48
	v_mov_b32_e32 v29, v5
	s_delay_alu instid0(VALU_DEP_1)
	v_add_nc_u64_e32 v[50:51], v[30:31], v[28:29]
	s_wait_dscnt 0x0
	global_store_b64 v[50:51], v[34:35], off offset:48
.LBB113_35:                             ;   in Loop: Header=BB113_10 Depth=1
	s_wait_xcnt 0x0
	s_or_b32 exec_lo, exec_lo, s27
	s_and_saveexec_b32 s27, s4
	s_cbranch_execz .LBB113_39
; %bb.36:                               ;   in Loop: Header=BB113_10 Depth=1
	s_and_not1_b32 vcc_lo, exec_lo, s8
	s_cbranch_vccnz .LBB113_54
; %bb.37:                               ;   in Loop: Header=BB113_10 Depth=1
	s_wait_dscnt 0x0
	ds_load_b64 v[34:35], v39 offset:64
	v_lshl_add_u64 v[50:51], v[18:19], 3, v[32:33]
	s_wait_dscnt 0x0
	global_store_b64 v[50:51], v[34:35], off
	s_cbranch_execnz .LBB113_39
.LBB113_38:                             ;   in Loop: Header=BB113_10 Depth=1
	s_wait_dscnt 0x0
	s_wait_xcnt 0x0
	ds_load_b64 v[34:35], v39 offset:64
	v_mov_b32_e32 v29, v5
	s_delay_alu instid0(VALU_DEP_1)
	v_add_nc_u64_e32 v[50:51], v[30:31], v[28:29]
	s_wait_dscnt 0x0
	global_store_b64 v[50:51], v[34:35], off offset:64
.LBB113_39:                             ;   in Loop: Header=BB113_10 Depth=1
	s_wait_xcnt 0x0
	s_or_b32 exec_lo, exec_lo, s27
	s_and_saveexec_b32 s27, s5
	s_cbranch_execz .LBB113_43
; %bb.40:                               ;   in Loop: Header=BB113_10 Depth=1
	s_and_not1_b32 vcc_lo, exec_lo, s8
	s_cbranch_vccnz .LBB113_55
; %bb.41:                               ;   in Loop: Header=BB113_10 Depth=1
	s_wait_dscnt 0x0
	ds_load_b64 v[34:35], v39 offset:80
	v_lshl_add_u64 v[50:51], v[20:21], 3, v[32:33]
	s_wait_dscnt 0x0
	global_store_b64 v[50:51], v[34:35], off
	s_cbranch_execnz .LBB113_43
.LBB113_42:                             ;   in Loop: Header=BB113_10 Depth=1
	s_wait_dscnt 0x0
	s_wait_xcnt 0x0
	ds_load_b64 v[34:35], v39 offset:80
	v_mov_b32_e32 v29, v5
	s_delay_alu instid0(VALU_DEP_1)
	v_add_nc_u64_e32 v[50:51], v[30:31], v[28:29]
	s_wait_dscnt 0x0
	global_store_b64 v[50:51], v[34:35], off offset:80
.LBB113_43:                             ;   in Loop: Header=BB113_10 Depth=1
	s_wait_xcnt 0x0
	s_or_b32 exec_lo, exec_lo, s27
	s_and_saveexec_b32 s27, s6
	s_cbranch_execz .LBB113_47
; %bb.44:                               ;   in Loop: Header=BB113_10 Depth=1
	s_and_not1_b32 vcc_lo, exec_lo, s8
	s_cbranch_vccnz .LBB113_56
; %bb.45:                               ;   in Loop: Header=BB113_10 Depth=1
	s_wait_dscnt 0x0
	ds_load_b64 v[34:35], v39 offset:96
	v_lshl_add_u64 v[50:51], v[22:23], 3, v[32:33]
	s_wait_dscnt 0x0
	global_store_b64 v[50:51], v[34:35], off
	s_cbranch_execnz .LBB113_47
.LBB113_46:                             ;   in Loop: Header=BB113_10 Depth=1
	s_wait_dscnt 0x0
	s_wait_xcnt 0x0
	ds_load_b64 v[34:35], v39 offset:96
	v_mov_b32_e32 v29, v5
	s_delay_alu instid0(VALU_DEP_1)
	v_add_nc_u64_e32 v[50:51], v[30:31], v[28:29]
	s_wait_dscnt 0x0
	global_store_b64 v[50:51], v[34:35], off offset:96
.LBB113_47:                             ;   in Loop: Header=BB113_10 Depth=1
	s_wait_xcnt 0x0
	s_or_b32 exec_lo, exec_lo, s27
	s_and_saveexec_b32 s27, s7
	s_cbranch_execz .LBB113_8
; %bb.48:                               ;   in Loop: Header=BB113_10 Depth=1
	s_and_not1_b32 vcc_lo, exec_lo, s8
	s_cbranch_vccnz .LBB113_57
; %bb.49:                               ;   in Loop: Header=BB113_10 Depth=1
	s_wait_dscnt 0x0
	ds_load_b64 v[34:35], v39 offset:112
	v_lshl_add_u64 v[32:33], v[24:25], 3, v[32:33]
	s_wait_dscnt 0x0
	global_store_b64 v[32:33], v[34:35], off
	s_cbranch_execnz .LBB113_8
	s_branch .LBB113_58
.LBB113_50:                             ;   in Loop: Header=BB113_10 Depth=1
	s_branch .LBB113_22
.LBB113_51:                             ;   in Loop: Header=BB113_10 Depth=1
	s_branch .LBB113_26
.LBB113_52:                             ;   in Loop: Header=BB113_10 Depth=1
	s_branch .LBB113_30
.LBB113_53:                             ;   in Loop: Header=BB113_10 Depth=1
	s_branch .LBB113_34
.LBB113_54:                             ;   in Loop: Header=BB113_10 Depth=1
	s_branch .LBB113_38
.LBB113_55:                             ;   in Loop: Header=BB113_10 Depth=1
	s_branch .LBB113_42
.LBB113_56:                             ;   in Loop: Header=BB113_10 Depth=1
	s_branch .LBB113_46
.LBB113_57:                             ;   in Loop: Header=BB113_10 Depth=1
.LBB113_58:                             ;   in Loop: Header=BB113_10 Depth=1
	s_wait_xcnt 0x0
	ds_load_b64 v[32:33], v39 offset:112
	v_mov_b32_e32 v29, v5
	s_delay_alu instid0(VALU_DEP_1)
	v_add_nc_u64_e32 v[30:31], v[30:31], v[28:29]
	s_wait_dscnt 0x0
	global_store_b64 v[30:31], v[32:33], off offset:112
	s_branch .LBB113_8
.LBB113_59:
	s_endpgm
	.section	.rodata,"a",@progbits
	.p2align	6, 0x0
	.amdhsa_kernel _ZN9rocsparseL42csr2bsr_wavefront_per_row_multipass_kernelILj256ELj32ELj16EdiiEEv20rocsparse_direction_T4_S2_S2_S2_S2_21rocsparse_index_base_PKT2_PKT3_PKS2_S3_PS4_PS7_PS2_
		.amdhsa_group_segment_fixed_size 16392
		.amdhsa_private_segment_fixed_size 0
		.amdhsa_kernarg_size 88
		.amdhsa_user_sgpr_count 2
		.amdhsa_user_sgpr_dispatch_ptr 0
		.amdhsa_user_sgpr_queue_ptr 0
		.amdhsa_user_sgpr_kernarg_segment_ptr 1
		.amdhsa_user_sgpr_dispatch_id 0
		.amdhsa_user_sgpr_kernarg_preload_length 0
		.amdhsa_user_sgpr_kernarg_preload_offset 0
		.amdhsa_user_sgpr_private_segment_size 0
		.amdhsa_wavefront_size32 1
		.amdhsa_uses_dynamic_stack 0
		.amdhsa_enable_private_segment 0
		.amdhsa_system_sgpr_workgroup_id_x 1
		.amdhsa_system_sgpr_workgroup_id_y 0
		.amdhsa_system_sgpr_workgroup_id_z 0
		.amdhsa_system_sgpr_workgroup_info 0
		.amdhsa_system_vgpr_workitem_id 0
		.amdhsa_next_free_vgpr 52
		.amdhsa_next_free_sgpr 30
		.amdhsa_named_barrier_count 0
		.amdhsa_reserve_vcc 1
		.amdhsa_float_round_mode_32 0
		.amdhsa_float_round_mode_16_64 0
		.amdhsa_float_denorm_mode_32 3
		.amdhsa_float_denorm_mode_16_64 3
		.amdhsa_fp16_overflow 0
		.amdhsa_memory_ordered 1
		.amdhsa_forward_progress 1
		.amdhsa_inst_pref_size 19
		.amdhsa_round_robin_scheduling 0
		.amdhsa_exception_fp_ieee_invalid_op 0
		.amdhsa_exception_fp_denorm_src 0
		.amdhsa_exception_fp_ieee_div_zero 0
		.amdhsa_exception_fp_ieee_overflow 0
		.amdhsa_exception_fp_ieee_underflow 0
		.amdhsa_exception_fp_ieee_inexact 0
		.amdhsa_exception_int_div_zero 0
	.end_amdhsa_kernel
	.section	.text._ZN9rocsparseL42csr2bsr_wavefront_per_row_multipass_kernelILj256ELj32ELj16EdiiEEv20rocsparse_direction_T4_S2_S2_S2_S2_21rocsparse_index_base_PKT2_PKT3_PKS2_S3_PS4_PS7_PS2_,"axG",@progbits,_ZN9rocsparseL42csr2bsr_wavefront_per_row_multipass_kernelILj256ELj32ELj16EdiiEEv20rocsparse_direction_T4_S2_S2_S2_S2_21rocsparse_index_base_PKT2_PKT3_PKS2_S3_PS4_PS7_PS2_,comdat
.Lfunc_end113:
	.size	_ZN9rocsparseL42csr2bsr_wavefront_per_row_multipass_kernelILj256ELj32ELj16EdiiEEv20rocsparse_direction_T4_S2_S2_S2_S2_21rocsparse_index_base_PKT2_PKT3_PKS2_S3_PS4_PS7_PS2_, .Lfunc_end113-_ZN9rocsparseL42csr2bsr_wavefront_per_row_multipass_kernelILj256ELj32ELj16EdiiEEv20rocsparse_direction_T4_S2_S2_S2_S2_21rocsparse_index_base_PKT2_PKT3_PKS2_S3_PS4_PS7_PS2_
                                        ; -- End function
	.set _ZN9rocsparseL42csr2bsr_wavefront_per_row_multipass_kernelILj256ELj32ELj16EdiiEEv20rocsparse_direction_T4_S2_S2_S2_S2_21rocsparse_index_base_PKT2_PKT3_PKS2_S3_PS4_PS7_PS2_.num_vgpr, 52
	.set _ZN9rocsparseL42csr2bsr_wavefront_per_row_multipass_kernelILj256ELj32ELj16EdiiEEv20rocsparse_direction_T4_S2_S2_S2_S2_21rocsparse_index_base_PKT2_PKT3_PKS2_S3_PS4_PS7_PS2_.num_agpr, 0
	.set _ZN9rocsparseL42csr2bsr_wavefront_per_row_multipass_kernelILj256ELj32ELj16EdiiEEv20rocsparse_direction_T4_S2_S2_S2_S2_21rocsparse_index_base_PKT2_PKT3_PKS2_S3_PS4_PS7_PS2_.numbered_sgpr, 30
	.set _ZN9rocsparseL42csr2bsr_wavefront_per_row_multipass_kernelILj256ELj32ELj16EdiiEEv20rocsparse_direction_T4_S2_S2_S2_S2_21rocsparse_index_base_PKT2_PKT3_PKS2_S3_PS4_PS7_PS2_.num_named_barrier, 0
	.set _ZN9rocsparseL42csr2bsr_wavefront_per_row_multipass_kernelILj256ELj32ELj16EdiiEEv20rocsparse_direction_T4_S2_S2_S2_S2_21rocsparse_index_base_PKT2_PKT3_PKS2_S3_PS4_PS7_PS2_.private_seg_size, 0
	.set _ZN9rocsparseL42csr2bsr_wavefront_per_row_multipass_kernelILj256ELj32ELj16EdiiEEv20rocsparse_direction_T4_S2_S2_S2_S2_21rocsparse_index_base_PKT2_PKT3_PKS2_S3_PS4_PS7_PS2_.uses_vcc, 1
	.set _ZN9rocsparseL42csr2bsr_wavefront_per_row_multipass_kernelILj256ELj32ELj16EdiiEEv20rocsparse_direction_T4_S2_S2_S2_S2_21rocsparse_index_base_PKT2_PKT3_PKS2_S3_PS4_PS7_PS2_.uses_flat_scratch, 0
	.set _ZN9rocsparseL42csr2bsr_wavefront_per_row_multipass_kernelILj256ELj32ELj16EdiiEEv20rocsparse_direction_T4_S2_S2_S2_S2_21rocsparse_index_base_PKT2_PKT3_PKS2_S3_PS4_PS7_PS2_.has_dyn_sized_stack, 0
	.set _ZN9rocsparseL42csr2bsr_wavefront_per_row_multipass_kernelILj256ELj32ELj16EdiiEEv20rocsparse_direction_T4_S2_S2_S2_S2_21rocsparse_index_base_PKT2_PKT3_PKS2_S3_PS4_PS7_PS2_.has_recursion, 0
	.set _ZN9rocsparseL42csr2bsr_wavefront_per_row_multipass_kernelILj256ELj32ELj16EdiiEEv20rocsparse_direction_T4_S2_S2_S2_S2_21rocsparse_index_base_PKT2_PKT3_PKS2_S3_PS4_PS7_PS2_.has_indirect_call, 0
	.section	.AMDGPU.csdata,"",@progbits
; Kernel info:
; codeLenInByte = 2396
; TotalNumSgprs: 32
; NumVgprs: 52
; ScratchSize: 0
; MemoryBound: 0
; FloatMode: 240
; IeeeMode: 1
; LDSByteSize: 16392 bytes/workgroup (compile time only)
; SGPRBlocks: 0
; VGPRBlocks: 3
; NumSGPRsForWavesPerEU: 32
; NumVGPRsForWavesPerEU: 52
; NamedBarCnt: 0
; Occupancy: 16
; WaveLimiterHint : 0
; COMPUTE_PGM_RSRC2:SCRATCH_EN: 0
; COMPUTE_PGM_RSRC2:USER_SGPR: 2
; COMPUTE_PGM_RSRC2:TRAP_HANDLER: 0
; COMPUTE_PGM_RSRC2:TGID_X_EN: 1
; COMPUTE_PGM_RSRC2:TGID_Y_EN: 0
; COMPUTE_PGM_RSRC2:TGID_Z_EN: 0
; COMPUTE_PGM_RSRC2:TIDIG_COMP_CNT: 0
	.section	.text._ZN9rocsparseL38csr2bsr_block_per_row_multipass_kernelILj256ELj32EdiiEEv20rocsparse_direction_T3_S2_S2_S2_S2_21rocsparse_index_base_PKT1_PKT2_PKS2_S3_PS4_PS7_PS2_,"axG",@progbits,_ZN9rocsparseL38csr2bsr_block_per_row_multipass_kernelILj256ELj32EdiiEEv20rocsparse_direction_T3_S2_S2_S2_S2_21rocsparse_index_base_PKT1_PKT2_PKS2_S3_PS4_PS7_PS2_,comdat
	.globl	_ZN9rocsparseL38csr2bsr_block_per_row_multipass_kernelILj256ELj32EdiiEEv20rocsparse_direction_T3_S2_S2_S2_S2_21rocsparse_index_base_PKT1_PKT2_PKS2_S3_PS4_PS7_PS2_ ; -- Begin function _ZN9rocsparseL38csr2bsr_block_per_row_multipass_kernelILj256ELj32EdiiEEv20rocsparse_direction_T3_S2_S2_S2_S2_21rocsparse_index_base_PKT1_PKT2_PKS2_S3_PS4_PS7_PS2_
	.p2align	8
	.type	_ZN9rocsparseL38csr2bsr_block_per_row_multipass_kernelILj256ELj32EdiiEEv20rocsparse_direction_T3_S2_S2_S2_S2_21rocsparse_index_base_PKT1_PKT2_PKS2_S3_PS4_PS7_PS2_,@function
_ZN9rocsparseL38csr2bsr_block_per_row_multipass_kernelILj256ELj32EdiiEEv20rocsparse_direction_T3_S2_S2_S2_S2_21rocsparse_index_base_PKT1_PKT2_PKS2_S3_PS4_PS7_PS2_: ; @_ZN9rocsparseL38csr2bsr_block_per_row_multipass_kernelILj256ELj32EdiiEEv20rocsparse_direction_T3_S2_S2_S2_S2_21rocsparse_index_base_PKT1_PKT2_PKS2_S3_PS4_PS7_PS2_
; %bb.0:
	s_clause 0x1
	s_load_b96 s[12:14], s[0:1], 0x10
	s_load_b64 s[28:29], s[0:1], 0x0
	s_bfe_u32 s2, ttmp6, 0x4000c
	s_and_b32 s3, ttmp6, 15
	s_add_co_i32 s2, s2, 1
	s_getreg_b32 s4, hwreg(HW_REG_IB_STS2, 6, 4)
	s_mul_i32 s2, ttmp9, s2
	v_dual_mov_b32 v22, 0 :: v_dual_lshrrev_b32 v1, 3, v0
	s_add_co_i32 s3, s3, s2
	s_cmp_eq_u32 s4, 0
	s_load_b64 s[4:5], s[0:1], 0x28
	s_cselect_b32 s6, ttmp9, s3
	v_mov_b32_e32 v30, 0
	s_wait_kmcnt 0x0
	v_mad_u32 v2, s13, s6, v1
	v_cmp_gt_i32_e32 vcc_lo, s13, v1
	s_delay_alu instid0(VALU_DEP_2) | instskip(SKIP_1) | instid1(SALU_CYCLE_1)
	v_cmp_gt_i32_e64 s2, s29, v2
	s_and_b32 s2, vcc_lo, s2
	s_and_saveexec_b32 s3, s2
	s_cbranch_execnz .LBB114_3
; %bb.1:
	s_or_b32 exec_lo, exec_lo, s3
	s_and_saveexec_b32 s3, s2
	s_cbranch_execnz .LBB114_4
.LBB114_2:
	s_or_b32 exec_lo, exec_lo, s3
	s_cmp_lt_i32 s12, 1
	s_cbranch_scc0 .LBB114_5
	s_branch .LBB114_53
.LBB114_3:
	global_load_b32 v3, v2, s[4:5] scale_offset
	s_wait_loadcnt 0x0
	v_subrev_nc_u32_e32 v30, s14, v3
	s_or_b32 exec_lo, exec_lo, s3
	s_and_saveexec_b32 s3, s2
	s_cbranch_execz .LBB114_2
.LBB114_4:
	global_load_b32 v2, v2, s[4:5] offset:4 scale_offset
	s_wait_loadcnt 0x0
	v_subrev_nc_u32_e32 v22, s14, v2
	s_or_b32 exec_lo, exec_lo, s3
	s_cmp_lt_i32 s12, 1
	s_cbranch_scc1 .LBB114_53
.LBB114_5:
	s_clause 0x3
	s_load_b128 s[8:11], s[0:1], 0x40
	s_load_b64 s[20:21], s[0:1], 0x50
	s_load_b96 s[16:18], s[0:1], 0x30
	s_load_b64 s[22:23], s[0:1], 0x20
	s_ashr_i32 s7, s6, 31
	v_mbcnt_lo_u32_b32 v6, -1, 0
	s_lshl_b64 s[6:7], s[6:7], 2
	v_dual_mov_b32 v3, 0 :: v_dual_lshlrev_b32 v2, 3, v1
	v_dual_lshlrev_b32 v24, 8, v1 :: v_dual_bitop2_b32 v23, 7, v0 bitop3:0x40
	s_delay_alu instid0(VALU_DEP_3)
	v_xor_b32_e32 v8, 2, v6
	v_xor_b32_e32 v7, 4, v6
	s_mov_b32 s25, 0
	s_mov_b32 s24, s13
	v_lshl_or_b32 v26, v6, 2, 28
	v_dual_lshlrev_b32 v25, 2, v0 :: v_dual_lshlrev_b32 v14, 3, v23
	s_wait_xcnt 0x0
	v_cmp_gt_u32_e64 s0, 0x80, v0
	v_cmp_gt_u32_e64 s1, 64, v0
	s_wait_kmcnt 0x0
	s_add_nc_u64 s[10:11], s[10:11], s[6:7]
	v_cmp_gt_i32_e64 s7, 32, v7
	s_load_b32 s15, s[10:11], 0x0
	v_add_nc_u64_e32 v[4:5], s[8:9], v[2:3]
	v_mul_lo_u32 v2, s13, v1
	v_dual_mov_b32 v15, v3 :: v_dual_bitop2_b32 v1, 1, v6 bitop3:0x14
	v_cndmask_b32_e64 v7, v6, v7, s7
	v_cmp_gt_i32_e64 s7, 32, v8
	s_wait_xcnt 0x0
	s_mul_u64 s[10:11], s[24:25], s[24:25]
	v_cmp_gt_u32_e64 s2, 32, v0
	v_cmp_gt_u32_e64 s3, 16, v0
	;; [unrolled: 1-line block ×3, first 2 shown]
	v_cndmask_b32_e64 v8, v6, v8, s7
	v_cmp_gt_i32_e64 s7, 32, v1
	v_lshlrev_b32_e32 v27, 2, v7
	v_cmp_gt_u32_e64 s5, 4, v0
	v_cmp_gt_u32_e64 s6, 2, v0
	s_delay_alu instid0(VALU_DEP_4)
	v_dual_cndmask_b32 v1, v6, v1, s7 :: v_dual_bitop2_b32 v10, 24, v23 bitop3:0x54
	v_lshlrev_b32_e32 v28, 2, v8
	v_mul_lo_u32 v8, v23, s13
	s_wait_kmcnt 0x0
	s_sub_co_i32 s26, s15, s18
	s_cmp_lg_u32 s28, 0
	v_lshlrev_b32_e32 v29, 2, v1
	s_cselect_b32 s15, -1, 0
	s_abs_i32 s19, s13
	v_dual_mov_b32 v9, v3 :: v_dual_bitop2_b32 v1, 8, v23 bitop3:0x54
	s_cvt_f32_u32 s24, s19
	v_lshl_add_u64 v[6:7], v[2:3], 3, s[8:9]
	v_cmp_gt_u32_e64 s8, s13, v23
	s_delay_alu instid0(VALU_DEP_3)
	v_cmp_gt_u32_e64 s9, s13, v1
	v_rcp_iflag_f32_e32 v1, s24
	s_lshl_b32 s24, s13, 3
	v_or_b32_e32 v2, 16, v23
	v_cmp_eq_u32_e64 s7, 0, v0
	v_add_nc_u32_e32 v0, s24, v8
	s_and_b32 s28, vcc_lo, s8
	s_and_b32 s29, vcc_lo, s9
	v_readfirstlane_b32 s27, v1
	v_cmp_gt_u32_e64 s8, s13, v2
	v_mov_b32_e32 v1, v3
	v_cmp_gt_u32_e64 s9, s13, v10
	v_dual_mov_b32 v11, v3 :: v_dual_add_nc_u32 v10, s24, v0
	s_mul_f32 s27, s27, 0x4f7ffffe
	s_and_b32 s30, vcc_lo, s8
	v_add_nc_u64_e32 v[6:7], v[6:7], v[14:15]
	s_delay_alu instid0(VALU_DEP_2)
	v_dual_mov_b32 v13, v3 :: v_dual_add_nc_u32 v12, s24, v10
	s_cvt_u32_f32 s8, s27
	s_sub_co_i32 s24, 0, s19
	v_dual_mov_b32 v32, 1 :: v_dual_add_nc_u32 v31, v14, v24
	v_mov_b64_e32 v[14:15], 0
	s_mul_i32 s24, s24, s8
	v_mov_b32_e32 v18, 0
	s_mul_hi_u32 s24, s8, s24
	s_and_b32 s9, vcc_lo, s9
	s_ashr_i32 s31, s13, 31
	s_add_co_i32 s24, s8, s24
	s_branch .LBB114_7
.LBB114_6:                              ;   in Loop: Header=BB114_7 Depth=1
	s_or_b32 exec_lo, exec_lo, s27
	s_wait_dscnt 0x0
	s_barrier_signal -1
	s_barrier_wait -1
	ds_load_b32 v18, v3
	s_add_co_i32 s26, s8, s26
	s_wait_dscnt 0x0
	s_barrier_signal -1
	s_barrier_wait -1
	v_cmp_gt_i32_e32 vcc_lo, s12, v18
	s_cbranch_vccz .LBB114_53
.LBB114_7:                              ; =>This Loop Header: Depth=1
                                        ;     Child Loop BB114_10 Depth 2
	v_dual_mov_b32 v33, s12 :: v_dual_add_nc_u32 v16, v30, v23
	v_mov_b32_e32 v17, v22
	s_mov_b32 s27, exec_lo
	ds_store_b8 v3, v3 offset:8192
	ds_store_2addr_b64 v31, v[14:15], v[14:15] offset1:8
	ds_store_2addr_b64 v31, v[14:15], v[14:15] offset0:16 offset1:24
	s_wait_dscnt 0x0
	s_barrier_signal -1
	s_barrier_wait -1
	v_cmpx_lt_i32_e64 v16, v22
	s_cbranch_execz .LBB114_15
; %bb.8:                                ;   in Loop: Header=BB114_7 Depth=1
	v_mul_lo_u32 v19, v18, s13
	v_dual_mov_b32 v33, s12 :: v_dual_mov_b32 v17, v22
	s_mov_b32 s33, 0
	s_branch .LBB114_10
.LBB114_9:                              ;   in Loop: Header=BB114_10 Depth=2
	s_wait_xcnt 0x0
	s_or_b32 exec_lo, exec_lo, s8
	v_add_nc_u32_e32 v16, 8, v16
	s_xor_b32 s34, vcc_lo, -1
	s_delay_alu instid0(VALU_DEP_1) | instskip(SKIP_1) | instid1(SALU_CYCLE_1)
	v_cmp_ge_i32_e64 s8, v16, v22
	s_or_b32 s8, s34, s8
	s_and_b32 s8, exec_lo, s8
	s_delay_alu instid0(SALU_CYCLE_1) | instskip(NEXT) | instid1(SALU_CYCLE_1)
	s_or_b32 s33, s8, s33
	s_and_not1_b32 exec_lo, exec_lo, s33
	s_cbranch_execz .LBB114_14
.LBB114_10:                             ;   Parent Loop BB114_7 Depth=1
                                        ; =>  This Inner Loop Header: Depth=2
	global_load_b32 v2, v16, s[16:17] scale_offset
	s_wait_loadcnt 0x0
	v_subrev_nc_u32_e32 v20, s14, v2
	s_delay_alu instid0(VALU_DEP_1) | instskip(NEXT) | instid1(VALU_DEP_1)
	v_sub_nc_u32_e32 v2, 0, v20
	v_max_i32_e32 v2, v20, v2
	s_delay_alu instid0(VALU_DEP_1) | instskip(SKIP_1) | instid1(VALU_DEP_1)
	v_mul_u64_e32 v[34:35], s[24:25], v[2:3]
	v_ashrrev_i32_e32 v34, 31, v20
	v_xor_b32_e32 v34, s31, v34
	s_delay_alu instid0(VALU_DEP_3) | instskip(NEXT) | instid1(VALU_DEP_1)
	v_mul_lo_u32 v21, v35, s19
	v_dual_sub_nc_u32 v2, v2, v21 :: v_dual_add_nc_u32 v21, 1, v35
	s_delay_alu instid0(VALU_DEP_1) | instskip(SKIP_1) | instid1(VALU_DEP_2)
	v_subrev_nc_u32_e32 v30, s19, v2
	v_cmp_le_u32_e32 vcc_lo, s19, v2
	v_dual_cndmask_b32 v21, v35, v21 :: v_dual_cndmask_b32 v2, v2, v30
	s_delay_alu instid0(VALU_DEP_1) | instskip(NEXT) | instid1(VALU_DEP_2)
	v_add_nc_u32_e32 v30, 1, v21
	v_cmp_le_u32_e32 vcc_lo, s19, v2
	s_delay_alu instid0(VALU_DEP_2) | instskip(NEXT) | instid1(VALU_DEP_1)
	v_cndmask_b32_e32 v2, v21, v30, vcc_lo
	v_xor_b32_e32 v2, v2, v34
	s_delay_alu instid0(VALU_DEP_1) | instskip(NEXT) | instid1(VALU_DEP_1)
	v_dual_mov_b32 v2, v17 :: v_dual_sub_nc_u32 v21, v2, v34
	v_cmp_ne_u32_e64 s8, v21, v18
	v_cmp_eq_u32_e32 vcc_lo, v21, v18
	s_wait_xcnt 0x0
	s_and_saveexec_b32 s34, s8
	s_delay_alu instid0(SALU_CYCLE_1)
	s_xor_b32 s8, exec_lo, s34
; %bb.11:                               ;   in Loop: Header=BB114_10 Depth=2
	v_min_i32_e32 v33, v21, v33
                                        ; implicit-def: $vgpr20
                                        ; implicit-def: $vgpr2
; %bb.12:                               ;   in Loop: Header=BB114_10 Depth=2
	s_or_saveexec_b32 s8, s8
	v_mov_b32_e32 v17, v16
	s_xor_b32 exec_lo, exec_lo, s8
	s_cbranch_execz .LBB114_9
; %bb.13:                               ;   in Loop: Header=BB114_10 Depth=2
	v_ashrrev_i32_e32 v17, 31, v16
	s_delay_alu instid0(VALU_DEP_1)
	v_lshl_add_u64 v[34:35], v[16:17], 3, s[22:23]
	v_sub_nc_u32_e32 v17, v20, v19
	global_load_b64 v[34:35], v[34:35], off
	v_lshl_add_u32 v20, v17, 3, v24
	v_mov_b32_e32 v17, v2
	ds_store_b8 v3, v32 offset:8192
	s_wait_loadcnt 0x0
	ds_store_b64 v20, v[34:35]
	s_branch .LBB114_9
.LBB114_14:                             ;   in Loop: Header=BB114_7 Depth=1
	s_or_b32 exec_lo, exec_lo, s33
.LBB114_15:                             ;   in Loop: Header=BB114_7 Depth=1
	s_delay_alu instid0(SALU_CYCLE_1)
	s_or_b32 exec_lo, exec_lo, s27
	ds_bpermute_b32 v2, v27, v17
	s_wait_dscnt 0x0
	s_barrier_signal -1
	s_barrier_wait -1
	s_mov_b32 s8, 0
	v_min_i32_e32 v2, v2, v17
	ds_load_u8 v17, v3 offset:8192
	ds_bpermute_b32 v16, v28, v2
	s_wait_dscnt 0x0
	v_min_i32_e32 v2, v16, v2
	ds_bpermute_b32 v16, v29, v2
	s_wait_dscnt 0x0
	v_min_i32_e32 v2, v16, v2
	ds_bpermute_b32 v30, v26, v2
	v_and_b32_e32 v2, 1, v17
	s_delay_alu instid0(VALU_DEP_1)
	v_cmp_eq_u32_e32 vcc_lo, 0, v2
	s_cbranch_vccnz .LBB114_33
; %bb.16:                               ;   in Loop: Header=BB114_7 Depth=1
	s_ashr_i32 s27, s26, 31
	v_dual_add_nc_u32 v2, s18, v18 :: v_dual_mov_b32 v20, s26
	s_mul_u64 s[34:35], s[10:11], s[26:27]
	s_delay_alu instid0(SALU_CYCLE_1) | instskip(NEXT) | instid1(SALU_CYCLE_1)
	s_lshl_b64 s[34:35], s[34:35], 3
	v_add_nc_u64_e32 v[18:19], s[34:35], v[4:5]
	v_add_nc_u64_e32 v[16:17], s[34:35], v[6:7]
	global_store_b32 v20, v2, s[20:21] scale_offset
	s_wait_xcnt 0x0
	s_and_saveexec_b32 s8, s28
	s_cbranch_execz .LBB114_20
; %bb.17:                               ;   in Loop: Header=BB114_7 Depth=1
	ds_load_b64 v[20:21], v31
	s_and_b32 vcc_lo, exec_lo, s15
	s_cbranch_vccz .LBB114_49
; %bb.18:                               ;   in Loop: Header=BB114_7 Depth=1
	v_lshl_add_u64 v[34:35], v[8:9], 3, v[18:19]
	s_wait_dscnt 0x0
	global_store_b64 v[34:35], v[20:21], off
	s_cbranch_execnz .LBB114_20
.LBB114_19:                             ;   in Loop: Header=BB114_7 Depth=1
	s_wait_dscnt 0x0
	global_store_b64 v[16:17], v[20:21], off
.LBB114_20:                             ;   in Loop: Header=BB114_7 Depth=1
	s_wait_xcnt 0x0
	s_or_b32 exec_lo, exec_lo, s8
	s_and_saveexec_b32 s8, s29
	s_cbranch_execz .LBB114_24
; %bb.21:                               ;   in Loop: Header=BB114_7 Depth=1
	s_wait_dscnt 0x0
	ds_load_b64 v[20:21], v31 offset:64
	s_and_not1_b32 vcc_lo, exec_lo, s15
	s_cbranch_vccnz .LBB114_50
; %bb.22:                               ;   in Loop: Header=BB114_7 Depth=1
	v_lshl_add_u64 v[34:35], v[0:1], 3, v[18:19]
	s_wait_dscnt 0x0
	global_store_b64 v[34:35], v[20:21], off
	s_cbranch_execnz .LBB114_24
.LBB114_23:                             ;   in Loop: Header=BB114_7 Depth=1
	s_wait_dscnt 0x0
	global_store_b64 v[16:17], v[20:21], off offset:64
.LBB114_24:                             ;   in Loop: Header=BB114_7 Depth=1
	s_wait_xcnt 0x0
	s_or_b32 exec_lo, exec_lo, s8
	s_and_saveexec_b32 s8, s30
	s_cbranch_execz .LBB114_28
; %bb.25:                               ;   in Loop: Header=BB114_7 Depth=1
	s_wait_dscnt 0x0
	ds_load_b64 v[20:21], v31 offset:128
	s_and_not1_b32 vcc_lo, exec_lo, s15
	s_cbranch_vccnz .LBB114_51
; %bb.26:                               ;   in Loop: Header=BB114_7 Depth=1
	v_lshl_add_u64 v[34:35], v[10:11], 3, v[18:19]
	s_wait_dscnt 0x0
	global_store_b64 v[34:35], v[20:21], off
	s_cbranch_execnz .LBB114_28
.LBB114_27:                             ;   in Loop: Header=BB114_7 Depth=1
	s_wait_dscnt 0x0
	global_store_b64 v[16:17], v[20:21], off offset:128
.LBB114_28:                             ;   in Loop: Header=BB114_7 Depth=1
	s_wait_xcnt 0x0
	s_or_b32 exec_lo, exec_lo, s8
	s_and_saveexec_b32 s8, s9
	s_cbranch_execz .LBB114_32
; %bb.29:                               ;   in Loop: Header=BB114_7 Depth=1
	s_wait_dscnt 0x0
	ds_load_b64 v[20:21], v31 offset:192
	s_and_not1_b32 vcc_lo, exec_lo, s15
	s_cbranch_vccnz .LBB114_52
; %bb.30:                               ;   in Loop: Header=BB114_7 Depth=1
	v_lshl_add_u64 v[18:19], v[12:13], 3, v[18:19]
	s_wait_dscnt 0x0
	global_store_b64 v[18:19], v[20:21], off
	s_cbranch_execnz .LBB114_32
.LBB114_31:                             ;   in Loop: Header=BB114_7 Depth=1
	s_wait_dscnt 0x0
	global_store_b64 v[16:17], v[20:21], off offset:192
.LBB114_32:                             ;   in Loop: Header=BB114_7 Depth=1
	s_wait_xcnt 0x0
	s_or_b32 exec_lo, exec_lo, s8
	s_mov_b32 s8, 1
.LBB114_33:                             ;   in Loop: Header=BB114_7 Depth=1
	s_wait_storecnt_dscnt 0x0
	s_barrier_signal -1
	s_barrier_wait -1
	ds_store_b32 v25, v33
	s_wait_dscnt 0x0
	s_barrier_signal -1
	s_barrier_wait -1
	s_and_saveexec_b32 s27, s0
	s_cbranch_execz .LBB114_35
; %bb.34:                               ;   in Loop: Header=BB114_7 Depth=1
	ds_load_2addr_stride64_b32 v[16:17], v25 offset1:2
	s_wait_dscnt 0x0
	v_min_i32_e32 v2, v17, v16
	ds_store_b32 v25, v2
.LBB114_35:                             ;   in Loop: Header=BB114_7 Depth=1
	s_or_b32 exec_lo, exec_lo, s27
	s_wait_dscnt 0x0
	s_barrier_signal -1
	s_barrier_wait -1
	s_and_saveexec_b32 s27, s1
	s_cbranch_execz .LBB114_37
; %bb.36:                               ;   in Loop: Header=BB114_7 Depth=1
	ds_load_2addr_stride64_b32 v[16:17], v25 offset1:1
	s_wait_dscnt 0x0
	v_min_i32_e32 v2, v17, v16
	ds_store_b32 v25, v2
.LBB114_37:                             ;   in Loop: Header=BB114_7 Depth=1
	s_or_b32 exec_lo, exec_lo, s27
	s_wait_dscnt 0x0
	s_barrier_signal -1
	s_barrier_wait -1
	s_and_saveexec_b32 s27, s2
	s_cbranch_execz .LBB114_39
; %bb.38:                               ;   in Loop: Header=BB114_7 Depth=1
	ds_load_2addr_b32 v[16:17], v25 offset1:32
	s_wait_dscnt 0x0
	v_min_i32_e32 v2, v17, v16
	ds_store_b32 v25, v2
.LBB114_39:                             ;   in Loop: Header=BB114_7 Depth=1
	s_or_b32 exec_lo, exec_lo, s27
	s_wait_dscnt 0x0
	s_barrier_signal -1
	s_barrier_wait -1
	s_and_saveexec_b32 s27, s3
	s_cbranch_execz .LBB114_41
; %bb.40:                               ;   in Loop: Header=BB114_7 Depth=1
	ds_load_2addr_b32 v[16:17], v25 offset1:16
	s_wait_dscnt 0x0
	v_min_i32_e32 v2, v17, v16
	ds_store_b32 v25, v2
.LBB114_41:                             ;   in Loop: Header=BB114_7 Depth=1
	;; [unrolled: 12-line block ×5, first 2 shown]
	s_or_b32 exec_lo, exec_lo, s27
	s_wait_dscnt 0x0
	s_barrier_signal -1
	s_barrier_wait -1
	s_and_saveexec_b32 s27, s7
	s_cbranch_execz .LBB114_6
; %bb.48:                               ;   in Loop: Header=BB114_7 Depth=1
	ds_load_b64 v[16:17], v3
	s_wait_dscnt 0x0
	v_min_i32_e32 v2, v17, v16
	ds_store_b32 v3, v2
	s_branch .LBB114_6
.LBB114_49:                             ;   in Loop: Header=BB114_7 Depth=1
	s_branch .LBB114_19
.LBB114_50:                             ;   in Loop: Header=BB114_7 Depth=1
	s_branch .LBB114_23
.LBB114_51:                             ;   in Loop: Header=BB114_7 Depth=1
	s_branch .LBB114_27
.LBB114_52:                             ;   in Loop: Header=BB114_7 Depth=1
	s_branch .LBB114_31
.LBB114_53:
	s_endpgm
	.section	.rodata,"a",@progbits
	.p2align	6, 0x0
	.amdhsa_kernel _ZN9rocsparseL38csr2bsr_block_per_row_multipass_kernelILj256ELj32EdiiEEv20rocsparse_direction_T3_S2_S2_S2_S2_21rocsparse_index_base_PKT1_PKT2_PKS2_S3_PS4_PS7_PS2_
		.amdhsa_group_segment_fixed_size 8200
		.amdhsa_private_segment_fixed_size 0
		.amdhsa_kernarg_size 88
		.amdhsa_user_sgpr_count 2
		.amdhsa_user_sgpr_dispatch_ptr 0
		.amdhsa_user_sgpr_queue_ptr 0
		.amdhsa_user_sgpr_kernarg_segment_ptr 1
		.amdhsa_user_sgpr_dispatch_id 0
		.amdhsa_user_sgpr_kernarg_preload_length 0
		.amdhsa_user_sgpr_kernarg_preload_offset 0
		.amdhsa_user_sgpr_private_segment_size 0
		.amdhsa_wavefront_size32 1
		.amdhsa_uses_dynamic_stack 0
		.amdhsa_enable_private_segment 0
		.amdhsa_system_sgpr_workgroup_id_x 1
		.amdhsa_system_sgpr_workgroup_id_y 0
		.amdhsa_system_sgpr_workgroup_id_z 0
		.amdhsa_system_sgpr_workgroup_info 0
		.amdhsa_system_vgpr_workitem_id 0
		.amdhsa_next_free_vgpr 36
		.amdhsa_next_free_sgpr 36
		.amdhsa_named_barrier_count 0
		.amdhsa_reserve_vcc 1
		.amdhsa_float_round_mode_32 0
		.amdhsa_float_round_mode_16_64 0
		.amdhsa_float_denorm_mode_32 3
		.amdhsa_float_denorm_mode_16_64 3
		.amdhsa_fp16_overflow 0
		.amdhsa_memory_ordered 1
		.amdhsa_forward_progress 1
		.amdhsa_inst_pref_size 16
		.amdhsa_round_robin_scheduling 0
		.amdhsa_exception_fp_ieee_invalid_op 0
		.amdhsa_exception_fp_denorm_src 0
		.amdhsa_exception_fp_ieee_div_zero 0
		.amdhsa_exception_fp_ieee_overflow 0
		.amdhsa_exception_fp_ieee_underflow 0
		.amdhsa_exception_fp_ieee_inexact 0
		.amdhsa_exception_int_div_zero 0
	.end_amdhsa_kernel
	.section	.text._ZN9rocsparseL38csr2bsr_block_per_row_multipass_kernelILj256ELj32EdiiEEv20rocsparse_direction_T3_S2_S2_S2_S2_21rocsparse_index_base_PKT1_PKT2_PKS2_S3_PS4_PS7_PS2_,"axG",@progbits,_ZN9rocsparseL38csr2bsr_block_per_row_multipass_kernelILj256ELj32EdiiEEv20rocsparse_direction_T3_S2_S2_S2_S2_21rocsparse_index_base_PKT1_PKT2_PKS2_S3_PS4_PS7_PS2_,comdat
.Lfunc_end114:
	.size	_ZN9rocsparseL38csr2bsr_block_per_row_multipass_kernelILj256ELj32EdiiEEv20rocsparse_direction_T3_S2_S2_S2_S2_21rocsparse_index_base_PKT1_PKT2_PKS2_S3_PS4_PS7_PS2_, .Lfunc_end114-_ZN9rocsparseL38csr2bsr_block_per_row_multipass_kernelILj256ELj32EdiiEEv20rocsparse_direction_T3_S2_S2_S2_S2_21rocsparse_index_base_PKT1_PKT2_PKS2_S3_PS4_PS7_PS2_
                                        ; -- End function
	.set _ZN9rocsparseL38csr2bsr_block_per_row_multipass_kernelILj256ELj32EdiiEEv20rocsparse_direction_T3_S2_S2_S2_S2_21rocsparse_index_base_PKT1_PKT2_PKS2_S3_PS4_PS7_PS2_.num_vgpr, 36
	.set _ZN9rocsparseL38csr2bsr_block_per_row_multipass_kernelILj256ELj32EdiiEEv20rocsparse_direction_T3_S2_S2_S2_S2_21rocsparse_index_base_PKT1_PKT2_PKS2_S3_PS4_PS7_PS2_.num_agpr, 0
	.set _ZN9rocsparseL38csr2bsr_block_per_row_multipass_kernelILj256ELj32EdiiEEv20rocsparse_direction_T3_S2_S2_S2_S2_21rocsparse_index_base_PKT1_PKT2_PKS2_S3_PS4_PS7_PS2_.numbered_sgpr, 36
	.set _ZN9rocsparseL38csr2bsr_block_per_row_multipass_kernelILj256ELj32EdiiEEv20rocsparse_direction_T3_S2_S2_S2_S2_21rocsparse_index_base_PKT1_PKT2_PKS2_S3_PS4_PS7_PS2_.num_named_barrier, 0
	.set _ZN9rocsparseL38csr2bsr_block_per_row_multipass_kernelILj256ELj32EdiiEEv20rocsparse_direction_T3_S2_S2_S2_S2_21rocsparse_index_base_PKT1_PKT2_PKS2_S3_PS4_PS7_PS2_.private_seg_size, 0
	.set _ZN9rocsparseL38csr2bsr_block_per_row_multipass_kernelILj256ELj32EdiiEEv20rocsparse_direction_T3_S2_S2_S2_S2_21rocsparse_index_base_PKT1_PKT2_PKS2_S3_PS4_PS7_PS2_.uses_vcc, 1
	.set _ZN9rocsparseL38csr2bsr_block_per_row_multipass_kernelILj256ELj32EdiiEEv20rocsparse_direction_T3_S2_S2_S2_S2_21rocsparse_index_base_PKT1_PKT2_PKS2_S3_PS4_PS7_PS2_.uses_flat_scratch, 0
	.set _ZN9rocsparseL38csr2bsr_block_per_row_multipass_kernelILj256ELj32EdiiEEv20rocsparse_direction_T3_S2_S2_S2_S2_21rocsparse_index_base_PKT1_PKT2_PKS2_S3_PS4_PS7_PS2_.has_dyn_sized_stack, 0
	.set _ZN9rocsparseL38csr2bsr_block_per_row_multipass_kernelILj256ELj32EdiiEEv20rocsparse_direction_T3_S2_S2_S2_S2_21rocsparse_index_base_PKT1_PKT2_PKS2_S3_PS4_PS7_PS2_.has_recursion, 0
	.set _ZN9rocsparseL38csr2bsr_block_per_row_multipass_kernelILj256ELj32EdiiEEv20rocsparse_direction_T3_S2_S2_S2_S2_21rocsparse_index_base_PKT1_PKT2_PKS2_S3_PS4_PS7_PS2_.has_indirect_call, 0
	.section	.AMDGPU.csdata,"",@progbits
; Kernel info:
; codeLenInByte = 2048
; TotalNumSgprs: 38
; NumVgprs: 36
; ScratchSize: 0
; MemoryBound: 0
; FloatMode: 240
; IeeeMode: 1
; LDSByteSize: 8200 bytes/workgroup (compile time only)
; SGPRBlocks: 0
; VGPRBlocks: 2
; NumSGPRsForWavesPerEU: 38
; NumVGPRsForWavesPerEU: 36
; NamedBarCnt: 0
; Occupancy: 16
; WaveLimiterHint : 0
; COMPUTE_PGM_RSRC2:SCRATCH_EN: 0
; COMPUTE_PGM_RSRC2:USER_SGPR: 2
; COMPUTE_PGM_RSRC2:TRAP_HANDLER: 0
; COMPUTE_PGM_RSRC2:TGID_X_EN: 1
; COMPUTE_PGM_RSRC2:TGID_Y_EN: 0
; COMPUTE_PGM_RSRC2:TGID_Z_EN: 0
; COMPUTE_PGM_RSRC2:TIDIG_COMP_CNT: 0
	.section	.text._ZN9rocsparseL38csr2bsr_block_per_row_multipass_kernelILj256ELj64EdiiEEv20rocsparse_direction_T3_S2_S2_S2_S2_21rocsparse_index_base_PKT1_PKT2_PKS2_S3_PS4_PS7_PS2_,"axG",@progbits,_ZN9rocsparseL38csr2bsr_block_per_row_multipass_kernelILj256ELj64EdiiEEv20rocsparse_direction_T3_S2_S2_S2_S2_21rocsparse_index_base_PKT1_PKT2_PKS2_S3_PS4_PS7_PS2_,comdat
	.globl	_ZN9rocsparseL38csr2bsr_block_per_row_multipass_kernelILj256ELj64EdiiEEv20rocsparse_direction_T3_S2_S2_S2_S2_21rocsparse_index_base_PKT1_PKT2_PKS2_S3_PS4_PS7_PS2_ ; -- Begin function _ZN9rocsparseL38csr2bsr_block_per_row_multipass_kernelILj256ELj64EdiiEEv20rocsparse_direction_T3_S2_S2_S2_S2_21rocsparse_index_base_PKT1_PKT2_PKS2_S3_PS4_PS7_PS2_
	.p2align	8
	.type	_ZN9rocsparseL38csr2bsr_block_per_row_multipass_kernelILj256ELj64EdiiEEv20rocsparse_direction_T3_S2_S2_S2_S2_21rocsparse_index_base_PKT1_PKT2_PKS2_S3_PS4_PS7_PS2_,@function
_ZN9rocsparseL38csr2bsr_block_per_row_multipass_kernelILj256ELj64EdiiEEv20rocsparse_direction_T3_S2_S2_S2_S2_21rocsparse_index_base_PKT1_PKT2_PKS2_S3_PS4_PS7_PS2_: ; @_ZN9rocsparseL38csr2bsr_block_per_row_multipass_kernelILj256ELj64EdiiEEv20rocsparse_direction_T3_S2_S2_S2_S2_21rocsparse_index_base_PKT1_PKT2_PKS2_S3_PS4_PS7_PS2_
; %bb.0:
	s_clause 0x1
	s_load_b96 s[16:18], s[0:1], 0x10
	s_load_b64 s[28:29], s[0:1], 0x0
	s_bfe_u32 s2, ttmp6, 0x4000c
	s_and_b32 s3, ttmp6, 15
	s_add_co_i32 s2, s2, 1
	s_getreg_b32 s4, hwreg(HW_REG_IB_STS2, 6, 4)
	s_mul_i32 s2, ttmp9, s2
	v_dual_lshrrev_b32 v4, 2, v0 :: v_dual_mov_b32 v46, 0
	s_add_co_i32 s3, s3, s2
	s_cmp_eq_u32 s4, 0
	s_load_b64 s[4:5], s[0:1], 0x28
	s_cselect_b32 s6, ttmp9, s3
	v_mov_b32_e32 v53, 0
	s_wait_kmcnt 0x0
	v_mad_u32 v1, s17, s6, v4
	v_cmp_gt_i32_e32 vcc_lo, s17, v4
	s_delay_alu instid0(VALU_DEP_2) | instskip(SKIP_1) | instid1(SALU_CYCLE_1)
	v_cmp_gt_i32_e64 s2, s29, v1
	s_and_b32 s2, vcc_lo, s2
	s_and_saveexec_b32 s3, s2
	s_cbranch_execnz .LBB115_3
; %bb.1:
	s_or_b32 exec_lo, exec_lo, s3
	s_and_saveexec_b32 s3, s2
	s_cbranch_execnz .LBB115_4
.LBB115_2:
	s_or_b32 exec_lo, exec_lo, s3
	s_cmp_lt_i32 s16, 1
	s_cbranch_scc0 .LBB115_5
	s_branch .LBB115_113
.LBB115_3:
	global_load_b32 v2, v1, s[4:5] scale_offset
	s_wait_loadcnt 0x0
	v_subrev_nc_u32_e32 v53, s18, v2
	s_or_b32 exec_lo, exec_lo, s3
	s_and_saveexec_b32 s3, s2
	s_cbranch_execz .LBB115_2
.LBB115_4:
	global_load_b32 v1, v1, s[4:5] offset:4 scale_offset
	s_wait_loadcnt 0x0
	v_subrev_nc_u32_e32 v46, s18, v1
	s_or_b32 exec_lo, exec_lo, s3
	s_cmp_lt_i32 s16, 1
	s_cbranch_scc1 .LBB115_113
.LBB115_5:
	s_clause 0x3
	s_load_b128 s[12:15], s[0:1], 0x40
	s_load_b64 s[10:11], s[0:1], 0x50
	s_load_b96 s[20:22], s[0:1], 0x30
	s_load_b64 s[24:25], s[0:1], 0x20
	s_ashr_i32 s7, s6, 31
	v_mbcnt_lo_u32_b32 v5, -1, 0
	s_lshl_b64 s[6:7], s[6:7], 2
	v_dual_mov_b32 v3, 0 :: v_dual_bitop2_b32 v47, 3, v0 bitop3:0x40
	v_dual_lshlrev_b32 v48, 9, v4 :: v_dual_lshlrev_b32 v2, 3, v4
	s_delay_alu instid0(VALU_DEP_3) | instskip(NEXT) | instid1(VALU_DEP_3)
	v_dual_lshlrev_b32 v49, 2, v0 :: v_dual_bitop2_b32 v6, 2, v5 bitop3:0x14
	v_lshlrev_b32_e32 v38, 3, v47
	s_wait_xcnt 0x0
	v_cmp_gt_u32_e64 s0, 0x80, v0
	v_cmp_gt_u32_e64 s1, 64, v0
	;; [unrolled: 1-line block ×6, first 2 shown]
	s_wait_kmcnt 0x0
	s_add_nc_u64 s[8:9], s[14:15], s[6:7]
	v_cmp_gt_u32_e64 s6, 2, v0
	s_load_b32 s19, s[8:9], 0x0
	v_cmp_eq_u32_e64 s7, 0, v0
	v_add_nc_u64_e32 v[0:1], s[12:13], v[2:3]
	v_mul_lo_u32 v2, s17, v4
	v_mov_b32_e32 v39, v3
	s_wait_xcnt 0x0
	v_cmp_gt_i32_e64 s9, 32, v6
	v_xor_b32_e32 v4, 1, v5
	v_lshl_or_b32 v50, v5, 2, 12
	v_cmp_gt_u32_e64 s8, s17, v47
	s_delay_alu instid0(VALU_DEP_4) | instskip(NEXT) | instid1(VALU_DEP_4)
	v_dual_mov_b32 v13, v3 :: v_dual_cndmask_b32 v8, v5, v6, s9
	v_cmp_gt_i32_e64 s9, 32, v4
	v_dual_mov_b32 v17, v3 :: v_dual_bitop2_b32 v9, 4, v47 bitop3:0x54
	v_or_b32_e32 v20, 32, v47
	v_lshl_add_u64 v[6:7], v[2:3], 3, s[12:13]
	s_delay_alu instid0(VALU_DEP_4)
	v_cndmask_b32_e64 v5, v5, v4, s9
	v_mul_lo_u32 v4, v47, s17
	v_dual_lshlrev_b32 v51, 2, v8 :: v_dual_bitop2_b32 v2, 8, v47 bitop3:0x54
	s_wait_kmcnt 0x0
	s_sub_co_i32 s12, s19, s22
	s_cmp_lg_u32 s28, 0
	v_lshlrev_b32_e32 v52, 2, v5
	s_cselect_b32 s19, -1, 0
	s_lshl_b32 s13, s17, 2
	v_mov_b32_e32 v5, v3
	v_cmp_gt_u32_e64 s9, s17, v2
	v_dual_add_nc_u32 v8, s13, v4 :: v_dual_bitop2_b32 v2, 12, v47 bitop3:0x54
	s_and_b32 s23, vcc_lo, s8
	v_cmp_gt_u32_e64 s8, s17, v9
	v_dual_mov_b32 v9, v3 :: v_dual_mov_b32 v11, v3
	s_delay_alu instid0(VALU_DEP_3) | instskip(SKIP_2) | instid1(VALU_DEP_2)
	v_dual_add_nc_u32 v10, s13, v8 :: v_dual_bitop2_b32 v14, 20, v47 bitop3:0x54
	s_and_b32 s28, vcc_lo, s8
	v_cmp_gt_u32_e64 s8, s17, v2
	v_dual_add_nc_u32 v12, s13, v10 :: v_dual_bitop2_b32 v2, 16, v47 bitop3:0x54
	s_and_b32 s29, vcc_lo, s9
	v_cmp_gt_u32_e64 s9, s17, v14
	s_and_b32 s30, vcc_lo, s8
	v_cmp_gt_u32_e64 s8, s17, v2
	v_dual_add_nc_u32 v14, s13, v12 :: v_dual_bitop2_b32 v2, 24, v47 bitop3:0x54
	v_mov_b32_e32 v15, v3
	s_and_b32 s33, vcc_lo, s9
	s_and_b32 s31, vcc_lo, s8
	s_delay_alu instid0(VALU_DEP_2)
	v_cmp_gt_u32_e64 s8, s17, v2
	v_dual_add_nc_u32 v16, s13, v14 :: v_dual_bitop2_b32 v2, 28, v47 bitop3:0x54
	v_mov_b32_e32 v19, v3
	v_cmp_gt_u32_e64 s9, s17, v20
	s_and_b32 s34, vcc_lo, s8
	v_cmp_gt_u32_e64 s8, s17, v2
	v_dual_add_nc_u32 v18, s13, v16 :: v_dual_bitop2_b32 v2, 36, v47 bitop3:0x54
	v_dual_mov_b32 v21, v3 :: v_dual_mov_b32 v25, v3
	s_and_b32 s35, vcc_lo, s8
	s_delay_alu instid0(VALU_DEP_2) | instskip(NEXT) | instid1(VALU_DEP_3)
	v_add_nc_u32_e32 v20, s13, v18
	v_cmp_gt_u32_e64 s8, s17, v2
	v_dual_mov_b32 v23, v3 :: v_dual_bitop2_b32 v2, 40, v47 bitop3:0x54
	s_and_b32 s36, vcc_lo, s9
	v_dual_add_nc_u32 v22, s13, v20 :: v_dual_bitop2_b32 v26, 44, v47 bitop3:0x54
	s_and_b32 s37, vcc_lo, s8
	s_delay_alu instid0(VALU_DEP_2) | instskip(NEXT) | instid1(VALU_DEP_2)
	v_cmp_gt_u32_e64 s8, s17, v2
	v_dual_add_nc_u32 v24, s13, v22 :: v_dual_bitop2_b32 v2, 48, v47 bitop3:0x54
	s_delay_alu instid0(VALU_DEP_3)
	v_cmp_gt_u32_e64 s9, s17, v26
	s_abs_i32 s40, s17
	s_and_b32 s38, vcc_lo, s8
	v_dual_mov_b32 v27, v3 :: v_dual_add_nc_u32 v26, s13, v24
	v_cmp_gt_u32_e64 s8, s17, v2
	v_or_b32_e32 v2, 52, v47
	s_and_b32 s39, vcc_lo, s9
	s_cvt_f32_u32 s9, s40
	v_add_nc_u32_e32 v28, s13, v26
	s_and_b32 s41, vcc_lo, s8
	v_cmp_gt_u32_e64 s8, s17, v2
	v_rcp_iflag_f32_e32 v2, s9
	s_delay_alu instid0(VALU_DEP_2) | instskip(SKIP_4) | instid1(TRANS32_DEP_1)
	v_dual_mov_b32 v29, v3 :: v_dual_add_nc_u32 v30, s13, v28
	s_mov_b32 s27, 0
	s_mov_b32 s26, s17
	v_dual_mov_b32 v31, v3 :: v_dual_bitop2_b32 v33, 56, v47 bitop3:0x54
	s_mul_u64 s[14:15], s[26:27], s[26:27]
	v_readfirstlane_b32 s26, v2
	v_dual_add_nc_u32 v32, s13, v30 :: v_dual_bitop2_b32 v34, 60, v47 bitop3:0x54
	s_and_b32 s42, vcc_lo, s8
	v_cmp_gt_u32_e64 s8, s17, v33
	s_mul_f32 s26, s26, 0x4f7ffffe
	v_mov_b32_e32 v33, v3
	v_cmp_gt_u32_e64 s9, s17, v34
	v_add_nc_u32_e32 v34, s13, v32
	s_and_b32 s43, vcc_lo, s8
	s_cvt_u32_f32 s8, s26
	v_mov_b32_e32 v35, v3
	v_add_nc_u64_e32 v[6:7], v[6:7], v[38:39]
	v_add_nc_u32_e32 v36, s13, v34
	s_sub_co_i32 s13, 0, s40
	v_dual_mov_b32 v37, v3 :: v_dual_add_nc_u32 v54, v38, v48
	v_mov_b64_e32 v[38:39], 0
	s_mul_i32 s13, s13, s8
	v_dual_mov_b32 v55, 1 :: v_dual_mov_b32 v42, 0
	s_mul_hi_u32 s13, s8, s13
	s_and_b32 s9, vcc_lo, s9
	s_ashr_i32 s44, s17, 31
	s_add_co_i32 s26, s8, s13
	s_branch .LBB115_7
.LBB115_6:                              ;   in Loop: Header=BB115_7 Depth=1
	s_or_b32 exec_lo, exec_lo, s13
	s_wait_dscnt 0x0
	s_barrier_signal -1
	s_barrier_wait -1
	ds_load_b32 v42, v3
	s_add_co_i32 s12, s8, s12
	s_wait_dscnt 0x0
	s_barrier_signal -1
	s_barrier_wait -1
	v_cmp_gt_i32_e32 vcc_lo, s16, v42
	s_cbranch_vccz .LBB115_113
.LBB115_7:                              ; =>This Loop Header: Depth=1
                                        ;     Child Loop BB115_10 Depth 2
	v_dual_add_nc_u32 v40, v53, v47 :: v_dual_mov_b32 v56, s16
	v_mov_b32_e32 v41, v46
	s_mov_b32 s13, exec_lo
	ds_store_b8 v3, v3 offset:32768
	ds_store_2addr_b64 v54, v[38:39], v[38:39] offset1:4
	ds_store_2addr_b64 v54, v[38:39], v[38:39] offset0:8 offset1:12
	ds_store_2addr_b64 v54, v[38:39], v[38:39] offset0:16 offset1:20
	;; [unrolled: 1-line block ×7, first 2 shown]
	s_wait_dscnt 0x0
	s_barrier_signal -1
	s_barrier_wait -1
	v_cmpx_lt_i32_e64 v40, v46
	s_cbranch_execz .LBB115_15
; %bb.8:                                ;   in Loop: Header=BB115_7 Depth=1
	v_mul_lo_u32 v43, v42, s17
	v_dual_mov_b32 v56, s16 :: v_dual_mov_b32 v41, v46
	s_mov_b32 s45, 0
	s_branch .LBB115_10
.LBB115_9:                              ;   in Loop: Header=BB115_10 Depth=2
	s_wait_xcnt 0x0
	s_or_b32 exec_lo, exec_lo, s8
	v_add_nc_u32_e32 v40, 4, v40
	s_xor_b32 s46, vcc_lo, -1
	s_delay_alu instid0(VALU_DEP_1) | instskip(SKIP_1) | instid1(SALU_CYCLE_1)
	v_cmp_ge_i32_e64 s8, v40, v46
	s_or_b32 s8, s46, s8
	s_and_b32 s8, exec_lo, s8
	s_delay_alu instid0(SALU_CYCLE_1) | instskip(NEXT) | instid1(SALU_CYCLE_1)
	s_or_b32 s45, s8, s45
	s_and_not1_b32 exec_lo, exec_lo, s45
	s_cbranch_execz .LBB115_14
.LBB115_10:                             ;   Parent Loop BB115_7 Depth=1
                                        ; =>  This Inner Loop Header: Depth=2
	global_load_b32 v2, v40, s[20:21] scale_offset
	s_wait_loadcnt 0x0
	v_subrev_nc_u32_e32 v44, s18, v2
	s_delay_alu instid0(VALU_DEP_1) | instskip(NEXT) | instid1(VALU_DEP_1)
	v_dual_sub_nc_u32 v2, 0, v44 :: v_dual_ashrrev_i32 v57, 31, v44
	v_max_i32_e32 v2, v44, v2
	s_delay_alu instid0(VALU_DEP_2) | instskip(NEXT) | instid1(VALU_DEP_2)
	v_xor_b32_e32 v57, s44, v57
	v_mul_u64_e32 v[58:59], s[26:27], v[2:3]
	s_delay_alu instid0(VALU_DEP_1) | instskip(NEXT) | instid1(VALU_DEP_1)
	v_mul_lo_u32 v45, v59, s40
	v_dual_sub_nc_u32 v2, v2, v45 :: v_dual_add_nc_u32 v45, 1, v59
	s_delay_alu instid0(VALU_DEP_1) | instskip(SKIP_1) | instid1(VALU_DEP_3)
	v_subrev_nc_u32_e32 v53, s40, v2
	v_cmp_le_u32_e32 vcc_lo, s40, v2
	v_cndmask_b32_e32 v45, v59, v45, vcc_lo
	s_delay_alu instid0(VALU_DEP_3) | instskip(NEXT) | instid1(VALU_DEP_2)
	v_cndmask_b32_e32 v2, v2, v53, vcc_lo
	v_add_nc_u32_e32 v53, 1, v45
	s_delay_alu instid0(VALU_DEP_2) | instskip(NEXT) | instid1(VALU_DEP_2)
	v_cmp_le_u32_e32 vcc_lo, s40, v2
	v_cndmask_b32_e32 v2, v45, v53, vcc_lo
	s_delay_alu instid0(VALU_DEP_1) | instskip(NEXT) | instid1(VALU_DEP_1)
	v_xor_b32_e32 v2, v2, v57
	v_dual_mov_b32 v2, v41 :: v_dual_sub_nc_u32 v45, v2, v57
	s_delay_alu instid0(VALU_DEP_1) | instskip(SKIP_3) | instid1(SALU_CYCLE_1)
	v_cmp_ne_u32_e64 s8, v45, v42
	v_cmp_eq_u32_e32 vcc_lo, v45, v42
	s_wait_xcnt 0x0
	s_and_saveexec_b32 s46, s8
	s_xor_b32 s8, exec_lo, s46
; %bb.11:                               ;   in Loop: Header=BB115_10 Depth=2
	v_min_i32_e32 v56, v45, v56
                                        ; implicit-def: $vgpr44
                                        ; implicit-def: $vgpr2
; %bb.12:                               ;   in Loop: Header=BB115_10 Depth=2
	s_or_saveexec_b32 s8, s8
	v_mov_b32_e32 v41, v40
	s_xor_b32 exec_lo, exec_lo, s8
	s_cbranch_execz .LBB115_9
; %bb.13:                               ;   in Loop: Header=BB115_10 Depth=2
	v_ashrrev_i32_e32 v41, 31, v40
	s_delay_alu instid0(VALU_DEP_1)
	v_lshl_add_u64 v[58:59], v[40:41], 3, s[24:25]
	v_sub_nc_u32_e32 v41, v44, v43
	global_load_b64 v[58:59], v[58:59], off
	v_lshl_add_u32 v44, v41, 3, v48
	v_mov_b32_e32 v41, v2
	ds_store_b8 v3, v55 offset:32768
	s_wait_loadcnt 0x0
	ds_store_b64 v44, v[58:59]
	s_branch .LBB115_9
.LBB115_14:                             ;   in Loop: Header=BB115_7 Depth=1
	s_or_b32 exec_lo, exec_lo, s45
.LBB115_15:                             ;   in Loop: Header=BB115_7 Depth=1
	s_delay_alu instid0(SALU_CYCLE_1)
	s_or_b32 exec_lo, exec_lo, s13
	ds_bpermute_b32 v2, v51, v41
	s_wait_dscnt 0x0
	s_barrier_signal -1
	s_barrier_wait -1
	s_mov_b32 s8, 0
	v_min_i32_e32 v2, v2, v41
	ds_load_u8 v41, v3 offset:32768
	ds_bpermute_b32 v40, v52, v2
	s_wait_dscnt 0x0
	v_min_i32_e32 v2, v40, v2
	ds_bpermute_b32 v53, v50, v2
	v_and_b32_e32 v2, 1, v41
	s_delay_alu instid0(VALU_DEP_1)
	v_cmp_eq_u32_e32 vcc_lo, 0, v2
	s_cbranch_vccnz .LBB115_81
; %bb.16:                               ;   in Loop: Header=BB115_7 Depth=1
	s_ashr_i32 s13, s12, 31
	v_dual_add_nc_u32 v2, s22, v42 :: v_dual_mov_b32 v44, s12
	s_mul_u64 s[46:47], s[14:15], s[12:13]
	s_delay_alu instid0(SALU_CYCLE_1) | instskip(NEXT) | instid1(SALU_CYCLE_1)
	s_lshl_b64 s[46:47], s[46:47], 3
	v_add_nc_u64_e32 v[42:43], s[46:47], v[0:1]
	v_add_nc_u64_e32 v[40:41], s[46:47], v[6:7]
	global_store_b32 v44, v2, s[10:11] scale_offset
	s_wait_xcnt 0x0
	s_and_saveexec_b32 s8, s23
	s_cbranch_execz .LBB115_20
; %bb.17:                               ;   in Loop: Header=BB115_7 Depth=1
	ds_load_b64 v[44:45], v54
	s_and_b32 vcc_lo, exec_lo, s19
	s_cbranch_vccz .LBB115_97
; %bb.18:                               ;   in Loop: Header=BB115_7 Depth=1
	v_lshl_add_u64 v[58:59], v[4:5], 3, v[42:43]
	s_wait_dscnt 0x0
	global_store_b64 v[58:59], v[44:45], off
	s_cbranch_execnz .LBB115_20
.LBB115_19:                             ;   in Loop: Header=BB115_7 Depth=1
	s_wait_dscnt 0x0
	global_store_b64 v[40:41], v[44:45], off
.LBB115_20:                             ;   in Loop: Header=BB115_7 Depth=1
	s_wait_xcnt 0x0
	s_or_b32 exec_lo, exec_lo, s8
	s_and_saveexec_b32 s8, s28
	s_cbranch_execz .LBB115_24
; %bb.21:                               ;   in Loop: Header=BB115_7 Depth=1
	s_wait_dscnt 0x0
	ds_load_b64 v[44:45], v54 offset:32
	s_and_not1_b32 vcc_lo, exec_lo, s19
	s_cbranch_vccnz .LBB115_98
; %bb.22:                               ;   in Loop: Header=BB115_7 Depth=1
	v_lshl_add_u64 v[58:59], v[8:9], 3, v[42:43]
	s_wait_dscnt 0x0
	global_store_b64 v[58:59], v[44:45], off
	s_cbranch_execnz .LBB115_24
.LBB115_23:                             ;   in Loop: Header=BB115_7 Depth=1
	s_wait_dscnt 0x0
	global_store_b64 v[40:41], v[44:45], off offset:32
.LBB115_24:                             ;   in Loop: Header=BB115_7 Depth=1
	s_wait_xcnt 0x0
	s_or_b32 exec_lo, exec_lo, s8
	s_and_saveexec_b32 s8, s29
	s_cbranch_execz .LBB115_28
; %bb.25:                               ;   in Loop: Header=BB115_7 Depth=1
	s_wait_dscnt 0x0
	ds_load_b64 v[44:45], v54 offset:64
	s_and_not1_b32 vcc_lo, exec_lo, s19
	s_cbranch_vccnz .LBB115_99
; %bb.26:                               ;   in Loop: Header=BB115_7 Depth=1
	v_lshl_add_u64 v[58:59], v[10:11], 3, v[42:43]
	s_wait_dscnt 0x0
	global_store_b64 v[58:59], v[44:45], off
	s_cbranch_execnz .LBB115_28
.LBB115_27:                             ;   in Loop: Header=BB115_7 Depth=1
	s_wait_dscnt 0x0
	global_store_b64 v[40:41], v[44:45], off offset:64
.LBB115_28:                             ;   in Loop: Header=BB115_7 Depth=1
	s_wait_xcnt 0x0
	s_or_b32 exec_lo, exec_lo, s8
	s_and_saveexec_b32 s8, s30
	s_cbranch_execz .LBB115_32
; %bb.29:                               ;   in Loop: Header=BB115_7 Depth=1
	s_wait_dscnt 0x0
	ds_load_b64 v[44:45], v54 offset:96
	s_and_not1_b32 vcc_lo, exec_lo, s19
	s_cbranch_vccnz .LBB115_100
; %bb.30:                               ;   in Loop: Header=BB115_7 Depth=1
	v_lshl_add_u64 v[58:59], v[12:13], 3, v[42:43]
	s_wait_dscnt 0x0
	global_store_b64 v[58:59], v[44:45], off
	s_cbranch_execnz .LBB115_32
.LBB115_31:                             ;   in Loop: Header=BB115_7 Depth=1
	s_wait_dscnt 0x0
	global_store_b64 v[40:41], v[44:45], off offset:96
.LBB115_32:                             ;   in Loop: Header=BB115_7 Depth=1
	s_wait_xcnt 0x0
	s_or_b32 exec_lo, exec_lo, s8
	s_and_saveexec_b32 s8, s31
	s_cbranch_execz .LBB115_36
; %bb.33:                               ;   in Loop: Header=BB115_7 Depth=1
	s_wait_dscnt 0x0
	ds_load_b64 v[44:45], v54 offset:128
	s_and_not1_b32 vcc_lo, exec_lo, s19
	s_cbranch_vccnz .LBB115_101
; %bb.34:                               ;   in Loop: Header=BB115_7 Depth=1
	v_lshl_add_u64 v[58:59], v[14:15], 3, v[42:43]
	s_wait_dscnt 0x0
	global_store_b64 v[58:59], v[44:45], off
	s_cbranch_execnz .LBB115_36
.LBB115_35:                             ;   in Loop: Header=BB115_7 Depth=1
	s_wait_dscnt 0x0
	global_store_b64 v[40:41], v[44:45], off offset:128
.LBB115_36:                             ;   in Loop: Header=BB115_7 Depth=1
	s_wait_xcnt 0x0
	s_or_b32 exec_lo, exec_lo, s8
	s_and_saveexec_b32 s8, s33
	s_cbranch_execz .LBB115_40
; %bb.37:                               ;   in Loop: Header=BB115_7 Depth=1
	s_wait_dscnt 0x0
	ds_load_b64 v[44:45], v54 offset:160
	s_and_not1_b32 vcc_lo, exec_lo, s19
	s_cbranch_vccnz .LBB115_102
; %bb.38:                               ;   in Loop: Header=BB115_7 Depth=1
	v_lshl_add_u64 v[58:59], v[16:17], 3, v[42:43]
	s_wait_dscnt 0x0
	global_store_b64 v[58:59], v[44:45], off
	s_cbranch_execnz .LBB115_40
.LBB115_39:                             ;   in Loop: Header=BB115_7 Depth=1
	s_wait_dscnt 0x0
	global_store_b64 v[40:41], v[44:45], off offset:160
.LBB115_40:                             ;   in Loop: Header=BB115_7 Depth=1
	s_wait_xcnt 0x0
	s_or_b32 exec_lo, exec_lo, s8
	s_and_saveexec_b32 s8, s34
	s_cbranch_execz .LBB115_44
; %bb.41:                               ;   in Loop: Header=BB115_7 Depth=1
	s_wait_dscnt 0x0
	ds_load_b64 v[44:45], v54 offset:192
	s_and_not1_b32 vcc_lo, exec_lo, s19
	s_cbranch_vccnz .LBB115_103
; %bb.42:                               ;   in Loop: Header=BB115_7 Depth=1
	v_lshl_add_u64 v[58:59], v[18:19], 3, v[42:43]
	s_wait_dscnt 0x0
	global_store_b64 v[58:59], v[44:45], off
	s_cbranch_execnz .LBB115_44
.LBB115_43:                             ;   in Loop: Header=BB115_7 Depth=1
	s_wait_dscnt 0x0
	global_store_b64 v[40:41], v[44:45], off offset:192
.LBB115_44:                             ;   in Loop: Header=BB115_7 Depth=1
	s_wait_xcnt 0x0
	s_or_b32 exec_lo, exec_lo, s8
	s_and_saveexec_b32 s8, s35
	s_cbranch_execz .LBB115_48
; %bb.45:                               ;   in Loop: Header=BB115_7 Depth=1
	s_wait_dscnt 0x0
	ds_load_b64 v[44:45], v54 offset:224
	s_and_not1_b32 vcc_lo, exec_lo, s19
	s_cbranch_vccnz .LBB115_104
; %bb.46:                               ;   in Loop: Header=BB115_7 Depth=1
	v_lshl_add_u64 v[58:59], v[20:21], 3, v[42:43]
	s_wait_dscnt 0x0
	global_store_b64 v[58:59], v[44:45], off
	s_cbranch_execnz .LBB115_48
.LBB115_47:                             ;   in Loop: Header=BB115_7 Depth=1
	s_wait_dscnt 0x0
	global_store_b64 v[40:41], v[44:45], off offset:224
.LBB115_48:                             ;   in Loop: Header=BB115_7 Depth=1
	s_wait_xcnt 0x0
	s_or_b32 exec_lo, exec_lo, s8
	s_and_saveexec_b32 s8, s36
	s_cbranch_execz .LBB115_52
; %bb.49:                               ;   in Loop: Header=BB115_7 Depth=1
	s_wait_dscnt 0x0
	ds_load_b64 v[44:45], v54 offset:256
	s_and_not1_b32 vcc_lo, exec_lo, s19
	s_cbranch_vccnz .LBB115_105
; %bb.50:                               ;   in Loop: Header=BB115_7 Depth=1
	v_lshl_add_u64 v[58:59], v[22:23], 3, v[42:43]
	s_wait_dscnt 0x0
	global_store_b64 v[58:59], v[44:45], off
	s_cbranch_execnz .LBB115_52
.LBB115_51:                             ;   in Loop: Header=BB115_7 Depth=1
	s_wait_dscnt 0x0
	global_store_b64 v[40:41], v[44:45], off offset:256
.LBB115_52:                             ;   in Loop: Header=BB115_7 Depth=1
	s_wait_xcnt 0x0
	s_or_b32 exec_lo, exec_lo, s8
	s_and_saveexec_b32 s8, s37
	s_cbranch_execz .LBB115_56
; %bb.53:                               ;   in Loop: Header=BB115_7 Depth=1
	s_wait_dscnt 0x0
	ds_load_b64 v[44:45], v54 offset:288
	s_and_not1_b32 vcc_lo, exec_lo, s19
	s_cbranch_vccnz .LBB115_106
; %bb.54:                               ;   in Loop: Header=BB115_7 Depth=1
	v_lshl_add_u64 v[58:59], v[24:25], 3, v[42:43]
	s_wait_dscnt 0x0
	global_store_b64 v[58:59], v[44:45], off
	s_cbranch_execnz .LBB115_56
.LBB115_55:                             ;   in Loop: Header=BB115_7 Depth=1
	s_wait_dscnt 0x0
	global_store_b64 v[40:41], v[44:45], off offset:288
.LBB115_56:                             ;   in Loop: Header=BB115_7 Depth=1
	s_wait_xcnt 0x0
	s_or_b32 exec_lo, exec_lo, s8
	s_and_saveexec_b32 s8, s38
	s_cbranch_execz .LBB115_60
; %bb.57:                               ;   in Loop: Header=BB115_7 Depth=1
	s_wait_dscnt 0x0
	ds_load_b64 v[44:45], v54 offset:320
	s_and_not1_b32 vcc_lo, exec_lo, s19
	s_cbranch_vccnz .LBB115_107
; %bb.58:                               ;   in Loop: Header=BB115_7 Depth=1
	v_lshl_add_u64 v[58:59], v[26:27], 3, v[42:43]
	s_wait_dscnt 0x0
	global_store_b64 v[58:59], v[44:45], off
	s_cbranch_execnz .LBB115_60
.LBB115_59:                             ;   in Loop: Header=BB115_7 Depth=1
	s_wait_dscnt 0x0
	global_store_b64 v[40:41], v[44:45], off offset:320
.LBB115_60:                             ;   in Loop: Header=BB115_7 Depth=1
	s_wait_xcnt 0x0
	s_or_b32 exec_lo, exec_lo, s8
	s_and_saveexec_b32 s8, s39
	s_cbranch_execz .LBB115_64
; %bb.61:                               ;   in Loop: Header=BB115_7 Depth=1
	s_wait_dscnt 0x0
	ds_load_b64 v[44:45], v54 offset:352
	s_and_not1_b32 vcc_lo, exec_lo, s19
	s_cbranch_vccnz .LBB115_108
; %bb.62:                               ;   in Loop: Header=BB115_7 Depth=1
	v_lshl_add_u64 v[58:59], v[28:29], 3, v[42:43]
	s_wait_dscnt 0x0
	global_store_b64 v[58:59], v[44:45], off
	s_cbranch_execnz .LBB115_64
.LBB115_63:                             ;   in Loop: Header=BB115_7 Depth=1
	s_wait_dscnt 0x0
	global_store_b64 v[40:41], v[44:45], off offset:352
.LBB115_64:                             ;   in Loop: Header=BB115_7 Depth=1
	s_wait_xcnt 0x0
	s_or_b32 exec_lo, exec_lo, s8
	s_and_saveexec_b32 s8, s41
	s_cbranch_execz .LBB115_68
; %bb.65:                               ;   in Loop: Header=BB115_7 Depth=1
	s_wait_dscnt 0x0
	ds_load_b64 v[44:45], v54 offset:384
	s_and_not1_b32 vcc_lo, exec_lo, s19
	s_cbranch_vccnz .LBB115_109
; %bb.66:                               ;   in Loop: Header=BB115_7 Depth=1
	v_lshl_add_u64 v[58:59], v[30:31], 3, v[42:43]
	s_wait_dscnt 0x0
	global_store_b64 v[58:59], v[44:45], off
	s_cbranch_execnz .LBB115_68
.LBB115_67:                             ;   in Loop: Header=BB115_7 Depth=1
	s_wait_dscnt 0x0
	global_store_b64 v[40:41], v[44:45], off offset:384
.LBB115_68:                             ;   in Loop: Header=BB115_7 Depth=1
	s_wait_xcnt 0x0
	s_or_b32 exec_lo, exec_lo, s8
	s_and_saveexec_b32 s8, s42
	s_cbranch_execz .LBB115_72
; %bb.69:                               ;   in Loop: Header=BB115_7 Depth=1
	s_wait_dscnt 0x0
	ds_load_b64 v[44:45], v54 offset:416
	s_and_not1_b32 vcc_lo, exec_lo, s19
	s_cbranch_vccnz .LBB115_110
; %bb.70:                               ;   in Loop: Header=BB115_7 Depth=1
	v_lshl_add_u64 v[58:59], v[32:33], 3, v[42:43]
	s_wait_dscnt 0x0
	global_store_b64 v[58:59], v[44:45], off
	s_cbranch_execnz .LBB115_72
.LBB115_71:                             ;   in Loop: Header=BB115_7 Depth=1
	s_wait_dscnt 0x0
	global_store_b64 v[40:41], v[44:45], off offset:416
.LBB115_72:                             ;   in Loop: Header=BB115_7 Depth=1
	s_wait_xcnt 0x0
	s_or_b32 exec_lo, exec_lo, s8
	s_and_saveexec_b32 s8, s43
	s_cbranch_execz .LBB115_76
; %bb.73:                               ;   in Loop: Header=BB115_7 Depth=1
	s_wait_dscnt 0x0
	ds_load_b64 v[44:45], v54 offset:448
	s_and_not1_b32 vcc_lo, exec_lo, s19
	s_cbranch_vccnz .LBB115_111
; %bb.74:                               ;   in Loop: Header=BB115_7 Depth=1
	v_lshl_add_u64 v[58:59], v[34:35], 3, v[42:43]
	s_wait_dscnt 0x0
	global_store_b64 v[58:59], v[44:45], off
	s_cbranch_execnz .LBB115_76
.LBB115_75:                             ;   in Loop: Header=BB115_7 Depth=1
	s_wait_dscnt 0x0
	global_store_b64 v[40:41], v[44:45], off offset:448
.LBB115_76:                             ;   in Loop: Header=BB115_7 Depth=1
	s_wait_xcnt 0x0
	s_or_b32 exec_lo, exec_lo, s8
	s_and_saveexec_b32 s8, s9
	s_cbranch_execz .LBB115_80
; %bb.77:                               ;   in Loop: Header=BB115_7 Depth=1
	s_wait_dscnt 0x0
	ds_load_b64 v[44:45], v54 offset:480
	s_and_not1_b32 vcc_lo, exec_lo, s19
	s_cbranch_vccnz .LBB115_112
; %bb.78:                               ;   in Loop: Header=BB115_7 Depth=1
	v_lshl_add_u64 v[42:43], v[36:37], 3, v[42:43]
	s_wait_dscnt 0x0
	global_store_b64 v[42:43], v[44:45], off
	s_cbranch_execnz .LBB115_80
.LBB115_79:                             ;   in Loop: Header=BB115_7 Depth=1
	s_wait_dscnt 0x0
	global_store_b64 v[40:41], v[44:45], off offset:480
.LBB115_80:                             ;   in Loop: Header=BB115_7 Depth=1
	s_wait_xcnt 0x0
	s_or_b32 exec_lo, exec_lo, s8
	s_mov_b32 s8, 1
.LBB115_81:                             ;   in Loop: Header=BB115_7 Depth=1
	s_wait_storecnt_dscnt 0x0
	s_barrier_signal -1
	s_barrier_wait -1
	ds_store_b32 v49, v56
	s_wait_dscnt 0x0
	s_barrier_signal -1
	s_barrier_wait -1
	s_and_saveexec_b32 s13, s0
	s_cbranch_execz .LBB115_83
; %bb.82:                               ;   in Loop: Header=BB115_7 Depth=1
	ds_load_2addr_stride64_b32 v[40:41], v49 offset1:2
	s_wait_dscnt 0x0
	v_min_i32_e32 v2, v41, v40
	ds_store_b32 v49, v2
.LBB115_83:                             ;   in Loop: Header=BB115_7 Depth=1
	s_or_b32 exec_lo, exec_lo, s13
	s_wait_dscnt 0x0
	s_barrier_signal -1
	s_barrier_wait -1
	s_and_saveexec_b32 s13, s1
	s_cbranch_execz .LBB115_85
; %bb.84:                               ;   in Loop: Header=BB115_7 Depth=1
	ds_load_2addr_stride64_b32 v[40:41], v49 offset1:1
	s_wait_dscnt 0x0
	v_min_i32_e32 v2, v41, v40
	ds_store_b32 v49, v2
.LBB115_85:                             ;   in Loop: Header=BB115_7 Depth=1
	s_or_b32 exec_lo, exec_lo, s13
	s_wait_dscnt 0x0
	s_barrier_signal -1
	s_barrier_wait -1
	s_and_saveexec_b32 s13, s2
	s_cbranch_execz .LBB115_87
; %bb.86:                               ;   in Loop: Header=BB115_7 Depth=1
	ds_load_2addr_b32 v[40:41], v49 offset1:32
	s_wait_dscnt 0x0
	v_min_i32_e32 v2, v41, v40
	ds_store_b32 v49, v2
.LBB115_87:                             ;   in Loop: Header=BB115_7 Depth=1
	s_or_b32 exec_lo, exec_lo, s13
	s_wait_dscnt 0x0
	s_barrier_signal -1
	s_barrier_wait -1
	s_and_saveexec_b32 s13, s3
	s_cbranch_execz .LBB115_89
; %bb.88:                               ;   in Loop: Header=BB115_7 Depth=1
	ds_load_2addr_b32 v[40:41], v49 offset1:16
	s_wait_dscnt 0x0
	v_min_i32_e32 v2, v41, v40
	ds_store_b32 v49, v2
.LBB115_89:                             ;   in Loop: Header=BB115_7 Depth=1
	;; [unrolled: 12-line block ×5, first 2 shown]
	s_or_b32 exec_lo, exec_lo, s13
	s_wait_dscnt 0x0
	s_barrier_signal -1
	s_barrier_wait -1
	s_and_saveexec_b32 s13, s7
	s_cbranch_execz .LBB115_6
; %bb.96:                               ;   in Loop: Header=BB115_7 Depth=1
	ds_load_b64 v[40:41], v3
	s_wait_dscnt 0x0
	v_min_i32_e32 v2, v41, v40
	ds_store_b32 v3, v2
	s_branch .LBB115_6
.LBB115_97:                             ;   in Loop: Header=BB115_7 Depth=1
	s_branch .LBB115_19
.LBB115_98:                             ;   in Loop: Header=BB115_7 Depth=1
	s_branch .LBB115_23
.LBB115_99:                             ;   in Loop: Header=BB115_7 Depth=1
	s_branch .LBB115_27
.LBB115_100:                            ;   in Loop: Header=BB115_7 Depth=1
	s_branch .LBB115_31
.LBB115_101:                            ;   in Loop: Header=BB115_7 Depth=1
	s_branch .LBB115_35
.LBB115_102:                            ;   in Loop: Header=BB115_7 Depth=1
	s_branch .LBB115_39
.LBB115_103:                            ;   in Loop: Header=BB115_7 Depth=1
	s_branch .LBB115_43
.LBB115_104:                            ;   in Loop: Header=BB115_7 Depth=1
	s_branch .LBB115_47
.LBB115_105:                            ;   in Loop: Header=BB115_7 Depth=1
	s_branch .LBB115_51
.LBB115_106:                            ;   in Loop: Header=BB115_7 Depth=1
	s_branch .LBB115_55
.LBB115_107:                            ;   in Loop: Header=BB115_7 Depth=1
	s_branch .LBB115_59
.LBB115_108:                            ;   in Loop: Header=BB115_7 Depth=1
	s_branch .LBB115_63
.LBB115_109:                            ;   in Loop: Header=BB115_7 Depth=1
	s_branch .LBB115_67
.LBB115_110:                            ;   in Loop: Header=BB115_7 Depth=1
	s_branch .LBB115_71
.LBB115_111:                            ;   in Loop: Header=BB115_7 Depth=1
	s_branch .LBB115_75
.LBB115_112:                            ;   in Loop: Header=BB115_7 Depth=1
	s_branch .LBB115_79
.LBB115_113:
	s_endpgm
	.section	.rodata,"a",@progbits
	.p2align	6, 0x0
	.amdhsa_kernel _ZN9rocsparseL38csr2bsr_block_per_row_multipass_kernelILj256ELj64EdiiEEv20rocsparse_direction_T3_S2_S2_S2_S2_21rocsparse_index_base_PKT1_PKT2_PKS2_S3_PS4_PS7_PS2_
		.amdhsa_group_segment_fixed_size 32776
		.amdhsa_private_segment_fixed_size 0
		.amdhsa_kernarg_size 88
		.amdhsa_user_sgpr_count 2
		.amdhsa_user_sgpr_dispatch_ptr 0
		.amdhsa_user_sgpr_queue_ptr 0
		.amdhsa_user_sgpr_kernarg_segment_ptr 1
		.amdhsa_user_sgpr_dispatch_id 0
		.amdhsa_user_sgpr_kernarg_preload_length 0
		.amdhsa_user_sgpr_kernarg_preload_offset 0
		.amdhsa_user_sgpr_private_segment_size 0
		.amdhsa_wavefront_size32 1
		.amdhsa_uses_dynamic_stack 0
		.amdhsa_enable_private_segment 0
		.amdhsa_system_sgpr_workgroup_id_x 1
		.amdhsa_system_sgpr_workgroup_id_y 0
		.amdhsa_system_sgpr_workgroup_id_z 0
		.amdhsa_system_sgpr_workgroup_info 0
		.amdhsa_system_vgpr_workitem_id 0
		.amdhsa_next_free_vgpr 60
		.amdhsa_next_free_sgpr 48
		.amdhsa_named_barrier_count 0
		.amdhsa_reserve_vcc 1
		.amdhsa_float_round_mode_32 0
		.amdhsa_float_round_mode_16_64 0
		.amdhsa_float_denorm_mode_32 3
		.amdhsa_float_denorm_mode_16_64 3
		.amdhsa_fp16_overflow 0
		.amdhsa_memory_ordered 1
		.amdhsa_forward_progress 1
		.amdhsa_inst_pref_size 27
		.amdhsa_round_robin_scheduling 0
		.amdhsa_exception_fp_ieee_invalid_op 0
		.amdhsa_exception_fp_denorm_src 0
		.amdhsa_exception_fp_ieee_div_zero 0
		.amdhsa_exception_fp_ieee_overflow 0
		.amdhsa_exception_fp_ieee_underflow 0
		.amdhsa_exception_fp_ieee_inexact 0
		.amdhsa_exception_int_div_zero 0
	.end_amdhsa_kernel
	.section	.text._ZN9rocsparseL38csr2bsr_block_per_row_multipass_kernelILj256ELj64EdiiEEv20rocsparse_direction_T3_S2_S2_S2_S2_21rocsparse_index_base_PKT1_PKT2_PKS2_S3_PS4_PS7_PS2_,"axG",@progbits,_ZN9rocsparseL38csr2bsr_block_per_row_multipass_kernelILj256ELj64EdiiEEv20rocsparse_direction_T3_S2_S2_S2_S2_21rocsparse_index_base_PKT1_PKT2_PKS2_S3_PS4_PS7_PS2_,comdat
.Lfunc_end115:
	.size	_ZN9rocsparseL38csr2bsr_block_per_row_multipass_kernelILj256ELj64EdiiEEv20rocsparse_direction_T3_S2_S2_S2_S2_21rocsparse_index_base_PKT1_PKT2_PKS2_S3_PS4_PS7_PS2_, .Lfunc_end115-_ZN9rocsparseL38csr2bsr_block_per_row_multipass_kernelILj256ELj64EdiiEEv20rocsparse_direction_T3_S2_S2_S2_S2_21rocsparse_index_base_PKT1_PKT2_PKS2_S3_PS4_PS7_PS2_
                                        ; -- End function
	.set _ZN9rocsparseL38csr2bsr_block_per_row_multipass_kernelILj256ELj64EdiiEEv20rocsparse_direction_T3_S2_S2_S2_S2_21rocsparse_index_base_PKT1_PKT2_PKS2_S3_PS4_PS7_PS2_.num_vgpr, 60
	.set _ZN9rocsparseL38csr2bsr_block_per_row_multipass_kernelILj256ELj64EdiiEEv20rocsparse_direction_T3_S2_S2_S2_S2_21rocsparse_index_base_PKT1_PKT2_PKS2_S3_PS4_PS7_PS2_.num_agpr, 0
	.set _ZN9rocsparseL38csr2bsr_block_per_row_multipass_kernelILj256ELj64EdiiEEv20rocsparse_direction_T3_S2_S2_S2_S2_21rocsparse_index_base_PKT1_PKT2_PKS2_S3_PS4_PS7_PS2_.numbered_sgpr, 48
	.set _ZN9rocsparseL38csr2bsr_block_per_row_multipass_kernelILj256ELj64EdiiEEv20rocsparse_direction_T3_S2_S2_S2_S2_21rocsparse_index_base_PKT1_PKT2_PKS2_S3_PS4_PS7_PS2_.num_named_barrier, 0
	.set _ZN9rocsparseL38csr2bsr_block_per_row_multipass_kernelILj256ELj64EdiiEEv20rocsparse_direction_T3_S2_S2_S2_S2_21rocsparse_index_base_PKT1_PKT2_PKS2_S3_PS4_PS7_PS2_.private_seg_size, 0
	.set _ZN9rocsparseL38csr2bsr_block_per_row_multipass_kernelILj256ELj64EdiiEEv20rocsparse_direction_T3_S2_S2_S2_S2_21rocsparse_index_base_PKT1_PKT2_PKS2_S3_PS4_PS7_PS2_.uses_vcc, 1
	.set _ZN9rocsparseL38csr2bsr_block_per_row_multipass_kernelILj256ELj64EdiiEEv20rocsparse_direction_T3_S2_S2_S2_S2_21rocsparse_index_base_PKT1_PKT2_PKS2_S3_PS4_PS7_PS2_.uses_flat_scratch, 0
	.set _ZN9rocsparseL38csr2bsr_block_per_row_multipass_kernelILj256ELj64EdiiEEv20rocsparse_direction_T3_S2_S2_S2_S2_21rocsparse_index_base_PKT1_PKT2_PKS2_S3_PS4_PS7_PS2_.has_dyn_sized_stack, 0
	.set _ZN9rocsparseL38csr2bsr_block_per_row_multipass_kernelILj256ELj64EdiiEEv20rocsparse_direction_T3_S2_S2_S2_S2_21rocsparse_index_base_PKT1_PKT2_PKS2_S3_PS4_PS7_PS2_.has_recursion, 0
	.set _ZN9rocsparseL38csr2bsr_block_per_row_multipass_kernelILj256ELj64EdiiEEv20rocsparse_direction_T3_S2_S2_S2_S2_21rocsparse_index_base_PKT1_PKT2_PKS2_S3_PS4_PS7_PS2_.has_indirect_call, 0
	.section	.AMDGPU.csdata,"",@progbits
; Kernel info:
; codeLenInByte = 3436
; TotalNumSgprs: 50
; NumVgprs: 60
; ScratchSize: 0
; MemoryBound: 0
; FloatMode: 240
; IeeeMode: 1
; LDSByteSize: 32776 bytes/workgroup (compile time only)
; SGPRBlocks: 0
; VGPRBlocks: 3
; NumSGPRsForWavesPerEU: 50
; NumVGPRsForWavesPerEU: 60
; NamedBarCnt: 0
; Occupancy: 16
; WaveLimiterHint : 0
; COMPUTE_PGM_RSRC2:SCRATCH_EN: 0
; COMPUTE_PGM_RSRC2:USER_SGPR: 2
; COMPUTE_PGM_RSRC2:TRAP_HANDLER: 0
; COMPUTE_PGM_RSRC2:TGID_X_EN: 1
; COMPUTE_PGM_RSRC2:TGID_Y_EN: 0
; COMPUTE_PGM_RSRC2:TGID_Z_EN: 0
; COMPUTE_PGM_RSRC2:TIDIG_COMP_CNT: 0
	.section	.text._ZN9rocsparseL21csr2bsr_65_inf_kernelILj32EdiiEEv20rocsparse_direction_T2_S2_S2_S2_S2_S2_21rocsparse_index_base_PKT0_PKT1_PKS2_S3_PS4_PS7_PS2_SD_SE_SC_,"axG",@progbits,_ZN9rocsparseL21csr2bsr_65_inf_kernelILj32EdiiEEv20rocsparse_direction_T2_S2_S2_S2_S2_S2_21rocsparse_index_base_PKT0_PKT1_PKS2_S3_PS4_PS7_PS2_SD_SE_SC_,comdat
	.globl	_ZN9rocsparseL21csr2bsr_65_inf_kernelILj32EdiiEEv20rocsparse_direction_T2_S2_S2_S2_S2_S2_21rocsparse_index_base_PKT0_PKT1_PKS2_S3_PS4_PS7_PS2_SD_SE_SC_ ; -- Begin function _ZN9rocsparseL21csr2bsr_65_inf_kernelILj32EdiiEEv20rocsparse_direction_T2_S2_S2_S2_S2_S2_21rocsparse_index_base_PKT0_PKT1_PKS2_S3_PS4_PS7_PS2_SD_SE_SC_
	.p2align	8
	.type	_ZN9rocsparseL21csr2bsr_65_inf_kernelILj32EdiiEEv20rocsparse_direction_T2_S2_S2_S2_S2_S2_21rocsparse_index_base_PKT0_PKT1_PKS2_S3_PS4_PS7_PS2_SD_SE_SC_,@function
_ZN9rocsparseL21csr2bsr_65_inf_kernelILj32EdiiEEv20rocsparse_direction_T2_S2_S2_S2_S2_S2_21rocsparse_index_base_PKT0_PKT1_PKS2_S3_PS4_PS7_PS2_SD_SE_SC_: ; @_ZN9rocsparseL21csr2bsr_65_inf_kernelILj32EdiiEEv20rocsparse_direction_T2_S2_S2_S2_S2_S2_21rocsparse_index_base_PKT0_PKT1_PKS2_S3_PS4_PS7_PS2_SD_SE_SC_
; %bb.0:
	s_clause 0x2
	s_load_b128 s[4:7], s[0:1], 0x0
	s_load_b64 s[2:3], s[0:1], 0x58
	s_load_b32 s15, s[0:1], 0x38
	s_bfe_u32 s8, ttmp6, 0x4000c
	s_and_b32 s9, ttmp6, 15
	s_add_co_i32 s8, s8, 1
	s_getreg_b32 s10, hwreg(HW_REG_IB_STS2, 6, 4)
	s_mul_i32 s8, ttmp9, s8
	s_mov_b32 s27, 0
	s_add_co_i32 s9, s9, s8
	s_cmp_eq_u32 s10, 0
	s_cselect_b32 s22, ttmp9, s9
	s_wait_kmcnt 0x0
	s_cmp_ge_i32 s22, s7
	s_mov_b32 s7, 0
	s_cbranch_scc1 .LBB116_2
; %bb.1:
	s_load_b64 s[8:9], s[0:1], 0x48
	s_ashr_i32 s23, s22, 31
	s_delay_alu instid0(SALU_CYCLE_1)
	s_lshl_b64 s[10:11], s[22:23], 2
	s_wait_kmcnt 0x0
	s_add_nc_u64 s[8:9], s[8:9], s[10:11]
	s_load_b32 s7, s[8:9], 0x0
	s_wait_kmcnt 0x0
	s_sub_co_i32 s7, s7, s15
.LBB116_2:
	s_load_b96 s[12:14], s[0:1], 0x14
	s_wait_kmcnt 0x0
	v_mul_lo_u32 v8, s13, v0
	s_mul_i32 s8, s22, s13
	s_delay_alu instid0(SALU_CYCLE_1) | instskip(NEXT) | instid1(SALU_CYCLE_1)
	s_lshl_b32 s26, s8, 6
	s_lshl_b64 s[8:9], s[26:27], 2
	s_lshl_b32 s26, s13, 5
	s_add_nc_u64 s[24:25], s[2:3], s[8:9]
	s_cmp_gt_i32 s13, 0
	s_cselect_b32 s28, -1, 0
	s_delay_alu instid0(VALU_DEP_1) | instskip(SKIP_1) | instid1(VALU_DEP_1)
	v_ashrrev_i32_e32 v9, 31, v8
	s_cmp_lt_i32 s13, 1
	v_lshl_add_u64 v[2:3], v[8:9], 2, s[24:25]
	s_cbranch_scc1 .LBB116_7
; %bb.3:
	s_load_b64 s[8:9], s[0:1], 0x28
	s_delay_alu instid0(VALU_DEP_1)
	v_mov_b64_e32 v[4:5], v[2:3]
	v_dual_mov_b32 v1, 0 :: v_dual_mov_b32 v12, v0
	s_mul_i32 s3, s12, s22
	s_lshl_b64 s[10:11], s[26:27], 2
	s_mov_b32 s16, s13
	s_branch .LBB116_5
.LBB116_4:                              ;   in Loop: Header=BB116_5 Depth=1
	s_wait_xcnt 0x0
	s_or_b32 exec_lo, exec_lo, s2
	v_add_nc_u64_e32 v[4:5], 4, v[4:5]
	v_add_nc_u32_e32 v12, 32, v12
	s_add_co_i32 s16, s16, -1
	s_delay_alu instid0(SALU_CYCLE_1)
	s_cmp_eq_u32 s16, 0
	s_cbranch_scc1 .LBB116_7
.LBB116_5:                              ; =>This Inner Loop Header: Depth=1
	s_delay_alu instid0(VALU_DEP_1) | instskip(NEXT) | instid1(VALU_DEP_3)
	v_add_nc_u32_e32 v10, s3, v12
	v_add_nc_u64_e32 v[6:7], s[10:11], v[4:5]
	v_cmp_gt_u32_e64 s2, s12, v12
	global_store_b32 v[4:5], v1, off
	v_cmp_gt_i32_e32 vcc_lo, s5, v10
	global_store_b32 v[6:7], v1, off
	s_and_b32 s17, s2, vcc_lo
	s_wait_xcnt 0x0
	s_and_saveexec_b32 s2, s17
	s_cbranch_execz .LBB116_4
; %bb.6:                                ;   in Loop: Header=BB116_5 Depth=1
	v_ashrrev_i32_e32 v11, 31, v10
	s_wait_kmcnt 0x0
	s_delay_alu instid0(VALU_DEP_1)
	v_lshl_add_u64 v[10:11], v[10:11], 2, s[8:9]
	global_load_b64 v[10:11], v[10:11], off
	s_wait_loadcnt 0x0
	v_subrev_nc_u32_e32 v10, s14, v10
	v_subrev_nc_u32_e32 v11, s14, v11
	s_clause 0x1
	global_store_b32 v[4:5], v10, off
	global_store_b32 v[6:7], v11, off
	s_branch .LBB116_4
.LBB116_7:
	s_cmp_lt_i32 s6, 1
	s_cbranch_scc1 .LBB116_37
; %bb.8:
	v_mbcnt_lo_u32_b32 v10, -1, 0
	s_mul_i32 s22, s26, s22
	s_mov_b32 s23, 0
	s_wait_kmcnt 0x0
	s_clause 0x4
	s_load_b128 s[8:11], s[0:1], 0x60
	s_load_b64 s[2:3], s[0:1], 0x50
	s_load_b64 s[16:17], s[0:1], 0x40
	;; [unrolled: 1-line block ×4, first 2 shown]
	s_wait_xcnt 0x0
	s_lshl_b64 s[0:1], s[26:27], 2
	v_xor_b32_e32 v11, 8, v10
	v_xor_b32_e32 v1, 16, v10
	s_lshl_b64 s[26:27], s[22:23], 2
	s_lshl_b64 s[30:31], s[22:23], 3
	s_cmp_lg_u32 s4, 0
	s_add_nc_u64 s[4:5], s[24:25], s[0:1]
	v_cmp_gt_i32_e32 vcc_lo, 32, v1
	s_cselect_b32 s1, -1, 0
	s_abs_i32 s24, s12
	v_lshlrev_b64_e32 v[6:7], 2, v[8:9]
	s_cvt_f32_u32 s0, s24
	v_dual_cndmask_b32 v1, v10, v1, vcc_lo :: v_dual_bitop2_b32 v12, 4, v10 bitop3:0x14
	v_mul_lo_u32 v35, v0, s12
	s_delay_alu instid0(SALU_CYCLE_1) | instskip(NEXT) | instid1(VALU_DEP_2)
	v_rcp_iflag_f32_e32 v14, s0
	v_dual_mov_b32 v37, 0 :: v_dual_lshlrev_b32 v1, 2, v1
	v_cmp_gt_i32_e32 vcc_lo, 32, v11
	v_add_nc_u64_e32 v[4:5], s[4:5], v[6:7]
	s_wait_kmcnt 0x0
	s_add_nc_u64 s[4:5], s[8:9], s[26:27]
	s_add_nc_u64 s[8:9], s[10:11], s[30:31]
	v_readfirstlane_b32 s0, v14
	v_cndmask_b32_e32 v11, v10, v11, vcc_lo
	v_cmp_gt_i32_e32 vcc_lo, 32, v12
	v_xor_b32_e32 v13, 2, v10
	v_add_nc_u64_e32 v[6:7], s[4:5], v[6:7]
	s_mul_f32 s4, s0, 0x4f7ffffe
	v_lshl_add_u64 v[8:9], v[8:9], 3, s[8:9]
	v_cndmask_b32_e32 v12, v10, v12, vcc_lo
	v_cmp_gt_i32_e32 vcc_lo, 32, v13
	v_xor_b32_e32 v15, 1, v10
	s_cvt_u32_f32 s10, s4
	s_sub_co_i32 s4, 0, s24
	v_cmp_eq_u32_e64 s0, 31, v0
	v_cndmask_b32_e32 v13, v10, v13, vcc_lo
	v_cmp_gt_i32_e32 vcc_lo, 32, v15
	v_dual_lshlrev_b32 v30, 2, v11 :: v_dual_lshlrev_b32 v31, 2, v12
	s_mul_i32 s8, s4, s10
	s_delay_alu instid0(VALU_DEP_3) | instskip(SKIP_2) | instid1(VALU_DEP_3)
	v_dual_lshlrev_b32 v32, 2, v13 :: v_dual_cndmask_b32 v10, v10, v15, vcc_lo
	v_mov_b64_e32 v[12:13], 0
	v_dual_mov_b32 v34, 0x7c :: v_dual_mov_b32 v11, 0
	v_dual_mov_b32 v36, 0 :: v_dual_lshlrev_b32 v33, 2, v10
	v_mov_b32_e32 v10, 0
	s_ashr_i32 s5, s12, 31
	s_mov_b32 s4, s12
	s_mul_hi_u32 s11, s10, s8
	s_add_co_i32 s25, s7, -1
	s_mul_u64 s[8:9], s[4:5], s[4:5]
	s_add_co_i32 s10, s10, s11
	s_mov_b32 s11, s23
	s_lshl_b32 s4, s12, 5
	s_mov_b32 s26, 0
	s_branch .LBB116_10
.LBB116_9:                              ;   in Loop: Header=BB116_10 Depth=1
	s_wait_dscnt 0x1
	v_add_nc_u32_e32 v10, 1, v38
	s_delay_alu instid0(VALU_DEP_1) | instskip(SKIP_1) | instid1(SALU_CYCLE_1)
	v_cmp_le_i32_e32 vcc_lo, s6, v10
	s_or_b32 s26, vcc_lo, s26
	s_and_not1_b32 exec_lo, exec_lo, s26
	s_cbranch_execz .LBB116_37
.LBB116_10:                             ; =>This Loop Header: Depth=1
                                        ;     Child Loop BB116_14 Depth 2
                                        ;       Child Loop BB116_17 Depth 3
                                        ;     Child Loop BB116_31 Depth 2
	v_mov_b32_e32 v26, s6
	s_and_not1_b32 vcc_lo, exec_lo, s28
	s_cbranch_vccnz .LBB116_23
; %bb.11:                               ;   in Loop: Header=BB116_10 Depth=1
	v_mov_b32_e32 v26, s6
	s_mov_b32 s22, 0
	s_branch .LBB116_14
.LBB116_12:                             ;   in Loop: Header=BB116_14 Depth=2
	s_wait_xcnt 0x0
	s_or_b32 exec_lo, exec_lo, s29
.LBB116_13:                             ;   in Loop: Header=BB116_14 Depth=2
	s_delay_alu instid0(SALU_CYCLE_1) | instskip(SKIP_1) | instid1(SALU_CYCLE_1)
	s_or_b32 exec_lo, exec_lo, s27
	s_add_co_i32 s22, s22, 1
	s_cmp_eq_u32 s22, s13
	s_cbranch_scc1 .LBB116_23
.LBB116_14:                             ;   Parent Loop BB116_10 Depth=1
                                        ; =>  This Loop Header: Depth=2
                                        ;       Child Loop BB116_17 Depth 3
	s_lshl_b64 s[30:31], s[22:23], 2
	v_mov_b32_e32 v20, s6
	v_add_nc_u64_e32 v[14:15], s[30:31], v[2:3]
	v_add_nc_u64_e32 v[16:17], s[30:31], v[4:5]
	;; [unrolled: 1-line block ×3, first 2 shown]
	s_mov_b32 s27, exec_lo
	s_clause 0x1
	global_load_b32 v22, v[14:15], off
	global_load_b32 v28, v[16:17], off
	s_wait_xcnt 0x0
	v_lshl_add_u64 v[16:17], s[22:23], 3, v[8:9]
	global_store_b64 v[16:17], v[12:13], off
	global_store_b32 v[18:19], v20, off
	s_wait_loadcnt 0x0
	s_wait_xcnt 0x0
	v_cmpx_lt_i32_e64 v22, v28
	s_cbranch_execz .LBB116_13
; %bb.15:                               ;   in Loop: Header=BB116_14 Depth=2
	v_ashrrev_i32_e32 v23, 31, v22
	s_mov_b32 s29, 0
                                        ; implicit-def: $sgpr30
                                        ; implicit-def: $sgpr33
                                        ; implicit-def: $sgpr31
	s_delay_alu instid0(VALU_DEP_1)
	v_lshl_add_u64 v[24:25], v[22:23], 2, s[20:21]
	s_branch .LBB116_17
.LBB116_16:                             ;   in Loop: Header=BB116_17 Depth=3
	s_or_b32 exec_lo, exec_lo, s34
	s_delay_alu instid0(SALU_CYCLE_1) | instskip(NEXT) | instid1(SALU_CYCLE_1)
	s_and_b32 s34, exec_lo, s33
	s_or_b32 s29, s34, s29
	s_and_not1_b32 s30, s30, exec_lo
	s_and_b32 s34, s31, exec_lo
	s_delay_alu instid0(SALU_CYCLE_1)
	s_or_b32 s30, s30, s34
	s_and_not1_b32 exec_lo, exec_lo, s29
	s_cbranch_execz .LBB116_19
.LBB116_17:                             ;   Parent Loop BB116_10 Depth=1
                                        ;     Parent Loop BB116_14 Depth=2
                                        ; =>    This Inner Loop Header: Depth=3
	global_load_b32 v20, v[24:25], off
	s_or_b32 s31, s31, exec_lo
	s_or_b32 s33, s33, exec_lo
	s_mov_b32 s34, exec_lo
	s_wait_loadcnt 0x0
	v_subrev_nc_u32_e32 v27, s14, v20
	v_mov_b64_e32 v[20:21], v[22:23]
                                        ; implicit-def: $vgpr22_vgpr23
	s_wait_xcnt 0x0
	s_delay_alu instid0(VALU_DEP_2)
	v_cmpx_lt_i32_e64 v27, v10
	s_cbranch_execz .LBB116_16
; %bb.18:                               ;   in Loop: Header=BB116_17 Depth=3
	s_delay_alu instid0(VALU_DEP_2) | instskip(SKIP_3) | instid1(VALU_DEP_2)
	v_add_nc_u64_e32 v[22:23], 1, v[20:21]
	v_add_nc_u64_e32 v[24:25], 4, v[24:25]
	s_and_not1_b32 s33, s33, exec_lo
	s_and_not1_b32 s31, s31, exec_lo
	v_cmp_ge_i32_e32 vcc_lo, v22, v28
	s_and_b32 s35, vcc_lo, exec_lo
	s_delay_alu instid0(SALU_CYCLE_1)
	s_or_b32 s33, s33, s35
	s_branch .LBB116_16
.LBB116_19:                             ;   in Loop: Header=BB116_14 Depth=2
	s_or_b32 exec_lo, exec_lo, s29
	v_lshl_add_u64 v[22:23], v[20:21], 3, s[18:19]
	s_xor_b32 s29, s30, -1
	s_delay_alu instid0(SALU_CYCLE_1) | instskip(NEXT) | instid1(SALU_CYCLE_1)
	s_and_saveexec_b32 s30, s29
	s_xor_b32 s29, exec_lo, s30
	s_cbranch_execz .LBB116_21
; %bb.20:                               ;   in Loop: Header=BB116_14 Depth=2
	global_load_b64 v[14:15], v[22:23], off
                                        ; implicit-def: $vgpr22_vgpr23
	s_wait_loadcnt 0x0
	global_store_b64 v[16:17], v[14:15], off
	global_store_b32 v[18:19], v27, off
                                        ; implicit-def: $vgpr16_vgpr17
                                        ; implicit-def: $vgpr18_vgpr19
                                        ; implicit-def: $vgpr14_vgpr15
.LBB116_21:                             ;   in Loop: Header=BB116_14 Depth=2
	s_wait_xcnt 0x0
	s_and_not1_saveexec_b32 s29, s29
	s_cbranch_execz .LBB116_12
; %bb.22:                               ;   in Loop: Header=BB116_14 Depth=2
	global_load_b64 v[22:23], v[22:23], off
	v_min_i32_e32 v26, v27, v26
	global_store_b32 v[18:19], v27, off
	s_wait_loadcnt 0x0
	global_store_b64 v[16:17], v[22:23], off
	global_store_b32 v[14:15], v20, off
	s_branch .LBB116_12
.LBB116_23:                             ;   in Loop: Header=BB116_10 Depth=1
	ds_bpermute_b32 v10, v1, v26
	s_wait_dscnt 0x0
	v_min_i32_e32 v10, v10, v26
	ds_bpermute_b32 v14, v30, v10
	s_wait_dscnt 0x0
	v_min_i32_e32 v10, v14, v10
	;; [unrolled: 3-line block ×5, first 2 shown]
	s_delay_alu instid0(VALU_DEP_1) | instskip(SKIP_1) | instid1(SALU_CYCLE_1)
	v_cmp_gt_i32_e32 vcc_lo, s6, v14
	s_and_b32 s27, s0, vcc_lo
	s_and_saveexec_b32 s22, s27
	s_cbranch_execz .LBB116_27
; %bb.24:                               ;   in Loop: Header=BB116_10 Depth=1
	v_sub_nc_u32_e32 v10, 0, v14
	s_mov_b32 s27, exec_lo
	s_delay_alu instid0(VALU_DEP_1) | instskip(NEXT) | instid1(VALU_DEP_1)
	v_max_i32_e32 v10, v14, v10
	v_mul_u64_e32 v[16:17], s[10:11], v[10:11]
	s_delay_alu instid0(VALU_DEP_1) | instskip(NEXT) | instid1(VALU_DEP_1)
	v_mul_lo_u32 v15, v17, s24
	v_dual_sub_nc_u32 v10, v10, v15 :: v_dual_add_nc_u32 v15, 1, v17
	s_delay_alu instid0(VALU_DEP_1) | instskip(NEXT) | instid1(VALU_DEP_2)
	v_cmp_le_u32_e32 vcc_lo, s24, v10
	v_dual_cndmask_b32 v15, v17, v15, vcc_lo :: v_dual_ashrrev_i32 v17, 31, v14
	v_subrev_nc_u32_e32 v16, s24, v10
	s_delay_alu instid0(VALU_DEP_1) | instskip(NEXT) | instid1(VALU_DEP_1)
	v_dual_cndmask_b32 v10, v10, v16, vcc_lo :: v_dual_add_nc_u32 v16, 1, v15
	v_cmp_le_u32_e32 vcc_lo, s24, v10
	s_delay_alu instid0(VALU_DEP_2) | instskip(NEXT) | instid1(VALU_DEP_1)
	v_dual_cndmask_b32 v10, v15, v16, vcc_lo :: v_dual_bitop2_b32 v17, s5, v17 bitop3:0x14
	v_xor_b32_e32 v10, v10, v17
	s_delay_alu instid0(VALU_DEP_1) | instskip(NEXT) | instid1(VALU_DEP_1)
	v_sub_nc_u32_e32 v10, v10, v17
	v_cmpx_ge_i32_e64 v10, v36
	s_cbranch_execz .LBB116_26
; %bb.25:                               ;   in Loop: Header=BB116_10 Depth=1
	v_dual_add_nc_u32 v15, 1, v37 :: v_dual_add_nc_u32 v36, 1, v10
	v_dual_add_nc_u32 v16, s7, v37 :: v_dual_add_nc_u32 v10, s15, v10
	s_delay_alu instid0(VALU_DEP_2)
	v_mov_b32_e32 v37, v15
	global_store_b32 v16, v10, s[2:3] scale_offset
.LBB116_26:                             ;   in Loop: Header=BB116_10 Depth=1
	s_wait_xcnt 0x0
	s_or_b32 exec_lo, exec_lo, s27
.LBB116_27:                             ;   in Loop: Header=BB116_10 Depth=1
	s_delay_alu instid0(SALU_CYCLE_1)
	s_or_b32 exec_lo, exec_lo, s22
	ds_bpermute_b32 v38, v34, v14
	ds_bpermute_b32 v37, v34, v37
	s_and_not1_b32 vcc_lo, exec_lo, s28
	s_cbranch_vccnz .LBB116_9
; %bb.28:                               ;   in Loop: Header=BB116_10 Depth=1
	s_wait_dscnt 0x0
	v_dual_sub_nc_u32 v10, 0, v38 :: v_dual_add_nc_u32 v16, s25, v37
	s_mov_b32 s22, s13
	v_dual_mov_b32 v18, v0 :: v_dual_mov_b32 v22, v35
	s_delay_alu instid0(VALU_DEP_2) | instskip(NEXT) | instid1(VALU_DEP_1)
	v_dual_ashrrev_i32 v17, 31, v16 :: v_dual_max_i32 v10, v38, v10
	v_mul_u64_e32 v[14:15], s[10:11], v[10:11]
	s_delay_alu instid0(VALU_DEP_2) | instskip(NEXT) | instid1(VALU_DEP_2)
	v_mul_u64_e32 v[20:21], s[8:9], v[16:17]
	v_mul_lo_u32 v14, v15, s24
	s_delay_alu instid0(VALU_DEP_2) | instskip(NEXT) | instid1(VALU_DEP_2)
	v_lshl_add_u64 v[20:21], v[20:21], 3, s[16:17]
	v_dual_sub_nc_u32 v10, v10, v14 :: v_dual_add_nc_u32 v14, 1, v15
	s_delay_alu instid0(VALU_DEP_1) | instskip(SKIP_1) | instid1(VALU_DEP_2)
	v_subrev_nc_u32_e32 v16, s24, v10
	v_cmp_le_u32_e32 vcc_lo, s24, v10
	v_dual_cndmask_b32 v14, v15, v14, vcc_lo :: v_dual_cndmask_b32 v10, v10, v16, vcc_lo
	s_delay_alu instid0(VALU_DEP_1) | instskip(NEXT) | instid1(VALU_DEP_2)
	v_add_nc_u32_e32 v16, 1, v14
	v_cmp_le_u32_e32 vcc_lo, s24, v10
	s_delay_alu instid0(VALU_DEP_2) | instskip(NEXT) | instid1(VALU_DEP_1)
	v_dual_cndmask_b32 v10, v14, v16 :: v_dual_ashrrev_i32 v15, 31, v38
	v_xor_b32_e32 v19, s5, v15
	v_mov_b64_e32 v[14:15], v[8:9]
	v_mov_b64_e32 v[16:17], v[6:7]
	s_delay_alu instid0(VALU_DEP_3) | instskip(NEXT) | instid1(VALU_DEP_1)
	v_xor_b32_e32 v10, v10, v19
	v_sub_nc_u32_e32 v39, v10, v19
	s_branch .LBB116_31
.LBB116_29:                             ;   in Loop: Header=BB116_31 Depth=2
	s_delay_alu instid0(VALU_DEP_1) | instskip(NEXT) | instid1(VALU_DEP_1)
	v_lshl_add_u64 v[26:27], v[26:27], 3, v[20:21]
	v_lshl_add_u64 v[26:27], v[28:29], 3, v[26:27]
	s_wait_loadcnt 0x0
	global_store_b64 v[26:27], v[24:25], off
.LBB116_30:                             ;   in Loop: Header=BB116_31 Depth=2
	s_wait_xcnt 0x0
	s_or_b32 exec_lo, exec_lo, s27
	v_add_nc_u64_e32 v[16:17], 4, v[16:17]
	v_add_nc_u64_e32 v[14:15], 8, v[14:15]
	v_add_nc_u32_e32 v22, s4, v22
	v_add_nc_u32_e32 v18, 32, v18
	s_add_co_i32 s22, s22, -1
	s_delay_alu instid0(SALU_CYCLE_1)
	s_cmp_eq_u32 s22, 0
	s_cbranch_scc1 .LBB116_9
.LBB116_31:                             ;   Parent Loop BB116_10 Depth=1
                                        ; =>  This Inner Loop Header: Depth=2
	global_load_b32 v19, v[16:17], off
	s_mov_b32 s27, exec_lo
	s_wait_loadcnt 0x0
	v_cmpx_gt_i32_e64 s6, v19
	s_cbranch_execz .LBB116_30
; %bb.32:                               ;   in Loop: Header=BB116_31 Depth=2
	v_sub_nc_u32_e32 v10, 0, v19
	s_delay_alu instid0(VALU_DEP_1) | instskip(NEXT) | instid1(VALU_DEP_1)
	v_max_i32_e32 v10, v19, v10
	v_mul_u64_e32 v[24:25], s[10:11], v[10:11]
	s_delay_alu instid0(VALU_DEP_1) | instskip(NEXT) | instid1(VALU_DEP_1)
	v_mul_lo_u32 v23, v25, s24
	v_dual_add_nc_u32 v24, 1, v25 :: v_dual_sub_nc_u32 v23, v10, v23
	s_delay_alu instid0(VALU_DEP_1) | instskip(NEXT) | instid1(VALU_DEP_2)
	v_cmp_le_u32_e32 vcc_lo, s24, v23
	v_cndmask_b32_e32 v24, v25, v24, vcc_lo
	s_delay_alu instid0(VALU_DEP_1) | instskip(SKIP_1) | instid1(VALU_DEP_1)
	v_add_nc_u32_e32 v25, 1, v24
	v_subrev_nc_u32_e32 v26, s24, v23
	v_dual_cndmask_b32 v23, v23, v26 :: v_dual_ashrrev_i32 v40, 31, v19
	s_delay_alu instid0(VALU_DEP_1) | instskip(NEXT) | instid1(VALU_DEP_2)
	v_cmp_le_u32_e32 vcc_lo, s24, v23
	v_dual_cndmask_b32 v23, v24, v25, vcc_lo :: v_dual_bitop2_b32 v26, s5, v40 bitop3:0x14
	s_delay_alu instid0(VALU_DEP_1) | instskip(NEXT) | instid1(VALU_DEP_1)
	v_xor_b32_e32 v23, v23, v26
	v_sub_nc_u32_e32 v23, v23, v26
	s_delay_alu instid0(VALU_DEP_1)
	v_cmp_eq_u32_e32 vcc_lo, v23, v39
	s_and_b32 exec_lo, exec_lo, vcc_lo
	s_cbranch_execz .LBB116_30
; %bb.33:                               ;   in Loop: Header=BB116_31 Depth=2
	global_load_b64 v[24:25], v[14:15], off
	s_and_b32 vcc_lo, exec_lo, s1
	s_cbranch_vccz .LBB116_35
; %bb.34:                               ;   in Loop: Header=BB116_31 Depth=2
	v_mul_lo_u32 v23, v39, s12
	s_delay_alu instid0(VALU_DEP_1) | instskip(NEXT) | instid1(VALU_DEP_1)
	v_sub_nc_u32_e32 v19, v19, v23
	v_mul_lo_u32 v26, v19, s12
	v_mov_b32_e32 v19, v11
	s_delay_alu instid0(VALU_DEP_1) | instskip(NEXT) | instid1(VALU_DEP_3)
	v_mov_b64_e32 v[28:29], v[18:19]
	v_ashrrev_i32_e32 v27, 31, v26
	s_cbranch_execnz .LBB116_29
	s_branch .LBB116_36
.LBB116_35:                             ;   in Loop: Header=BB116_31 Depth=2
	v_mov_b32_e32 v23, v11
                                        ; implicit-def: $vgpr28_vgpr29
	s_delay_alu instid0(VALU_DEP_1)
	v_mov_b64_e32 v[26:27], v[22:23]
.LBB116_36:                             ;   in Loop: Header=BB116_31 Depth=2
	v_mul_u64_e32 v[28:29], s[10:11], v[10:11]
	s_delay_alu instid0(VALU_DEP_1) | instskip(NEXT) | instid1(VALU_DEP_1)
	v_mul_lo_u32 v19, v29, s24
	v_sub_nc_u32_e32 v10, v10, v19
	s_delay_alu instid0(VALU_DEP_1) | instskip(SKIP_1) | instid1(VALU_DEP_2)
	v_subrev_nc_u32_e32 v19, s24, v10
	v_cmp_le_u32_e32 vcc_lo, s24, v10
	v_cndmask_b32_e32 v10, v10, v19, vcc_lo
	s_delay_alu instid0(VALU_DEP_1) | instskip(SKIP_1) | instid1(VALU_DEP_2)
	v_subrev_nc_u32_e32 v19, s24, v10
	v_cmp_le_u32_e32 vcc_lo, s24, v10
	v_cndmask_b32_e32 v10, v10, v19, vcc_lo
	s_delay_alu instid0(VALU_DEP_1) | instskip(NEXT) | instid1(VALU_DEP_1)
	v_xor_b32_e32 v10, v10, v40
	v_sub_nc_u32_e32 v28, v10, v40
	s_delay_alu instid0(VALU_DEP_1)
	v_ashrrev_i32_e32 v29, 31, v28
	s_branch .LBB116_29
.LBB116_37:
	s_endpgm
	.section	.rodata,"a",@progbits
	.p2align	6, 0x0
	.amdhsa_kernel _ZN9rocsparseL21csr2bsr_65_inf_kernelILj32EdiiEEv20rocsparse_direction_T2_S2_S2_S2_S2_S2_21rocsparse_index_base_PKT0_PKT1_PKS2_S3_PS4_PS7_PS2_SD_SE_SC_
		.amdhsa_group_segment_fixed_size 0
		.amdhsa_private_segment_fixed_size 0
		.amdhsa_kernarg_size 112
		.amdhsa_user_sgpr_count 2
		.amdhsa_user_sgpr_dispatch_ptr 0
		.amdhsa_user_sgpr_queue_ptr 0
		.amdhsa_user_sgpr_kernarg_segment_ptr 1
		.amdhsa_user_sgpr_dispatch_id 0
		.amdhsa_user_sgpr_kernarg_preload_length 0
		.amdhsa_user_sgpr_kernarg_preload_offset 0
		.amdhsa_user_sgpr_private_segment_size 0
		.amdhsa_wavefront_size32 1
		.amdhsa_uses_dynamic_stack 0
		.amdhsa_enable_private_segment 0
		.amdhsa_system_sgpr_workgroup_id_x 1
		.amdhsa_system_sgpr_workgroup_id_y 0
		.amdhsa_system_sgpr_workgroup_id_z 0
		.amdhsa_system_sgpr_workgroup_info 0
		.amdhsa_system_vgpr_workitem_id 0
		.amdhsa_next_free_vgpr 41
		.amdhsa_next_free_sgpr 36
		.amdhsa_named_barrier_count 0
		.amdhsa_reserve_vcc 1
		.amdhsa_float_round_mode_32 0
		.amdhsa_float_round_mode_16_64 0
		.amdhsa_float_denorm_mode_32 3
		.amdhsa_float_denorm_mode_16_64 3
		.amdhsa_fp16_overflow 0
		.amdhsa_memory_ordered 1
		.amdhsa_forward_progress 1
		.amdhsa_inst_pref_size 17
		.amdhsa_round_robin_scheduling 0
		.amdhsa_exception_fp_ieee_invalid_op 0
		.amdhsa_exception_fp_denorm_src 0
		.amdhsa_exception_fp_ieee_div_zero 0
		.amdhsa_exception_fp_ieee_overflow 0
		.amdhsa_exception_fp_ieee_underflow 0
		.amdhsa_exception_fp_ieee_inexact 0
		.amdhsa_exception_int_div_zero 0
	.end_amdhsa_kernel
	.section	.text._ZN9rocsparseL21csr2bsr_65_inf_kernelILj32EdiiEEv20rocsparse_direction_T2_S2_S2_S2_S2_S2_21rocsparse_index_base_PKT0_PKT1_PKS2_S3_PS4_PS7_PS2_SD_SE_SC_,"axG",@progbits,_ZN9rocsparseL21csr2bsr_65_inf_kernelILj32EdiiEEv20rocsparse_direction_T2_S2_S2_S2_S2_S2_21rocsparse_index_base_PKT0_PKT1_PKS2_S3_PS4_PS7_PS2_SD_SE_SC_,comdat
.Lfunc_end116:
	.size	_ZN9rocsparseL21csr2bsr_65_inf_kernelILj32EdiiEEv20rocsparse_direction_T2_S2_S2_S2_S2_S2_21rocsparse_index_base_PKT0_PKT1_PKS2_S3_PS4_PS7_PS2_SD_SE_SC_, .Lfunc_end116-_ZN9rocsparseL21csr2bsr_65_inf_kernelILj32EdiiEEv20rocsparse_direction_T2_S2_S2_S2_S2_S2_21rocsparse_index_base_PKT0_PKT1_PKS2_S3_PS4_PS7_PS2_SD_SE_SC_
                                        ; -- End function
	.set _ZN9rocsparseL21csr2bsr_65_inf_kernelILj32EdiiEEv20rocsparse_direction_T2_S2_S2_S2_S2_S2_21rocsparse_index_base_PKT0_PKT1_PKS2_S3_PS4_PS7_PS2_SD_SE_SC_.num_vgpr, 41
	.set _ZN9rocsparseL21csr2bsr_65_inf_kernelILj32EdiiEEv20rocsparse_direction_T2_S2_S2_S2_S2_S2_21rocsparse_index_base_PKT0_PKT1_PKS2_S3_PS4_PS7_PS2_SD_SE_SC_.num_agpr, 0
	.set _ZN9rocsparseL21csr2bsr_65_inf_kernelILj32EdiiEEv20rocsparse_direction_T2_S2_S2_S2_S2_S2_21rocsparse_index_base_PKT0_PKT1_PKS2_S3_PS4_PS7_PS2_SD_SE_SC_.numbered_sgpr, 36
	.set _ZN9rocsparseL21csr2bsr_65_inf_kernelILj32EdiiEEv20rocsparse_direction_T2_S2_S2_S2_S2_S2_21rocsparse_index_base_PKT0_PKT1_PKS2_S3_PS4_PS7_PS2_SD_SE_SC_.num_named_barrier, 0
	.set _ZN9rocsparseL21csr2bsr_65_inf_kernelILj32EdiiEEv20rocsparse_direction_T2_S2_S2_S2_S2_S2_21rocsparse_index_base_PKT0_PKT1_PKS2_S3_PS4_PS7_PS2_SD_SE_SC_.private_seg_size, 0
	.set _ZN9rocsparseL21csr2bsr_65_inf_kernelILj32EdiiEEv20rocsparse_direction_T2_S2_S2_S2_S2_S2_21rocsparse_index_base_PKT0_PKT1_PKS2_S3_PS4_PS7_PS2_SD_SE_SC_.uses_vcc, 1
	.set _ZN9rocsparseL21csr2bsr_65_inf_kernelILj32EdiiEEv20rocsparse_direction_T2_S2_S2_S2_S2_S2_21rocsparse_index_base_PKT0_PKT1_PKS2_S3_PS4_PS7_PS2_SD_SE_SC_.uses_flat_scratch, 0
	.set _ZN9rocsparseL21csr2bsr_65_inf_kernelILj32EdiiEEv20rocsparse_direction_T2_S2_S2_S2_S2_S2_21rocsparse_index_base_PKT0_PKT1_PKS2_S3_PS4_PS7_PS2_SD_SE_SC_.has_dyn_sized_stack, 0
	.set _ZN9rocsparseL21csr2bsr_65_inf_kernelILj32EdiiEEv20rocsparse_direction_T2_S2_S2_S2_S2_S2_21rocsparse_index_base_PKT0_PKT1_PKS2_S3_PS4_PS7_PS2_SD_SE_SC_.has_recursion, 0
	.set _ZN9rocsparseL21csr2bsr_65_inf_kernelILj32EdiiEEv20rocsparse_direction_T2_S2_S2_S2_S2_S2_21rocsparse_index_base_PKT0_PKT1_PKS2_S3_PS4_PS7_PS2_SD_SE_SC_.has_indirect_call, 0
	.section	.AMDGPU.csdata,"",@progbits
; Kernel info:
; codeLenInByte = 2132
; TotalNumSgprs: 38
; NumVgprs: 41
; ScratchSize: 0
; MemoryBound: 0
; FloatMode: 240
; IeeeMode: 1
; LDSByteSize: 0 bytes/workgroup (compile time only)
; SGPRBlocks: 0
; VGPRBlocks: 2
; NumSGPRsForWavesPerEU: 38
; NumVGPRsForWavesPerEU: 41
; NamedBarCnt: 0
; Occupancy: 16
; WaveLimiterHint : 0
; COMPUTE_PGM_RSRC2:SCRATCH_EN: 0
; COMPUTE_PGM_RSRC2:USER_SGPR: 2
; COMPUTE_PGM_RSRC2:TRAP_HANDLER: 0
; COMPUTE_PGM_RSRC2:TGID_X_EN: 1
; COMPUTE_PGM_RSRC2:TGID_Y_EN: 0
; COMPUTE_PGM_RSRC2:TGID_Z_EN: 0
; COMPUTE_PGM_RSRC2:TIDIG_COMP_CNT: 0
	.section	.text._ZN9rocsparseL35csr2bsr_block_dim_equals_one_kernelILj256EdliEEvT2_S1_S1_S1_21rocsparse_index_base_PKT0_PKT1_PKS1_S2_PS3_PS6_PS1_,"axG",@progbits,_ZN9rocsparseL35csr2bsr_block_dim_equals_one_kernelILj256EdliEEvT2_S1_S1_S1_21rocsparse_index_base_PKT0_PKT1_PKS1_S2_PS3_PS6_PS1_,comdat
	.globl	_ZN9rocsparseL35csr2bsr_block_dim_equals_one_kernelILj256EdliEEvT2_S1_S1_S1_21rocsparse_index_base_PKT0_PKT1_PKS1_S2_PS3_PS6_PS1_ ; -- Begin function _ZN9rocsparseL35csr2bsr_block_dim_equals_one_kernelILj256EdliEEvT2_S1_S1_S1_21rocsparse_index_base_PKT0_PKT1_PKS1_S2_PS3_PS6_PS1_
	.p2align	8
	.type	_ZN9rocsparseL35csr2bsr_block_dim_equals_one_kernelILj256EdliEEvT2_S1_S1_S1_21rocsparse_index_base_PKT0_PKT1_PKS1_S2_PS3_PS6_PS1_,@function
_ZN9rocsparseL35csr2bsr_block_dim_equals_one_kernelILj256EdliEEvT2_S1_S1_S1_21rocsparse_index_base_PKT0_PKT1_PKS1_S2_PS3_PS6_PS1_: ; @_ZN9rocsparseL35csr2bsr_block_dim_equals_one_kernelILj256EdliEEvT2_S1_S1_S1_21rocsparse_index_base_PKT0_PKT1_PKS1_S2_PS3_PS6_PS1_
; %bb.0:
	s_clause 0x1
	s_load_b32 s2, s[0:1], 0x0
	s_load_b128 s[4:7], s[0:1], 0x18
	s_bfe_u32 s3, ttmp6, 0x4000c
	s_and_b32 s8, ttmp6, 15
	s_add_co_i32 s3, s3, 1
	s_getreg_b32 s9, hwreg(HW_REG_IB_STS2, 6, 4)
	s_mul_i32 s3, ttmp9, s3
	s_delay_alu instid0(SALU_CYCLE_1)
	s_add_co_i32 s8, s8, s3
	s_wait_kmcnt 0x0
	s_ashr_i32 s3, s2, 31
	s_cmp_eq_u32 s9, 0
	s_cselect_b32 s12, ttmp9, s8
	s_lshl_b64 s[2:3], s[2:3], 3
	v_lshl_or_b32 v0, s12, 8, v0
	s_add_nc_u64 s[2:3], s[6:7], s[2:3]
	s_clause 0x1
	s_load_b64 s[8:9], s[2:3], 0x0
	s_load_b64 s[10:11], s[6:7], 0x0
	s_wait_xcnt 0x0
	s_mov_b32 s7, 0
	v_ashrrev_i32_e32 v1, 31, v0
	s_mov_b32 s6, exec_lo
	s_wait_kmcnt 0x0
	s_sub_nc_u64 s[2:3], s[8:9], s[10:11]
	s_delay_alu instid0(VALU_DEP_1) | instid1(SALU_CYCLE_1)
	v_cmpx_gt_i64_e64 s[2:3], v[0:1]
	s_cbranch_execz .LBB117_3
; %bb.1:
	s_clause 0x3
	s_load_b96 s[8:10], s[0:1], 0x48
	s_load_b96 s[12:14], s[0:1], 0x28
	s_load_b64 s[16:17], s[0:1], 0x38
	s_load_b32 s11, s[0:1], 0x10
	v_lshlrev_b64_e32 v[2:3], 3, v[0:1]
	v_lshlrev_b64_e32 v[4:5], 2, v[0:1]
	s_mov_b32 s15, s7
	s_wait_kmcnt 0x0
	s_lshl_b32 s6, s10, 8
	s_delay_alu instid0(SALU_CYCLE_1)
	s_lshl_b64 s[0:1], s[6:7], 3
	s_sub_co_i32 s14, s14, s11
	s_lshl_b64 s[10:11], s[6:7], 2
.LBB117_2:                              ; =>This Inner Loop Header: Depth=1
	v_add_nc_u64_e32 v[6:7], s[12:13], v[4:5]
	v_add_nc_u64_e32 v[8:9], s[4:5], v[2:3]
	;; [unrolled: 1-line block ×3, first 2 shown]
	global_load_b32 v12, v[6:7], off
	global_load_b64 v[10:11], v[8:9], off
	s_wait_xcnt 0x1
	v_add_nc_u64_e32 v[6:7], s[8:9], v[4:5]
	v_cmp_le_i64_e32 vcc_lo, s[2:3], v[0:1]
	s_wait_xcnt 0x0
	v_add_nc_u64_e32 v[8:9], s[16:17], v[2:3]
	v_add_nc_u64_e32 v[2:3], s[0:1], v[2:3]
	v_add_nc_u64_e32 v[4:5], s[10:11], v[4:5]
	s_or_b32 s15, vcc_lo, s15
	s_wait_loadcnt 0x1
	v_add_nc_u32_e32 v12, s14, v12
	s_wait_loadcnt 0x0
	global_store_b64 v[8:9], v[10:11], off
	global_store_b32 v[6:7], v12, off
	s_wait_xcnt 0x0
	s_and_not1_b32 exec_lo, exec_lo, s15
	s_cbranch_execnz .LBB117_2
.LBB117_3:
	s_endpgm
	.section	.rodata,"a",@progbits
	.p2align	6, 0x0
	.amdhsa_kernel _ZN9rocsparseL35csr2bsr_block_dim_equals_one_kernelILj256EdliEEvT2_S1_S1_S1_21rocsparse_index_base_PKT0_PKT1_PKS1_S2_PS3_PS6_PS1_
		.amdhsa_group_segment_fixed_size 0
		.amdhsa_private_segment_fixed_size 0
		.amdhsa_kernarg_size 336
		.amdhsa_user_sgpr_count 2
		.amdhsa_user_sgpr_dispatch_ptr 0
		.amdhsa_user_sgpr_queue_ptr 0
		.amdhsa_user_sgpr_kernarg_segment_ptr 1
		.amdhsa_user_sgpr_dispatch_id 0
		.amdhsa_user_sgpr_kernarg_preload_length 0
		.amdhsa_user_sgpr_kernarg_preload_offset 0
		.amdhsa_user_sgpr_private_segment_size 0
		.amdhsa_wavefront_size32 1
		.amdhsa_uses_dynamic_stack 0
		.amdhsa_enable_private_segment 0
		.amdhsa_system_sgpr_workgroup_id_x 1
		.amdhsa_system_sgpr_workgroup_id_y 0
		.amdhsa_system_sgpr_workgroup_id_z 0
		.amdhsa_system_sgpr_workgroup_info 0
		.amdhsa_system_vgpr_workitem_id 0
		.amdhsa_next_free_vgpr 13
		.amdhsa_next_free_sgpr 18
		.amdhsa_named_barrier_count 0
		.amdhsa_reserve_vcc 1
		.amdhsa_float_round_mode_32 0
		.amdhsa_float_round_mode_16_64 0
		.amdhsa_float_denorm_mode_32 3
		.amdhsa_float_denorm_mode_16_64 3
		.amdhsa_fp16_overflow 0
		.amdhsa_memory_ordered 1
		.amdhsa_forward_progress 1
		.amdhsa_inst_pref_size 3
		.amdhsa_round_robin_scheduling 0
		.amdhsa_exception_fp_ieee_invalid_op 0
		.amdhsa_exception_fp_denorm_src 0
		.amdhsa_exception_fp_ieee_div_zero 0
		.amdhsa_exception_fp_ieee_overflow 0
		.amdhsa_exception_fp_ieee_underflow 0
		.amdhsa_exception_fp_ieee_inexact 0
		.amdhsa_exception_int_div_zero 0
	.end_amdhsa_kernel
	.section	.text._ZN9rocsparseL35csr2bsr_block_dim_equals_one_kernelILj256EdliEEvT2_S1_S1_S1_21rocsparse_index_base_PKT0_PKT1_PKS1_S2_PS3_PS6_PS1_,"axG",@progbits,_ZN9rocsparseL35csr2bsr_block_dim_equals_one_kernelILj256EdliEEvT2_S1_S1_S1_21rocsparse_index_base_PKT0_PKT1_PKS1_S2_PS3_PS6_PS1_,comdat
.Lfunc_end117:
	.size	_ZN9rocsparseL35csr2bsr_block_dim_equals_one_kernelILj256EdliEEvT2_S1_S1_S1_21rocsparse_index_base_PKT0_PKT1_PKS1_S2_PS3_PS6_PS1_, .Lfunc_end117-_ZN9rocsparseL35csr2bsr_block_dim_equals_one_kernelILj256EdliEEvT2_S1_S1_S1_21rocsparse_index_base_PKT0_PKT1_PKS1_S2_PS3_PS6_PS1_
                                        ; -- End function
	.set _ZN9rocsparseL35csr2bsr_block_dim_equals_one_kernelILj256EdliEEvT2_S1_S1_S1_21rocsparse_index_base_PKT0_PKT1_PKS1_S2_PS3_PS6_PS1_.num_vgpr, 13
	.set _ZN9rocsparseL35csr2bsr_block_dim_equals_one_kernelILj256EdliEEvT2_S1_S1_S1_21rocsparse_index_base_PKT0_PKT1_PKS1_S2_PS3_PS6_PS1_.num_agpr, 0
	.set _ZN9rocsparseL35csr2bsr_block_dim_equals_one_kernelILj256EdliEEvT2_S1_S1_S1_21rocsparse_index_base_PKT0_PKT1_PKS1_S2_PS3_PS6_PS1_.numbered_sgpr, 18
	.set _ZN9rocsparseL35csr2bsr_block_dim_equals_one_kernelILj256EdliEEvT2_S1_S1_S1_21rocsparse_index_base_PKT0_PKT1_PKS1_S2_PS3_PS6_PS1_.num_named_barrier, 0
	.set _ZN9rocsparseL35csr2bsr_block_dim_equals_one_kernelILj256EdliEEvT2_S1_S1_S1_21rocsparse_index_base_PKT0_PKT1_PKS1_S2_PS3_PS6_PS1_.private_seg_size, 0
	.set _ZN9rocsparseL35csr2bsr_block_dim_equals_one_kernelILj256EdliEEvT2_S1_S1_S1_21rocsparse_index_base_PKT0_PKT1_PKS1_S2_PS3_PS6_PS1_.uses_vcc, 1
	.set _ZN9rocsparseL35csr2bsr_block_dim_equals_one_kernelILj256EdliEEvT2_S1_S1_S1_21rocsparse_index_base_PKT0_PKT1_PKS1_S2_PS3_PS6_PS1_.uses_flat_scratch, 0
	.set _ZN9rocsparseL35csr2bsr_block_dim_equals_one_kernelILj256EdliEEvT2_S1_S1_S1_21rocsparse_index_base_PKT0_PKT1_PKS1_S2_PS3_PS6_PS1_.has_dyn_sized_stack, 0
	.set _ZN9rocsparseL35csr2bsr_block_dim_equals_one_kernelILj256EdliEEvT2_S1_S1_S1_21rocsparse_index_base_PKT0_PKT1_PKS1_S2_PS3_PS6_PS1_.has_recursion, 0
	.set _ZN9rocsparseL35csr2bsr_block_dim_equals_one_kernelILj256EdliEEvT2_S1_S1_S1_21rocsparse_index_base_PKT0_PKT1_PKS1_S2_PS3_PS6_PS1_.has_indirect_call, 0
	.section	.AMDGPU.csdata,"",@progbits
; Kernel info:
; codeLenInByte = 336
; TotalNumSgprs: 20
; NumVgprs: 13
; ScratchSize: 0
; MemoryBound: 0
; FloatMode: 240
; IeeeMode: 1
; LDSByteSize: 0 bytes/workgroup (compile time only)
; SGPRBlocks: 0
; VGPRBlocks: 0
; NumSGPRsForWavesPerEU: 20
; NumVGPRsForWavesPerEU: 13
; NamedBarCnt: 0
; Occupancy: 16
; WaveLimiterHint : 0
; COMPUTE_PGM_RSRC2:SCRATCH_EN: 0
; COMPUTE_PGM_RSRC2:USER_SGPR: 2
; COMPUTE_PGM_RSRC2:TRAP_HANDLER: 0
; COMPUTE_PGM_RSRC2:TGID_X_EN: 1
; COMPUTE_PGM_RSRC2:TGID_Y_EN: 0
; COMPUTE_PGM_RSRC2:TGID_Z_EN: 0
; COMPUTE_PGM_RSRC2:TIDIG_COMP_CNT: 0
	.section	.text._ZN9rocsparseL42csr2bsr_wavefront_per_row_multipass_kernelILj256ELj16ELj4EdliEEv20rocsparse_direction_T4_S2_S2_S2_S2_21rocsparse_index_base_PKT2_PKT3_PKS2_S3_PS4_PS7_PS2_,"axG",@progbits,_ZN9rocsparseL42csr2bsr_wavefront_per_row_multipass_kernelILj256ELj16ELj4EdliEEv20rocsparse_direction_T4_S2_S2_S2_S2_21rocsparse_index_base_PKT2_PKT3_PKS2_S3_PS4_PS7_PS2_,comdat
	.globl	_ZN9rocsparseL42csr2bsr_wavefront_per_row_multipass_kernelILj256ELj16ELj4EdliEEv20rocsparse_direction_T4_S2_S2_S2_S2_21rocsparse_index_base_PKT2_PKT3_PKS2_S3_PS4_PS7_PS2_ ; -- Begin function _ZN9rocsparseL42csr2bsr_wavefront_per_row_multipass_kernelILj256ELj16ELj4EdliEEv20rocsparse_direction_T4_S2_S2_S2_S2_21rocsparse_index_base_PKT2_PKT3_PKS2_S3_PS4_PS7_PS2_
	.p2align	8
	.type	_ZN9rocsparseL42csr2bsr_wavefront_per_row_multipass_kernelILj256ELj16ELj4EdliEEv20rocsparse_direction_T4_S2_S2_S2_S2_21rocsparse_index_base_PKT2_PKT3_PKS2_S3_PS4_PS7_PS2_,@function
_ZN9rocsparseL42csr2bsr_wavefront_per_row_multipass_kernelILj256ELj16ELj4EdliEEv20rocsparse_direction_T4_S2_S2_S2_S2_21rocsparse_index_base_PKT2_PKT3_PKS2_S3_PS4_PS7_PS2_: ; @_ZN9rocsparseL42csr2bsr_wavefront_per_row_multipass_kernelILj256ELj16ELj4EdliEEv20rocsparse_direction_T4_S2_S2_S2_S2_21rocsparse_index_base_PKT2_PKT3_PKS2_S3_PS4_PS7_PS2_
; %bb.0:
	s_clause 0x1
	s_load_b128 s[4:7], s[0:1], 0xc
	s_load_b64 s[14:15], s[0:1], 0x0
	s_bfe_u32 s2, ttmp6, 0x4000c
	s_and_b32 s3, ttmp6, 15
	s_add_co_i32 s2, s2, 1
	s_getreg_b32 s8, hwreg(HW_REG_IB_STS2, 6, 4)
	s_mul_i32 s2, ttmp9, s2
	v_lshrrev_b32_e32 v28, 4, v0
	s_add_co_i32 s3, s3, s2
	s_cmp_eq_u32 s8, 0
	v_bfe_u32 v7, v0, 2, 2
	s_cselect_b32 s2, ttmp9, s3
	s_load_b64 s[8:9], s[0:1], 0x28
	v_lshl_or_b32 v1, s2, 4, v28
	v_mov_b64_e32 v[2:3], 0
	v_mov_b64_e32 v[12:13], 0
	s_mov_b32 s3, 0
	s_wait_kmcnt 0x0
	v_mad_u32 v4, v1, s6, v7
	v_cmp_gt_i32_e32 vcc_lo, s6, v7
	s_delay_alu instid0(VALU_DEP_2) | instskip(SKIP_1) | instid1(SALU_CYCLE_1)
	v_cmp_gt_i32_e64 s2, s15, v4
	s_and_b32 s10, vcc_lo, s2
	s_and_saveexec_b32 s11, s10
	s_cbranch_execz .LBB118_2
; %bb.1:
	global_load_b64 v[8:9], v4, s[8:9] scale_offset
	s_mov_b32 s2, s7
	s_wait_loadcnt 0x0
	v_sub_nc_u64_e64 v[12:13], v[8:9], s[2:3]
.LBB118_2:
	s_or_b32 exec_lo, exec_lo, s11
	s_and_saveexec_b32 s2, s10
	s_cbranch_execz .LBB118_4
; %bb.3:
	global_load_b64 v[2:3], v4, s[8:9] offset:8 scale_offset
	s_wait_xcnt 0x0
	s_mov_b32 s9, 0
	s_mov_b32 s8, s7
	s_wait_loadcnt 0x0
	v_sub_nc_u64_e64 v[2:3], v[2:3], s[8:9]
.LBB118_4:
	s_or_b32 exec_lo, exec_lo, s2
	s_load_b32 s8, s[0:1], 0x38
	v_mov_b64_e32 v[4:5], 0
	s_mov_b32 s3, exec_lo
	v_cmpx_gt_i32_e64 s4, v1
	s_cbranch_execz .LBB118_6
; %bb.5:
	s_load_b64 s[10:11], s[0:1], 0x48
	s_mov_b32 s9, 0
	s_wait_kmcnt 0x0
	global_load_b64 v[4:5], v1, s[10:11] scale_offset
	s_wait_loadcnt 0x0
	v_sub_nc_u64_e64 v[4:5], v[4:5], s[8:9]
.LBB118_6:
	s_or_b32 exec_lo, exec_lo, s3
	s_cmp_lt_i32 s5, 1
	s_cbranch_scc1 .LBB118_24
; %bb.7:
	s_load_b64 s[16:17], s[0:1], 0x40
	v_dual_lshlrev_b32 v8, 5, v7 :: v_dual_bitop2_b32 v6, 3, v0 bitop3:0x40
	v_and_b32_e32 v1, 0xf0, v0
	v_mbcnt_lo_u32_b32 v16, -1, 0
	s_clause 0x2
	s_load_b64 s[2:3], s[0:1], 0x50
	s_load_b64 s[10:11], s[0:1], 0x20
	s_load_b64 s[12:13], s[0:1], 0x30
	v_mul_lo_u32 v0, s6, v6
	v_lshlrev_b32_e32 v10, 3, v6
	v_lshl_or_b32 v29, v1, 3, v8
	v_dual_mov_b32 v1, 0 :: v_dual_bitop2_b32 v8, 2, v16 bitop3:0x14
	v_xor_b32_e32 v11, 1, v16
	s_wait_xcnt 0x0
	v_cmp_gt_u32_e64 s0, s6, v6
	v_xor_b32_e32 v19, 8, v16
	v_cmp_gt_i32_e64 s1, 32, v8
	v_or_b32_e32 v30, v29, v10
	s_mov_b32 s15, 0
	v_lshlrev_b32_e32 v17, 2, v16
	s_mov_b32 s19, s15
	v_cndmask_b32_e64 v14, v16, v8, s1
	s_wait_kmcnt 0x0
	v_lshl_add_u64 v[8:9], v[0:1], 3, s[16:17]
	v_lshlrev_b32_e32 v0, 3, v7
	s_and_b32 s1, vcc_lo, s0
	s_cmp_lg_u32 s14, 0
	v_cmp_gt_i32_e32 vcc_lo, 32, v11
	s_cselect_b32 s4, -1, 0
	s_abs_i32 s9, s6
	v_add_nc_u64_e32 v[8:9], v[8:9], v[0:1]
	v_mul_lo_u32 v0, s6, v7
	s_cvt_f32_u32 s0, s9
	v_dual_cndmask_b32 v11, v16, v11, vcc_lo :: v_dual_mov_b32 v7, v1
	v_lshlrev_b32_e32 v31, 2, v14
	s_delay_alu instid0(SALU_CYCLE_1) | instskip(SKIP_1) | instid1(VALU_DEP_3)
	v_rcp_iflag_f32_e32 v18, s0
	v_cmp_gt_i32_e32 vcc_lo, 32, v19
	v_dual_lshlrev_b32 v32, 2, v11 :: v_dual_bitop2_b32 v33, 12, v17 bitop3:0x54
	v_mov_b32_e32 v11, v1
	s_mov_b32 s14, s6
	v_lshl_add_u64 v[14:15], v[0:1], 3, s[16:17]
	v_xor_b32_e32 v0, 4, v16
	v_readfirstlane_b32 s0, v18
	v_cndmask_b32_e32 v18, v16, v19, vcc_lo
	s_mul_u64 s[16:17], s[14:15], s[14:15]
	s_sub_co_i32 s14, 0, s9
	v_cmp_gt_i32_e32 vcc_lo, 32, v0
	s_mul_f32 s0, s0, 0x4f7ffffe
	v_add_nc_u64_e32 v[10:11], v[14:15], v[10:11]
	v_or_b32_e32 v36, 60, v17
	v_mov_b64_e32 v[14:15], 0
	v_cndmask_b32_e32 v0, v16, v0, vcc_lo
	s_cvt_u32_f32 s0, s0
	v_mov_b64_e32 v[16:17], 0
	v_dual_mov_b32 v37, 1 :: v_dual_lshlrev_b32 v34, 2, v18
	s_delay_alu instid0(VALU_DEP_3) | instskip(SKIP_3) | instid1(SALU_CYCLE_1)
	v_lshlrev_b32_e32 v35, 2, v0
	s_mul_i32 s14, s14, s0
	s_ashr_i32 s18, s6, 31
	s_mul_hi_u32 s14, s0, s14
	s_add_co_i32 s14, s0, s14
	s_branch .LBB118_10
.LBB118_8:                              ;   in Loop: Header=BB118_10 Depth=1
	s_wait_xcnt 0x0
	s_or_b32 exec_lo, exec_lo, s20
	s_wait_dscnt 0x0
	v_mov_b64_e32 v[18:19], 1
.LBB118_9:                              ;   in Loop: Header=BB118_10 Depth=1
	s_or_b32 exec_lo, exec_lo, s0
	ds_bpermute_b32 v0, v34, v38
	v_add_nc_u64_e32 v[4:5], v[18:19], v[4:5]
	s_wait_storecnt_dscnt 0x0
	v_min_i32_e32 v0, v0, v38
	ds_bpermute_b32 v16, v35, v0
	s_wait_dscnt 0x0
	v_min_i32_e32 v0, v16, v0
	ds_bpermute_b32 v16, v31, v0
	s_wait_dscnt 0x0
	;; [unrolled: 3-line block ×4, first 2 shown]
	v_cmp_le_i32_e32 vcc_lo, s5, v16
	v_ashrrev_i32_e32 v17, 31, v16
	s_or_b32 s19, vcc_lo, s19
	s_delay_alu instid0(SALU_CYCLE_1)
	s_and_not1_b32 exec_lo, exec_lo, s19
	s_cbranch_execz .LBB118_24
.LBB118_10:                             ; =>This Loop Header: Depth=1
                                        ;     Child Loop BB118_13 Depth 2
	v_add_nc_u64_e32 v[12:13], v[12:13], v[6:7]
	v_mov_b64_e32 v[22:23], v[2:3]
	v_mov_b32_e32 v38, s5
	s_mov_b32 s20, exec_lo
	ds_store_b8 v28, v1 offset:2048
	ds_store_b64 v30, v[14:15]
	s_wait_dscnt 0x0
	v_cmpx_lt_i64_e64 v[12:13], v[2:3]
	s_cbranch_execz .LBB118_18
; %bb.11:                               ;   in Loop: Header=BB118_10 Depth=1
	v_mov_b64_e32 v[22:23], v[2:3]
	v_lshl_add_u64 v[18:19], v[12:13], 3, s[10:11]
	v_lshl_add_u64 v[20:21], v[12:13], 2, s[12:13]
	v_mov_b32_e32 v38, s5
	s_mov_b32 s21, 0
	s_branch .LBB118_13
.LBB118_12:                             ;   in Loop: Header=BB118_13 Depth=2
	s_wait_xcnt 0x0
	s_or_b32 exec_lo, exec_lo, s0
	v_add_nc_u64_e32 v[12:13], 4, v[12:13]
	s_xor_b32 s22, vcc_lo, -1
	v_add_nc_u64_e32 v[18:19], 32, v[18:19]
	v_add_nc_u64_e32 v[20:21], 16, v[20:21]
	s_delay_alu instid0(VALU_DEP_3) | instskip(SKIP_1) | instid1(SALU_CYCLE_1)
	v_cmp_ge_i64_e64 s0, v[12:13], v[2:3]
	s_or_b32 s0, s22, s0
	s_and_b32 s0, exec_lo, s0
	s_delay_alu instid0(SALU_CYCLE_1) | instskip(NEXT) | instid1(SALU_CYCLE_1)
	s_or_b32 s21, s0, s21
	s_and_not1_b32 exec_lo, exec_lo, s21
	s_cbranch_execz .LBB118_17
.LBB118_13:                             ;   Parent Loop BB118_10 Depth=1
                                        ; =>  This Inner Loop Header: Depth=2
	global_load_b32 v0, v[20:21], off
	s_wait_loadcnt 0x0
	v_subrev_nc_u32_e32 v39, s7, v0
	s_delay_alu instid0(VALU_DEP_1) | instskip(NEXT) | instid1(VALU_DEP_1)
	v_sub_nc_u32_e32 v0, 0, v39
	v_max_i32_e32 v0, v39, v0
	s_delay_alu instid0(VALU_DEP_1) | instskip(NEXT) | instid1(VALU_DEP_1)
	v_mul_u64_e32 v[24:25], s[14:15], v[0:1]
	v_mul_lo_u32 v24, v25, s9
	s_delay_alu instid0(VALU_DEP_1) | instskip(NEXT) | instid1(VALU_DEP_1)
	v_dual_sub_nc_u32 v0, v0, v24 :: v_dual_add_nc_u32 v24, 1, v25
	v_cmp_le_u32_e32 vcc_lo, s9, v0
	s_delay_alu instid0(VALU_DEP_2) | instskip(SKIP_1) | instid1(VALU_DEP_1)
	v_cndmask_b32_e32 v24, v25, v24, vcc_lo
	v_subrev_nc_u32_e32 v26, s9, v0
	v_dual_cndmask_b32 v0, v0, v26 :: v_dual_ashrrev_i32 v25, 31, v39
	s_delay_alu instid0(VALU_DEP_3) | instskip(NEXT) | instid1(VALU_DEP_2)
	v_add_nc_u32_e32 v26, 1, v24
	v_cmp_le_u32_e32 vcc_lo, s9, v0
	s_delay_alu instid0(VALU_DEP_2) | instskip(SKIP_1) | instid1(VALU_DEP_2)
	v_dual_cndmask_b32 v0, v24, v26, vcc_lo :: v_dual_bitop2_b32 v25, s18, v25 bitop3:0x14
	v_mov_b64_e32 v[26:27], v[22:23]
	v_xor_b32_e32 v0, v0, v25
	s_delay_alu instid0(VALU_DEP_1) | instskip(NEXT) | instid1(VALU_DEP_1)
	v_sub_nc_u32_e32 v24, v0, v25
	v_ashrrev_i32_e32 v25, 31, v24
	s_delay_alu instid0(VALU_DEP_1) | instskip(SKIP_3) | instid1(SALU_CYCLE_1)
	v_cmp_ne_u64_e64 s0, v[16:17], v[24:25]
	v_cmp_eq_u64_e32 vcc_lo, v[16:17], v[24:25]
	s_wait_xcnt 0x0
	s_and_saveexec_b32 s22, s0
	s_xor_b32 s0, exec_lo, s22
; %bb.14:                               ;   in Loop: Header=BB118_13 Depth=2
	v_min_i32_e32 v38, v24, v38
                                        ; implicit-def: $vgpr24
                                        ; implicit-def: $vgpr39
                                        ; implicit-def: $vgpr26_vgpr27
; %bb.15:                               ;   in Loop: Header=BB118_13 Depth=2
	s_or_saveexec_b32 s0, s0
	v_mov_b64_e32 v[22:23], v[12:13]
	s_xor_b32 exec_lo, exec_lo, s0
	s_cbranch_execz .LBB118_12
; %bb.16:                               ;   in Loop: Header=BB118_13 Depth=2
	global_load_b64 v[40:41], v[18:19], off
	v_mul_lo_u32 v0, v24, s6
	v_mov_b64_e32 v[22:23], v[26:27]
	s_delay_alu instid0(VALU_DEP_2) | instskip(NEXT) | instid1(VALU_DEP_1)
	v_sub_nc_u32_e32 v0, v39, v0
	v_lshl_add_u32 v0, v0, 3, v29
	ds_store_b8 v28, v37 offset:2048
	s_wait_loadcnt 0x0
	ds_store_b64 v0, v[40:41]
	s_branch .LBB118_12
.LBB118_17:                             ;   in Loop: Header=BB118_10 Depth=1
	s_or_b32 exec_lo, exec_lo, s21
.LBB118_18:                             ;   in Loop: Header=BB118_10 Depth=1
	s_delay_alu instid0(SALU_CYCLE_1)
	s_or_b32 exec_lo, exec_lo, s20
	ds_bpermute_b32 v12, v31, v22
	ds_bpermute_b32 v13, v31, v23
	s_wait_dscnt 0x0
	ds_load_u8 v0, v28 offset:2048
	s_mov_b32 s0, exec_lo
	v_min_i64 v[12:13], v[12:13], v[22:23]
	s_wait_dscnt 0x0
	v_and_b32_e32 v0, 1, v0
	ds_bpermute_b32 v18, v32, v12
	ds_bpermute_b32 v19, v32, v13
	s_wait_dscnt 0x0
	v_min_i64 v[12:13], v[18:19], v[12:13]
	v_mov_b64_e32 v[18:19], 0
	ds_bpermute_b32 v12, v33, v12
	ds_bpermute_b32 v13, v33, v13
	v_cmpx_eq_u32_e32 1, v0
	s_cbranch_execz .LBB118_9
; %bb.19:                               ;   in Loop: Header=BB118_10 Depth=1
	v_add_nc_u32_e32 v0, s8, v16
	v_lshl_add_u64 v[16:17], v[4:5], 2, s[2:3]
	global_store_b32 v[16:17], v0, off
	s_wait_xcnt 0x0
	s_and_saveexec_b32 s20, s1
	s_cbranch_execz .LBB118_8
; %bb.20:                               ;   in Loop: Header=BB118_10 Depth=1
	v_mul_u64_e32 v[16:17], s[16:17], v[4:5]
	ds_load_b64 v[18:19], v30
	s_and_b32 vcc_lo, exec_lo, s4
	s_cbranch_vccz .LBB118_22
; %bb.21:                               ;   in Loop: Header=BB118_10 Depth=1
	v_lshl_add_u64 v[20:21], v[16:17], 3, v[8:9]
	s_wait_dscnt 0x0
	global_store_b64 v[20:21], v[18:19], off
	s_cbranch_execnz .LBB118_8
	s_branch .LBB118_23
.LBB118_22:                             ;   in Loop: Header=BB118_10 Depth=1
.LBB118_23:                             ;   in Loop: Header=BB118_10 Depth=1
	v_lshl_add_u64 v[16:17], v[16:17], 3, v[10:11]
	s_wait_dscnt 0x0
	global_store_b64 v[16:17], v[18:19], off
	s_branch .LBB118_8
.LBB118_24:
	s_endpgm
	.section	.rodata,"a",@progbits
	.p2align	6, 0x0
	.amdhsa_kernel _ZN9rocsparseL42csr2bsr_wavefront_per_row_multipass_kernelILj256ELj16ELj4EdliEEv20rocsparse_direction_T4_S2_S2_S2_S2_21rocsparse_index_base_PKT2_PKT3_PKS2_S3_PS4_PS7_PS2_
		.amdhsa_group_segment_fixed_size 2064
		.amdhsa_private_segment_fixed_size 0
		.amdhsa_kernarg_size 88
		.amdhsa_user_sgpr_count 2
		.amdhsa_user_sgpr_dispatch_ptr 0
		.amdhsa_user_sgpr_queue_ptr 0
		.amdhsa_user_sgpr_kernarg_segment_ptr 1
		.amdhsa_user_sgpr_dispatch_id 0
		.amdhsa_user_sgpr_kernarg_preload_length 0
		.amdhsa_user_sgpr_kernarg_preload_offset 0
		.amdhsa_user_sgpr_private_segment_size 0
		.amdhsa_wavefront_size32 1
		.amdhsa_uses_dynamic_stack 0
		.amdhsa_enable_private_segment 0
		.amdhsa_system_sgpr_workgroup_id_x 1
		.amdhsa_system_sgpr_workgroup_id_y 0
		.amdhsa_system_sgpr_workgroup_id_z 0
		.amdhsa_system_sgpr_workgroup_info 0
		.amdhsa_system_vgpr_workitem_id 0
		.amdhsa_next_free_vgpr 42
		.amdhsa_next_free_sgpr 23
		.amdhsa_named_barrier_count 0
		.amdhsa_reserve_vcc 1
		.amdhsa_float_round_mode_32 0
		.amdhsa_float_round_mode_16_64 0
		.amdhsa_float_denorm_mode_32 3
		.amdhsa_float_denorm_mode_16_64 3
		.amdhsa_fp16_overflow 0
		.amdhsa_memory_ordered 1
		.amdhsa_forward_progress 1
		.amdhsa_inst_pref_size 11
		.amdhsa_round_robin_scheduling 0
		.amdhsa_exception_fp_ieee_invalid_op 0
		.amdhsa_exception_fp_denorm_src 0
		.amdhsa_exception_fp_ieee_div_zero 0
		.amdhsa_exception_fp_ieee_overflow 0
		.amdhsa_exception_fp_ieee_underflow 0
		.amdhsa_exception_fp_ieee_inexact 0
		.amdhsa_exception_int_div_zero 0
	.end_amdhsa_kernel
	.section	.text._ZN9rocsparseL42csr2bsr_wavefront_per_row_multipass_kernelILj256ELj16ELj4EdliEEv20rocsparse_direction_T4_S2_S2_S2_S2_21rocsparse_index_base_PKT2_PKT3_PKS2_S3_PS4_PS7_PS2_,"axG",@progbits,_ZN9rocsparseL42csr2bsr_wavefront_per_row_multipass_kernelILj256ELj16ELj4EdliEEv20rocsparse_direction_T4_S2_S2_S2_S2_21rocsparse_index_base_PKT2_PKT3_PKS2_S3_PS4_PS7_PS2_,comdat
.Lfunc_end118:
	.size	_ZN9rocsparseL42csr2bsr_wavefront_per_row_multipass_kernelILj256ELj16ELj4EdliEEv20rocsparse_direction_T4_S2_S2_S2_S2_21rocsparse_index_base_PKT2_PKT3_PKS2_S3_PS4_PS7_PS2_, .Lfunc_end118-_ZN9rocsparseL42csr2bsr_wavefront_per_row_multipass_kernelILj256ELj16ELj4EdliEEv20rocsparse_direction_T4_S2_S2_S2_S2_21rocsparse_index_base_PKT2_PKT3_PKS2_S3_PS4_PS7_PS2_
                                        ; -- End function
	.set _ZN9rocsparseL42csr2bsr_wavefront_per_row_multipass_kernelILj256ELj16ELj4EdliEEv20rocsparse_direction_T4_S2_S2_S2_S2_21rocsparse_index_base_PKT2_PKT3_PKS2_S3_PS4_PS7_PS2_.num_vgpr, 42
	.set _ZN9rocsparseL42csr2bsr_wavefront_per_row_multipass_kernelILj256ELj16ELj4EdliEEv20rocsparse_direction_T4_S2_S2_S2_S2_21rocsparse_index_base_PKT2_PKT3_PKS2_S3_PS4_PS7_PS2_.num_agpr, 0
	.set _ZN9rocsparseL42csr2bsr_wavefront_per_row_multipass_kernelILj256ELj16ELj4EdliEEv20rocsparse_direction_T4_S2_S2_S2_S2_21rocsparse_index_base_PKT2_PKT3_PKS2_S3_PS4_PS7_PS2_.numbered_sgpr, 23
	.set _ZN9rocsparseL42csr2bsr_wavefront_per_row_multipass_kernelILj256ELj16ELj4EdliEEv20rocsparse_direction_T4_S2_S2_S2_S2_21rocsparse_index_base_PKT2_PKT3_PKS2_S3_PS4_PS7_PS2_.num_named_barrier, 0
	.set _ZN9rocsparseL42csr2bsr_wavefront_per_row_multipass_kernelILj256ELj16ELj4EdliEEv20rocsparse_direction_T4_S2_S2_S2_S2_21rocsparse_index_base_PKT2_PKT3_PKS2_S3_PS4_PS7_PS2_.private_seg_size, 0
	.set _ZN9rocsparseL42csr2bsr_wavefront_per_row_multipass_kernelILj256ELj16ELj4EdliEEv20rocsparse_direction_T4_S2_S2_S2_S2_21rocsparse_index_base_PKT2_PKT3_PKS2_S3_PS4_PS7_PS2_.uses_vcc, 1
	.set _ZN9rocsparseL42csr2bsr_wavefront_per_row_multipass_kernelILj256ELj16ELj4EdliEEv20rocsparse_direction_T4_S2_S2_S2_S2_21rocsparse_index_base_PKT2_PKT3_PKS2_S3_PS4_PS7_PS2_.uses_flat_scratch, 0
	.set _ZN9rocsparseL42csr2bsr_wavefront_per_row_multipass_kernelILj256ELj16ELj4EdliEEv20rocsparse_direction_T4_S2_S2_S2_S2_21rocsparse_index_base_PKT2_PKT3_PKS2_S3_PS4_PS7_PS2_.has_dyn_sized_stack, 0
	.set _ZN9rocsparseL42csr2bsr_wavefront_per_row_multipass_kernelILj256ELj16ELj4EdliEEv20rocsparse_direction_T4_S2_S2_S2_S2_21rocsparse_index_base_PKT2_PKT3_PKS2_S3_PS4_PS7_PS2_.has_recursion, 0
	.set _ZN9rocsparseL42csr2bsr_wavefront_per_row_multipass_kernelILj256ELj16ELj4EdliEEv20rocsparse_direction_T4_S2_S2_S2_S2_21rocsparse_index_base_PKT2_PKT3_PKS2_S3_PS4_PS7_PS2_.has_indirect_call, 0
	.section	.AMDGPU.csdata,"",@progbits
; Kernel info:
; codeLenInByte = 1392
; TotalNumSgprs: 25
; NumVgprs: 42
; ScratchSize: 0
; MemoryBound: 0
; FloatMode: 240
; IeeeMode: 1
; LDSByteSize: 2064 bytes/workgroup (compile time only)
; SGPRBlocks: 0
; VGPRBlocks: 2
; NumSGPRsForWavesPerEU: 25
; NumVGPRsForWavesPerEU: 42
; NamedBarCnt: 0
; Occupancy: 16
; WaveLimiterHint : 0
; COMPUTE_PGM_RSRC2:SCRATCH_EN: 0
; COMPUTE_PGM_RSRC2:USER_SGPR: 2
; COMPUTE_PGM_RSRC2:TRAP_HANDLER: 0
; COMPUTE_PGM_RSRC2:TGID_X_EN: 1
; COMPUTE_PGM_RSRC2:TGID_Y_EN: 0
; COMPUTE_PGM_RSRC2:TGID_Z_EN: 0
; COMPUTE_PGM_RSRC2:TIDIG_COMP_CNT: 0
	.section	.text._ZN9rocsparseL42csr2bsr_wavefront_per_row_multipass_kernelILj256ELj64ELj8EdliEEv20rocsparse_direction_T4_S2_S2_S2_S2_21rocsparse_index_base_PKT2_PKT3_PKS2_S3_PS4_PS7_PS2_,"axG",@progbits,_ZN9rocsparseL42csr2bsr_wavefront_per_row_multipass_kernelILj256ELj64ELj8EdliEEv20rocsparse_direction_T4_S2_S2_S2_S2_21rocsparse_index_base_PKT2_PKT3_PKS2_S3_PS4_PS7_PS2_,comdat
	.globl	_ZN9rocsparseL42csr2bsr_wavefront_per_row_multipass_kernelILj256ELj64ELj8EdliEEv20rocsparse_direction_T4_S2_S2_S2_S2_21rocsparse_index_base_PKT2_PKT3_PKS2_S3_PS4_PS7_PS2_ ; -- Begin function _ZN9rocsparseL42csr2bsr_wavefront_per_row_multipass_kernelILj256ELj64ELj8EdliEEv20rocsparse_direction_T4_S2_S2_S2_S2_21rocsparse_index_base_PKT2_PKT3_PKS2_S3_PS4_PS7_PS2_
	.p2align	8
	.type	_ZN9rocsparseL42csr2bsr_wavefront_per_row_multipass_kernelILj256ELj64ELj8EdliEEv20rocsparse_direction_T4_S2_S2_S2_S2_21rocsparse_index_base_PKT2_PKT3_PKS2_S3_PS4_PS7_PS2_,@function
_ZN9rocsparseL42csr2bsr_wavefront_per_row_multipass_kernelILj256ELj64ELj8EdliEEv20rocsparse_direction_T4_S2_S2_S2_S2_21rocsparse_index_base_PKT2_PKT3_PKS2_S3_PS4_PS7_PS2_: ; @_ZN9rocsparseL42csr2bsr_wavefront_per_row_multipass_kernelILj256ELj64ELj8EdliEEv20rocsparse_direction_T4_S2_S2_S2_S2_21rocsparse_index_base_PKT2_PKT3_PKS2_S3_PS4_PS7_PS2_
; %bb.0:
	s_clause 0x1
	s_load_b128 s[4:7], s[0:1], 0xc
	s_load_b64 s[14:15], s[0:1], 0x0
	s_bfe_u32 s2, ttmp6, 0x4000c
	s_and_b32 s3, ttmp6, 15
	s_add_co_i32 s2, s2, 1
	s_getreg_b32 s8, hwreg(HW_REG_IB_STS2, 6, 4)
	s_mul_i32 s2, ttmp9, s2
	v_lshrrev_b32_e32 v28, 6, v0
	s_add_co_i32 s3, s3, s2
	s_cmp_eq_u32 s8, 0
	v_bfe_u32 v12, v0, 3, 3
	s_cselect_b32 s2, ttmp9, s3
	s_load_b64 s[8:9], s[0:1], 0x28
	v_lshl_or_b32 v1, s2, 2, v28
	v_mov_b64_e32 v[2:3], 0
	v_mov_b64_e32 v[10:11], 0
	s_mov_b32 s3, 0
	s_wait_kmcnt 0x0
	v_mad_u32 v4, v1, s6, v12
	v_cmp_gt_i32_e32 vcc_lo, s6, v12
	s_delay_alu instid0(VALU_DEP_2) | instskip(SKIP_1) | instid1(SALU_CYCLE_1)
	v_cmp_gt_i32_e64 s2, s15, v4
	s_and_b32 s10, vcc_lo, s2
	s_and_saveexec_b32 s11, s10
	s_cbranch_execz .LBB119_2
; %bb.1:
	global_load_b64 v[6:7], v4, s[8:9] scale_offset
	s_mov_b32 s2, s7
	s_wait_loadcnt 0x0
	v_sub_nc_u64_e64 v[10:11], v[6:7], s[2:3]
.LBB119_2:
	s_or_b32 exec_lo, exec_lo, s11
	s_and_saveexec_b32 s2, s10
	s_cbranch_execz .LBB119_4
; %bb.3:
	global_load_b64 v[2:3], v4, s[8:9] offset:8 scale_offset
	s_wait_xcnt 0x0
	s_mov_b32 s9, 0
	s_mov_b32 s8, s7
	s_wait_loadcnt 0x0
	v_sub_nc_u64_e64 v[2:3], v[2:3], s[8:9]
.LBB119_4:
	s_or_b32 exec_lo, exec_lo, s2
	s_load_b32 s8, s[0:1], 0x38
	v_mov_b64_e32 v[4:5], 0
	s_mov_b32 s3, exec_lo
	v_cmpx_gt_i32_e64 s4, v1
	s_cbranch_execz .LBB119_6
; %bb.5:
	s_load_b64 s[10:11], s[0:1], 0x48
	s_mov_b32 s9, 0
	s_wait_kmcnt 0x0
	global_load_b64 v[4:5], v1, s[10:11] scale_offset
	s_wait_loadcnt 0x0
	v_sub_nc_u64_e64 v[4:5], v[4:5], s[8:9]
.LBB119_6:
	s_or_b32 exec_lo, exec_lo, s3
	s_cmp_lt_i32 s5, 1
	s_cbranch_scc1 .LBB119_24
; %bb.7:
	v_and_b32_e32 v6, 7, v0
	v_and_b32_e32 v0, 0xc0, v0
	v_lshlrev_b32_e32 v1, 6, v12
	v_mbcnt_lo_u32_b32 v16, -1, 0
	s_clause 0x3
	s_load_b64 s[18:19], s[0:1], 0x40
	s_load_b64 s[2:3], s[0:1], 0x50
	;; [unrolled: 1-line block ×4, first 2 shown]
	s_mov_b32 s15, 0
	v_bfrev_b32_e32 v38, 0.5
	v_lshl_or_b32 v29, v0, 3, v1
	v_dual_mov_b32 v1, 0 :: v_dual_bitop2_b32 v9, 2, v16 bitop3:0x14
	v_xor_b32_e32 v7, 4, v16
	v_mul_lo_u32 v0, s6, v6
	v_dual_lshlrev_b32 v14, 3, v6 :: v_dual_bitop2_b32 v15, 1, v16 bitop3:0x14
	v_or_b32_e32 v17, 32, v16
	s_wait_xcnt 0x0
	v_cmp_gt_i32_e64 s0, 32, v7
	v_lshl_or_b32 v34, v16, 2, 28
	v_or_b32_e32 v30, v29, v14
	v_cmp_gt_i32_e64 s1, 32, v15
	s_delay_alu instid0(VALU_DEP_4) | instskip(SKIP_2) | instid1(VALU_DEP_1)
	v_dual_mov_b32 v39, 1 :: v_dual_cndmask_b32 v8, v16, v7, s0
	v_mov_b32_e32 v7, v1
	v_cmp_gt_i32_e64 s0, 32, v9
	v_dual_cndmask_b32 v13, v16, v9, s0 :: v_dual_lshlrev_b32 v31, 2, v8
	s_wait_kmcnt 0x0
	v_lshl_add_u64 v[8:9], v[0:1], 3, s[18:19]
	v_lshlrev_b32_e32 v0, 3, v12
	v_cmp_gt_u32_e64 s0, s6, v6
	v_dual_lshlrev_b32 v32, 2, v13 :: v_dual_cndmask_b32 v13, v16, v15, s1
	v_mov_b32_e32 v15, v1
	s_delay_alu instid0(VALU_DEP_4)
	v_add_nc_u64_e32 v[8:9], v[8:9], v[0:1]
	v_mul_lo_u32 v0, s6, v12
	s_and_b32 s1, vcc_lo, s0
	s_cmp_lg_u32 s14, 0
	v_lshlrev_b32_e32 v33, 2, v13
	s_cselect_b32 s4, -1, 0
	s_abs_i32 s9, s6
	v_cmp_gt_i32_e32 vcc_lo, 32, v17
	s_cvt_f32_u32 s0, s9
	s_mov_b32 s14, s6
	s_delay_alu instid0(SALU_CYCLE_1) | instskip(NEXT) | instid1(VALU_DEP_3)
	s_mul_u64 s[16:17], s[14:15], s[14:15]
	v_lshl_add_u64 v[12:13], v[0:1], 3, s[18:19]
	v_dual_cndmask_b32 v17, v16, v17, vcc_lo :: v_dual_bitop2_b32 v0, 16, v16 bitop3:0x14
	v_rcp_iflag_f32_e32 v18, s0
	v_xor_b32_e32 v19, 8, v16
	s_sub_co_i32 s14, 0, s9
	s_delay_alu instid0(VALU_DEP_2)
	v_cmp_gt_i32_e32 vcc_lo, 32, v0
	v_lshlrev_b32_e32 v35, 2, v17
	v_add_nc_u64_e32 v[12:13], v[12:13], v[14:15]
	v_mov_b64_e32 v[14:15], 0
	v_readfirstlane_b32 s0, v18
	v_cndmask_b32_e32 v0, v16, v0, vcc_lo
	v_cmp_gt_i32_e32 vcc_lo, 32, v19
	s_ashr_i32 s18, s6, 31
	s_mov_b32 s19, s15
	s_mul_f32 s0, s0, 0x4f7ffffe
	v_dual_cndmask_b32 v16, v16, v19, vcc_lo :: v_dual_lshlrev_b32 v36, 2, v0
	s_delay_alu instid0(SALU_CYCLE_2) | instskip(NEXT) | instid1(VALU_DEP_1)
	s_cvt_u32_f32 s0, s0
	v_lshlrev_b32_e32 v37, 2, v16
	v_mov_b64_e32 v[16:17], 0
	s_delay_alu instid0(SALU_CYCLE_1) | instskip(NEXT) | instid1(SALU_CYCLE_1)
	s_mul_i32 s14, s14, s0
	s_mul_hi_u32 s14, s0, s14
	s_delay_alu instid0(SALU_CYCLE_1)
	s_add_co_i32 s14, s0, s14
	s_branch .LBB119_10
.LBB119_8:                              ;   in Loop: Header=BB119_10 Depth=1
	s_wait_xcnt 0x0
	s_or_b32 exec_lo, exec_lo, s20
	s_wait_dscnt 0x0
	v_mov_b64_e32 v[18:19], 1
.LBB119_9:                              ;   in Loop: Header=BB119_10 Depth=1
	s_or_b32 exec_lo, exec_lo, s0
	ds_bpermute_b32 v0, v35, v40
	v_add_nc_u64_e32 v[4:5], v[18:19], v[4:5]
	s_wait_storecnt_dscnt 0x0
	v_min_i32_e32 v0, v0, v40
	ds_bpermute_b32 v16, v36, v0
	s_wait_dscnt 0x0
	v_min_i32_e32 v0, v16, v0
	ds_bpermute_b32 v16, v37, v0
	s_wait_dscnt 0x0
	;; [unrolled: 3-line block ×6, first 2 shown]
	v_cmp_le_i32_e32 vcc_lo, s5, v16
	v_ashrrev_i32_e32 v17, 31, v16
	s_or_b32 s19, vcc_lo, s19
	s_delay_alu instid0(SALU_CYCLE_1)
	s_and_not1_b32 exec_lo, exec_lo, s19
	s_cbranch_execz .LBB119_24
.LBB119_10:                             ; =>This Loop Header: Depth=1
                                        ;     Child Loop BB119_13 Depth 2
	v_add_nc_u64_e32 v[10:11], v[10:11], v[6:7]
	v_mov_b64_e32 v[22:23], v[2:3]
	v_mov_b32_e32 v40, s5
	s_mov_b32 s20, exec_lo
	ds_store_b8 v28, v1 offset:2048
	ds_store_b64 v30, v[14:15]
	s_wait_dscnt 0x0
	v_cmpx_lt_i64_e64 v[10:11], v[2:3]
	s_cbranch_execz .LBB119_18
; %bb.11:                               ;   in Loop: Header=BB119_10 Depth=1
	v_mov_b64_e32 v[22:23], v[2:3]
	v_lshl_add_u64 v[18:19], v[10:11], 3, s[10:11]
	v_lshl_add_u64 v[20:21], v[10:11], 2, s[12:13]
	v_mov_b32_e32 v40, s5
	s_mov_b32 s21, 0
	s_branch .LBB119_13
.LBB119_12:                             ;   in Loop: Header=BB119_13 Depth=2
	s_wait_xcnt 0x0
	s_or_b32 exec_lo, exec_lo, s0
	v_add_nc_u64_e32 v[10:11], 8, v[10:11]
	s_xor_b32 s22, vcc_lo, -1
	v_add_nc_u64_e32 v[18:19], 64, v[18:19]
	v_add_nc_u64_e32 v[20:21], 32, v[20:21]
	s_delay_alu instid0(VALU_DEP_3) | instskip(SKIP_1) | instid1(SALU_CYCLE_1)
	v_cmp_ge_i64_e64 s0, v[10:11], v[2:3]
	s_or_b32 s0, s22, s0
	s_and_b32 s0, exec_lo, s0
	s_delay_alu instid0(SALU_CYCLE_1) | instskip(NEXT) | instid1(SALU_CYCLE_1)
	s_or_b32 s21, s0, s21
	s_and_not1_b32 exec_lo, exec_lo, s21
	s_cbranch_execz .LBB119_17
.LBB119_13:                             ;   Parent Loop BB119_10 Depth=1
                                        ; =>  This Inner Loop Header: Depth=2
	global_load_b32 v0, v[20:21], off
	s_wait_loadcnt 0x0
	v_subrev_nc_u32_e32 v41, s7, v0
	s_delay_alu instid0(VALU_DEP_1) | instskip(NEXT) | instid1(VALU_DEP_1)
	v_sub_nc_u32_e32 v0, 0, v41
	v_max_i32_e32 v0, v41, v0
	s_delay_alu instid0(VALU_DEP_1) | instskip(NEXT) | instid1(VALU_DEP_1)
	v_mul_u64_e32 v[24:25], s[14:15], v[0:1]
	v_mul_lo_u32 v24, v25, s9
	s_delay_alu instid0(VALU_DEP_1) | instskip(NEXT) | instid1(VALU_DEP_1)
	v_dual_sub_nc_u32 v0, v0, v24 :: v_dual_add_nc_u32 v24, 1, v25
	v_cmp_le_u32_e32 vcc_lo, s9, v0
	s_delay_alu instid0(VALU_DEP_2) | instskip(SKIP_1) | instid1(VALU_DEP_1)
	v_dual_cndmask_b32 v24, v25, v24 :: v_dual_ashrrev_i32 v25, 31, v41
	v_subrev_nc_u32_e32 v26, s9, v0
	v_dual_cndmask_b32 v0, v0, v26, vcc_lo :: v_dual_add_nc_u32 v26, 1, v24
	s_delay_alu instid0(VALU_DEP_1) | instskip(NEXT) | instid1(VALU_DEP_2)
	v_cmp_le_u32_e32 vcc_lo, s9, v0
	v_dual_cndmask_b32 v0, v24, v26, vcc_lo :: v_dual_bitop2_b32 v25, s18, v25 bitop3:0x14
	v_mov_b64_e32 v[26:27], v[22:23]
	s_delay_alu instid0(VALU_DEP_2) | instskip(NEXT) | instid1(VALU_DEP_1)
	v_xor_b32_e32 v0, v0, v25
	v_sub_nc_u32_e32 v24, v0, v25
	s_delay_alu instid0(VALU_DEP_1) | instskip(NEXT) | instid1(VALU_DEP_1)
	v_ashrrev_i32_e32 v25, 31, v24
	v_cmp_ne_u64_e64 s0, v[16:17], v[24:25]
	v_cmp_eq_u64_e32 vcc_lo, v[16:17], v[24:25]
	s_wait_xcnt 0x0
	s_and_saveexec_b32 s22, s0
	s_delay_alu instid0(SALU_CYCLE_1)
	s_xor_b32 s0, exec_lo, s22
; %bb.14:                               ;   in Loop: Header=BB119_13 Depth=2
	v_min_i32_e32 v40, v24, v40
                                        ; implicit-def: $vgpr24
                                        ; implicit-def: $vgpr41
                                        ; implicit-def: $vgpr26_vgpr27
; %bb.15:                               ;   in Loop: Header=BB119_13 Depth=2
	s_or_saveexec_b32 s0, s0
	v_mov_b64_e32 v[22:23], v[10:11]
	s_xor_b32 exec_lo, exec_lo, s0
	s_cbranch_execz .LBB119_12
; %bb.16:                               ;   in Loop: Header=BB119_13 Depth=2
	global_load_b64 v[42:43], v[18:19], off
	v_mul_lo_u32 v0, v24, s6
	v_mov_b64_e32 v[22:23], v[26:27]
	s_delay_alu instid0(VALU_DEP_2) | instskip(NEXT) | instid1(VALU_DEP_1)
	v_sub_nc_u32_e32 v0, v41, v0
	v_lshl_add_u32 v0, v0, 3, v29
	ds_store_b8 v28, v39 offset:2048
	s_wait_loadcnt 0x0
	ds_store_b64 v0, v[42:43]
	s_branch .LBB119_12
.LBB119_17:                             ;   in Loop: Header=BB119_10 Depth=1
	s_or_b32 exec_lo, exec_lo, s21
.LBB119_18:                             ;   in Loop: Header=BB119_10 Depth=1
	s_delay_alu instid0(SALU_CYCLE_1)
	s_or_b32 exec_lo, exec_lo, s20
	ds_bpermute_b32 v10, v31, v22
	ds_bpermute_b32 v11, v31, v23
	s_wait_dscnt 0x0
	ds_load_u8 v0, v28 offset:2048
	s_mov_b32 s0, exec_lo
	v_min_i64 v[10:11], v[10:11], v[22:23]
	s_wait_dscnt 0x0
	v_and_b32_e32 v0, 1, v0
	ds_bpermute_b32 v18, v32, v10
	ds_bpermute_b32 v19, v32, v11
	s_wait_dscnt 0x0
	v_min_i64 v[10:11], v[18:19], v[10:11]
	ds_bpermute_b32 v18, v33, v10
	ds_bpermute_b32 v19, v33, v11
	s_wait_dscnt 0x0
	v_min_i64 v[10:11], v[18:19], v[10:11]
	v_mov_b64_e32 v[18:19], 0
	ds_bpermute_b32 v10, v34, v10
	ds_bpermute_b32 v11, v34, v11
	v_cmpx_eq_u32_e32 1, v0
	s_cbranch_execz .LBB119_9
; %bb.19:                               ;   in Loop: Header=BB119_10 Depth=1
	v_add_nc_u32_e32 v0, s8, v16
	v_lshl_add_u64 v[16:17], v[4:5], 2, s[2:3]
	global_store_b32 v[16:17], v0, off
	s_wait_xcnt 0x0
	s_and_saveexec_b32 s20, s1
	s_cbranch_execz .LBB119_8
; %bb.20:                               ;   in Loop: Header=BB119_10 Depth=1
	v_mul_u64_e32 v[16:17], s[16:17], v[4:5]
	ds_load_b64 v[18:19], v30
	s_and_b32 vcc_lo, exec_lo, s4
	s_cbranch_vccz .LBB119_22
; %bb.21:                               ;   in Loop: Header=BB119_10 Depth=1
	v_lshl_add_u64 v[20:21], v[16:17], 3, v[8:9]
	s_wait_dscnt 0x0
	global_store_b64 v[20:21], v[18:19], off
	s_cbranch_execnz .LBB119_8
	s_branch .LBB119_23
.LBB119_22:                             ;   in Loop: Header=BB119_10 Depth=1
.LBB119_23:                             ;   in Loop: Header=BB119_10 Depth=1
	v_lshl_add_u64 v[16:17], v[16:17], 3, v[12:13]
	s_wait_dscnt 0x0
	global_store_b64 v[16:17], v[18:19], off
	s_branch .LBB119_8
.LBB119_24:
	s_endpgm
	.section	.rodata,"a",@progbits
	.p2align	6, 0x0
	.amdhsa_kernel _ZN9rocsparseL42csr2bsr_wavefront_per_row_multipass_kernelILj256ELj64ELj8EdliEEv20rocsparse_direction_T4_S2_S2_S2_S2_21rocsparse_index_base_PKT2_PKT3_PKS2_S3_PS4_PS7_PS2_
		.amdhsa_group_segment_fixed_size 2056
		.amdhsa_private_segment_fixed_size 0
		.amdhsa_kernarg_size 88
		.amdhsa_user_sgpr_count 2
		.amdhsa_user_sgpr_dispatch_ptr 0
		.amdhsa_user_sgpr_queue_ptr 0
		.amdhsa_user_sgpr_kernarg_segment_ptr 1
		.amdhsa_user_sgpr_dispatch_id 0
		.amdhsa_user_sgpr_kernarg_preload_length 0
		.amdhsa_user_sgpr_kernarg_preload_offset 0
		.amdhsa_user_sgpr_private_segment_size 0
		.amdhsa_wavefront_size32 1
		.amdhsa_uses_dynamic_stack 0
		.amdhsa_enable_private_segment 0
		.amdhsa_system_sgpr_workgroup_id_x 1
		.amdhsa_system_sgpr_workgroup_id_y 0
		.amdhsa_system_sgpr_workgroup_id_z 0
		.amdhsa_system_sgpr_workgroup_info 0
		.amdhsa_system_vgpr_workitem_id 0
		.amdhsa_next_free_vgpr 44
		.amdhsa_next_free_sgpr 23
		.amdhsa_named_barrier_count 0
		.amdhsa_reserve_vcc 1
		.amdhsa_float_round_mode_32 0
		.amdhsa_float_round_mode_16_64 0
		.amdhsa_float_denorm_mode_32 3
		.amdhsa_float_denorm_mode_16_64 3
		.amdhsa_fp16_overflow 0
		.amdhsa_memory_ordered 1
		.amdhsa_forward_progress 1
		.amdhsa_inst_pref_size 12
		.amdhsa_round_robin_scheduling 0
		.amdhsa_exception_fp_ieee_invalid_op 0
		.amdhsa_exception_fp_denorm_src 0
		.amdhsa_exception_fp_ieee_div_zero 0
		.amdhsa_exception_fp_ieee_overflow 0
		.amdhsa_exception_fp_ieee_underflow 0
		.amdhsa_exception_fp_ieee_inexact 0
		.amdhsa_exception_int_div_zero 0
	.end_amdhsa_kernel
	.section	.text._ZN9rocsparseL42csr2bsr_wavefront_per_row_multipass_kernelILj256ELj64ELj8EdliEEv20rocsparse_direction_T4_S2_S2_S2_S2_21rocsparse_index_base_PKT2_PKT3_PKS2_S3_PS4_PS7_PS2_,"axG",@progbits,_ZN9rocsparseL42csr2bsr_wavefront_per_row_multipass_kernelILj256ELj64ELj8EdliEEv20rocsparse_direction_T4_S2_S2_S2_S2_21rocsparse_index_base_PKT2_PKT3_PKS2_S3_PS4_PS7_PS2_,comdat
.Lfunc_end119:
	.size	_ZN9rocsparseL42csr2bsr_wavefront_per_row_multipass_kernelILj256ELj64ELj8EdliEEv20rocsparse_direction_T4_S2_S2_S2_S2_21rocsparse_index_base_PKT2_PKT3_PKS2_S3_PS4_PS7_PS2_, .Lfunc_end119-_ZN9rocsparseL42csr2bsr_wavefront_per_row_multipass_kernelILj256ELj64ELj8EdliEEv20rocsparse_direction_T4_S2_S2_S2_S2_21rocsparse_index_base_PKT2_PKT3_PKS2_S3_PS4_PS7_PS2_
                                        ; -- End function
	.set _ZN9rocsparseL42csr2bsr_wavefront_per_row_multipass_kernelILj256ELj64ELj8EdliEEv20rocsparse_direction_T4_S2_S2_S2_S2_21rocsparse_index_base_PKT2_PKT3_PKS2_S3_PS4_PS7_PS2_.num_vgpr, 44
	.set _ZN9rocsparseL42csr2bsr_wavefront_per_row_multipass_kernelILj256ELj64ELj8EdliEEv20rocsparse_direction_T4_S2_S2_S2_S2_21rocsparse_index_base_PKT2_PKT3_PKS2_S3_PS4_PS7_PS2_.num_agpr, 0
	.set _ZN9rocsparseL42csr2bsr_wavefront_per_row_multipass_kernelILj256ELj64ELj8EdliEEv20rocsparse_direction_T4_S2_S2_S2_S2_21rocsparse_index_base_PKT2_PKT3_PKS2_S3_PS4_PS7_PS2_.numbered_sgpr, 23
	.set _ZN9rocsparseL42csr2bsr_wavefront_per_row_multipass_kernelILj256ELj64ELj8EdliEEv20rocsparse_direction_T4_S2_S2_S2_S2_21rocsparse_index_base_PKT2_PKT3_PKS2_S3_PS4_PS7_PS2_.num_named_barrier, 0
	.set _ZN9rocsparseL42csr2bsr_wavefront_per_row_multipass_kernelILj256ELj64ELj8EdliEEv20rocsparse_direction_T4_S2_S2_S2_S2_21rocsparse_index_base_PKT2_PKT3_PKS2_S3_PS4_PS7_PS2_.private_seg_size, 0
	.set _ZN9rocsparseL42csr2bsr_wavefront_per_row_multipass_kernelILj256ELj64ELj8EdliEEv20rocsparse_direction_T4_S2_S2_S2_S2_21rocsparse_index_base_PKT2_PKT3_PKS2_S3_PS4_PS7_PS2_.uses_vcc, 1
	.set _ZN9rocsparseL42csr2bsr_wavefront_per_row_multipass_kernelILj256ELj64ELj8EdliEEv20rocsparse_direction_T4_S2_S2_S2_S2_21rocsparse_index_base_PKT2_PKT3_PKS2_S3_PS4_PS7_PS2_.uses_flat_scratch, 0
	.set _ZN9rocsparseL42csr2bsr_wavefront_per_row_multipass_kernelILj256ELj64ELj8EdliEEv20rocsparse_direction_T4_S2_S2_S2_S2_21rocsparse_index_base_PKT2_PKT3_PKS2_S3_PS4_PS7_PS2_.has_dyn_sized_stack, 0
	.set _ZN9rocsparseL42csr2bsr_wavefront_per_row_multipass_kernelILj256ELj64ELj8EdliEEv20rocsparse_direction_T4_S2_S2_S2_S2_21rocsparse_index_base_PKT2_PKT3_PKS2_S3_PS4_PS7_PS2_.has_recursion, 0
	.set _ZN9rocsparseL42csr2bsr_wavefront_per_row_multipass_kernelILj256ELj64ELj8EdliEEv20rocsparse_direction_T4_S2_S2_S2_S2_21rocsparse_index_base_PKT2_PKT3_PKS2_S3_PS4_PS7_PS2_.has_indirect_call, 0
	.section	.AMDGPU.csdata,"",@progbits
; Kernel info:
; codeLenInByte = 1524
; TotalNumSgprs: 25
; NumVgprs: 44
; ScratchSize: 0
; MemoryBound: 0
; FloatMode: 240
; IeeeMode: 1
; LDSByteSize: 2056 bytes/workgroup (compile time only)
; SGPRBlocks: 0
; VGPRBlocks: 2
; NumSGPRsForWavesPerEU: 25
; NumVGPRsForWavesPerEU: 44
; NamedBarCnt: 0
; Occupancy: 16
; WaveLimiterHint : 0
; COMPUTE_PGM_RSRC2:SCRATCH_EN: 0
; COMPUTE_PGM_RSRC2:USER_SGPR: 2
; COMPUTE_PGM_RSRC2:TRAP_HANDLER: 0
; COMPUTE_PGM_RSRC2:TGID_X_EN: 1
; COMPUTE_PGM_RSRC2:TGID_Y_EN: 0
; COMPUTE_PGM_RSRC2:TGID_Z_EN: 0
; COMPUTE_PGM_RSRC2:TIDIG_COMP_CNT: 0
	.section	.text._ZN9rocsparseL42csr2bsr_wavefront_per_row_multipass_kernelILj256ELj32ELj8EdliEEv20rocsparse_direction_T4_S2_S2_S2_S2_21rocsparse_index_base_PKT2_PKT3_PKS2_S3_PS4_PS7_PS2_,"axG",@progbits,_ZN9rocsparseL42csr2bsr_wavefront_per_row_multipass_kernelILj256ELj32ELj8EdliEEv20rocsparse_direction_T4_S2_S2_S2_S2_21rocsparse_index_base_PKT2_PKT3_PKS2_S3_PS4_PS7_PS2_,comdat
	.globl	_ZN9rocsparseL42csr2bsr_wavefront_per_row_multipass_kernelILj256ELj32ELj8EdliEEv20rocsparse_direction_T4_S2_S2_S2_S2_21rocsparse_index_base_PKT2_PKT3_PKS2_S3_PS4_PS7_PS2_ ; -- Begin function _ZN9rocsparseL42csr2bsr_wavefront_per_row_multipass_kernelILj256ELj32ELj8EdliEEv20rocsparse_direction_T4_S2_S2_S2_S2_21rocsparse_index_base_PKT2_PKT3_PKS2_S3_PS4_PS7_PS2_
	.p2align	8
	.type	_ZN9rocsparseL42csr2bsr_wavefront_per_row_multipass_kernelILj256ELj32ELj8EdliEEv20rocsparse_direction_T4_S2_S2_S2_S2_21rocsparse_index_base_PKT2_PKT3_PKS2_S3_PS4_PS7_PS2_,@function
_ZN9rocsparseL42csr2bsr_wavefront_per_row_multipass_kernelILj256ELj32ELj8EdliEEv20rocsparse_direction_T4_S2_S2_S2_S2_21rocsparse_index_base_PKT2_PKT3_PKS2_S3_PS4_PS7_PS2_: ; @_ZN9rocsparseL42csr2bsr_wavefront_per_row_multipass_kernelILj256ELj32ELj8EdliEEv20rocsparse_direction_T4_S2_S2_S2_S2_21rocsparse_index_base_PKT2_PKT3_PKS2_S3_PS4_PS7_PS2_
; %bb.0:
	s_clause 0x1
	s_load_b128 s[4:7], s[0:1], 0xc
	s_load_b64 s[14:15], s[0:1], 0x0
	s_bfe_u32 s2, ttmp6, 0x4000c
	s_and_b32 s3, ttmp6, 15
	s_add_co_i32 s2, s2, 1
	s_getreg_b32 s8, hwreg(HW_REG_IB_STS2, 6, 4)
	s_mul_i32 s2, ttmp9, s2
	v_lshrrev_b32_e32 v32, 5, v0
	s_add_co_i32 s3, s3, s2
	s_cmp_eq_u32 s8, 0
	v_bfe_u32 v10, v0, 2, 3
	s_cselect_b32 s2, ttmp9, s3
	s_load_b64 s[8:9], s[0:1], 0x28
	v_lshl_or_b32 v1, s2, 3, v32
	v_mov_b64_e32 v[2:3], 0
	v_mov_b64_e32 v[16:17], 0
	s_mov_b32 s3, 0
	s_wait_kmcnt 0x0
	v_mad_u32 v4, v1, s6, v10
	v_cmp_gt_i32_e32 vcc_lo, s6, v10
	s_delay_alu instid0(VALU_DEP_2) | instskip(SKIP_1) | instid1(SALU_CYCLE_1)
	v_cmp_gt_i32_e64 s2, s15, v4
	s_and_b32 s10, vcc_lo, s2
	s_and_saveexec_b32 s11, s10
	s_cbranch_execz .LBB120_2
; %bb.1:
	global_load_b64 v[6:7], v4, s[8:9] scale_offset
	s_mov_b32 s2, s7
	s_wait_loadcnt 0x0
	v_sub_nc_u64_e64 v[16:17], v[6:7], s[2:3]
.LBB120_2:
	s_or_b32 exec_lo, exec_lo, s11
	s_and_saveexec_b32 s2, s10
	s_cbranch_execz .LBB120_4
; %bb.3:
	global_load_b64 v[2:3], v4, s[8:9] offset:8 scale_offset
	s_wait_xcnt 0x0
	s_mov_b32 s9, 0
	s_mov_b32 s8, s7
	s_wait_loadcnt 0x0
	v_sub_nc_u64_e64 v[2:3], v[2:3], s[8:9]
.LBB120_4:
	s_or_b32 exec_lo, exec_lo, s2
	s_load_b32 s8, s[0:1], 0x38
	v_mov_b64_e32 v[4:5], 0
	s_mov_b32 s3, exec_lo
	v_cmpx_gt_i32_e64 s4, v1
	s_cbranch_execz .LBB120_6
; %bb.5:
	s_load_b64 s[10:11], s[0:1], 0x48
	s_mov_b32 s9, 0
	s_wait_kmcnt 0x0
	global_load_b64 v[4:5], v1, s[10:11] scale_offset
	s_wait_loadcnt 0x0
	v_sub_nc_u64_e64 v[4:5], v[4:5], s[8:9]
.LBB120_6:
	s_or_b32 exec_lo, exec_lo, s3
	s_cmp_lt_i32 s5, 1
	s_cbranch_scc1 .LBB120_29
; %bb.7:
	v_mbcnt_lo_u32_b32 v11, -1, 0
	v_lshlrev_b32_e32 v1, 6, v10
	s_clause 0x3
	s_load_b64 s[18:19], s[0:1], 0x40
	s_load_b64 s[2:3], s[0:1], 0x50
	;; [unrolled: 1-line block ×4, first 2 shown]
	v_dual_mov_b32 v7, 0 :: v_dual_bitop2_b32 v0, 3, v0 bitop3:0x40
	v_xor_b32_e32 v6, 2, v11
	s_cmp_lg_u32 s14, 0
	v_lshl_or_b32 v33, v32, 9, v1
	s_cselect_b32 s4, -1, 0
	s_abs_i32 s9, s6
	s_wait_xcnt 0x0
	v_cmp_gt_i32_e64 s0, 32, v6
	v_xor_b32_e32 v8, 1, v11
	s_cvt_f32_u32 s1, s9
	s_mov_b32 s15, 0
	s_mov_b32 s14, s6
	v_cndmask_b32_e64 v6, v11, v6, s0
	v_cmp_gt_i32_e64 s0, 32, v8
	v_rcp_iflag_f32_e32 v18, s1
	s_mul_u64 s[16:17], s[14:15], s[14:15]
	v_lshl_or_b32 v37, v11, 2, 12
	v_dual_lshlrev_b32 v35, 2, v6 :: v_dual_cndmask_b32 v8, v11, v8, s0
	v_dual_mov_b32 v1, v7 :: v_dual_lshlrev_b32 v6, 3, v10
	s_delay_alu instid0(TRANS32_DEP_1) | instskip(SKIP_1) | instid1(VALU_DEP_4)
	v_readfirstlane_b32 s1, v18
	v_mov_b64_e32 v[20:21], 0
	v_lshlrev_b32_e32 v36, 2, v8
	s_wait_kmcnt 0x0
	v_add_nc_u64_e32 v[8:9], s[18:19], v[6:7]
	v_mul_lo_u32 v6, s6, v10
	v_xor_b32_e32 v10, 16, v11
	s_mul_f32 s14, s1, 0x4f7ffffe
	v_mov_b64_e32 v[18:19], 0
	v_lshl_or_b32 v34, v0, 3, v33
	v_dual_mov_b32 v41, 0x7c :: v_dual_mov_b32 v42, 1
	v_cmp_gt_i32_e64 s0, 32, v10
	v_xor_b32_e32 v12, 8, v11
	s_cvt_u32_f32 s14, s14
	s_mov_b32 s20, s15
	v_cndmask_b32_e64 v14, v11, v10, s0
	s_delay_alu instid0(VALU_DEP_2) | instskip(NEXT) | instid1(VALU_DEP_2)
	v_cmp_gt_i32_e64 s0, 32, v12
	v_dual_lshlrev_b32 v38, 2, v14 :: v_dual_bitop2_b32 v13, 4, v11 bitop3:0x14
	s_delay_alu instid0(VALU_DEP_2) | instskip(NEXT) | instid1(VALU_DEP_2)
	v_cndmask_b32_e64 v15, v11, v12, s0
	v_cmp_gt_i32_e64 s0, 32, v13
	v_mul_lo_u32 v12, v0, s6
	s_delay_alu instid0(VALU_DEP_2) | instskip(SKIP_3) | instid1(VALU_DEP_4)
	v_cndmask_b32_e64 v13, v11, v13, s0
	v_cmp_gt_u32_e64 s0, s6, v0
	v_lshl_add_u64 v[10:11], v[6:7], 3, s[18:19]
	v_dual_lshlrev_b32 v39, 2, v15 :: v_dual_bitop2_b32 v6, 4, v0 bitop3:0x54
	v_lshlrev_b32_e32 v40, 2, v13
	s_and_b32 s18, s0, vcc_lo
	s_sub_co_i32 s0, 0, s9
	v_mov_b32_e32 v13, v7
	v_cmp_gt_u32_e64 s1, s6, v6
	s_mul_i32 s0, s0, s14
	v_lshl_add_u32 v14, s6, 2, v12
	v_mov_b32_e32 v15, v7
	s_mul_hi_u32 s0, s14, s0
	s_and_b32 s1, vcc_lo, s1
	s_ashr_i32 s19, s6, 31
	s_add_co_i32 s14, s14, s0
	s_branch .LBB120_10
.LBB120_8:                              ;   in Loop: Header=BB120_10 Depth=1
	s_wait_xcnt 0x0
	s_or_b32 exec_lo, exec_lo, s21
	v_mov_b64_e32 v[22:23], 1
.LBB120_9:                              ;   in Loop: Header=BB120_10 Depth=1
	s_or_b32 exec_lo, exec_lo, s0
	ds_bpermute_b32 v6, v38, v43
	v_add_nc_u64_e32 v[4:5], v[22:23], v[4:5]
	s_wait_storecnt_dscnt 0x0
	v_min_i32_e32 v6, v6, v43
	ds_bpermute_b32 v20, v39, v6
	s_wait_dscnt 0x0
	v_min_i32_e32 v6, v20, v6
	ds_bpermute_b32 v20, v40, v6
	s_wait_dscnt 0x0
	v_min_i32_e32 v6, v20, v6
	ds_bpermute_b32 v20, v35, v6
	s_wait_dscnt 0x0
	v_min_i32_e32 v6, v20, v6
	ds_bpermute_b32 v20, v36, v6
	s_wait_dscnt 0x0
	v_min_i32_e32 v6, v20, v6
	ds_bpermute_b32 v20, v41, v6
	s_wait_dscnt 0x0
	v_cmp_le_i32_e32 vcc_lo, s5, v20
	v_ashrrev_i32_e32 v21, 31, v20
	s_or_b32 s20, vcc_lo, s20
	s_delay_alu instid0(SALU_CYCLE_1)
	s_and_not1_b32 exec_lo, exec_lo, s20
	s_cbranch_execz .LBB120_29
.LBB120_10:                             ; =>This Loop Header: Depth=1
                                        ;     Child Loop BB120_13 Depth 2
	v_add_nc_u64_e32 v[16:17], v[16:17], v[0:1]
	v_mov_b64_e32 v[26:27], v[2:3]
	v_mov_b32_e32 v43, s5
	s_mov_b32 s21, exec_lo
	ds_store_b8 v32, v7 offset:4096
	ds_store_2addr_b64 v34, v[18:19], v[18:19] offset1:4
	s_wait_dscnt 0x0
	v_cmpx_lt_i64_e64 v[16:17], v[2:3]
	s_cbranch_execz .LBB120_18
; %bb.11:                               ;   in Loop: Header=BB120_10 Depth=1
	v_mov_b64_e32 v[26:27], v[2:3]
	v_lshl_add_u64 v[22:23], v[16:17], 3, s[10:11]
	v_lshl_add_u64 v[24:25], v[16:17], 2, s[12:13]
	v_mov_b32_e32 v43, s5
	s_mov_b32 s22, 0
	s_branch .LBB120_13
.LBB120_12:                             ;   in Loop: Header=BB120_13 Depth=2
	s_wait_xcnt 0x0
	s_or_b32 exec_lo, exec_lo, s0
	v_add_nc_u64_e32 v[16:17], 4, v[16:17]
	s_xor_b32 s23, vcc_lo, -1
	v_add_nc_u64_e32 v[22:23], 32, v[22:23]
	v_add_nc_u64_e32 v[24:25], 16, v[24:25]
	s_delay_alu instid0(VALU_DEP_3) | instskip(SKIP_1) | instid1(SALU_CYCLE_1)
	v_cmp_ge_i64_e64 s0, v[16:17], v[2:3]
	s_or_b32 s0, s23, s0
	s_and_b32 s0, exec_lo, s0
	s_delay_alu instid0(SALU_CYCLE_1) | instskip(NEXT) | instid1(SALU_CYCLE_1)
	s_or_b32 s22, s0, s22
	s_and_not1_b32 exec_lo, exec_lo, s22
	s_cbranch_execz .LBB120_17
.LBB120_13:                             ;   Parent Loop BB120_10 Depth=1
                                        ; =>  This Inner Loop Header: Depth=2
	global_load_b32 v6, v[24:25], off
	s_wait_loadcnt 0x0
	v_subrev_nc_u32_e32 v44, s7, v6
	s_delay_alu instid0(VALU_DEP_1) | instskip(NEXT) | instid1(VALU_DEP_1)
	v_sub_nc_u32_e32 v6, 0, v44
	v_max_i32_e32 v6, v44, v6
	s_delay_alu instid0(VALU_DEP_1) | instskip(NEXT) | instid1(VALU_DEP_1)
	v_mul_u64_e32 v[28:29], s[14:15], v[6:7]
	v_mul_lo_u32 v28, v29, s9
	s_delay_alu instid0(VALU_DEP_1) | instskip(NEXT) | instid1(VALU_DEP_1)
	v_dual_sub_nc_u32 v6, v6, v28 :: v_dual_add_nc_u32 v28, 1, v29
	v_subrev_nc_u32_e32 v30, s9, v6
	v_cmp_le_u32_e32 vcc_lo, s9, v6
	s_delay_alu instid0(VALU_DEP_3) | instskip(NEXT) | instid1(VALU_DEP_3)
	v_cndmask_b32_e32 v28, v29, v28, vcc_lo
	v_dual_cndmask_b32 v6, v6, v30 :: v_dual_ashrrev_i32 v29, 31, v44
	s_delay_alu instid0(VALU_DEP_2) | instskip(NEXT) | instid1(VALU_DEP_2)
	v_add_nc_u32_e32 v30, 1, v28
	v_cmp_le_u32_e32 vcc_lo, s9, v6
	s_delay_alu instid0(VALU_DEP_2) | instskip(SKIP_1) | instid1(VALU_DEP_2)
	v_dual_cndmask_b32 v6, v28, v30, vcc_lo :: v_dual_bitop2_b32 v29, s19, v29 bitop3:0x14
	v_mov_b64_e32 v[30:31], v[26:27]
	v_xor_b32_e32 v6, v6, v29
	s_delay_alu instid0(VALU_DEP_1) | instskip(NEXT) | instid1(VALU_DEP_1)
	v_sub_nc_u32_e32 v28, v6, v29
	v_ashrrev_i32_e32 v29, 31, v28
	s_delay_alu instid0(VALU_DEP_1) | instskip(SKIP_3) | instid1(SALU_CYCLE_1)
	v_cmp_ne_u64_e64 s0, v[20:21], v[28:29]
	v_cmp_eq_u64_e32 vcc_lo, v[20:21], v[28:29]
	s_wait_xcnt 0x0
	s_and_saveexec_b32 s23, s0
	s_xor_b32 s0, exec_lo, s23
; %bb.14:                               ;   in Loop: Header=BB120_13 Depth=2
	v_min_i32_e32 v43, v28, v43
                                        ; implicit-def: $vgpr28
                                        ; implicit-def: $vgpr44
                                        ; implicit-def: $vgpr30_vgpr31
; %bb.15:                               ;   in Loop: Header=BB120_13 Depth=2
	s_or_saveexec_b32 s0, s0
	v_mov_b64_e32 v[26:27], v[16:17]
	s_xor_b32 exec_lo, exec_lo, s0
	s_cbranch_execz .LBB120_12
; %bb.16:                               ;   in Loop: Header=BB120_13 Depth=2
	global_load_b64 v[46:47], v[22:23], off
	v_mul_lo_u32 v6, v28, s6
	v_mov_b64_e32 v[26:27], v[30:31]
	s_delay_alu instid0(VALU_DEP_2) | instskip(NEXT) | instid1(VALU_DEP_1)
	v_sub_nc_u32_e32 v6, v44, v6
	v_lshl_add_u32 v6, v6, 3, v33
	ds_store_b8 v32, v42 offset:4096
	s_wait_loadcnt 0x0
	ds_store_b64 v6, v[46:47]
	s_branch .LBB120_12
.LBB120_17:                             ;   in Loop: Header=BB120_10 Depth=1
	s_or_b32 exec_lo, exec_lo, s22
.LBB120_18:                             ;   in Loop: Header=BB120_10 Depth=1
	s_delay_alu instid0(SALU_CYCLE_1)
	s_or_b32 exec_lo, exec_lo, s21
	ds_bpermute_b32 v16, v35, v26
	ds_bpermute_b32 v17, v35, v27
	s_wait_dscnt 0x0
	ds_load_u8 v6, v32 offset:4096
	s_mov_b32 s0, exec_lo
	v_min_i64 v[16:17], v[16:17], v[26:27]
	s_wait_dscnt 0x0
	v_and_b32_e32 v6, 1, v6
	ds_bpermute_b32 v22, v36, v16
	ds_bpermute_b32 v23, v36, v17
	s_wait_dscnt 0x0
	v_min_i64 v[16:17], v[22:23], v[16:17]
	v_mov_b64_e32 v[22:23], 0
	ds_bpermute_b32 v16, v37, v16
	ds_bpermute_b32 v17, v37, v17
	v_cmpx_eq_u32_e32 1, v6
	s_cbranch_execz .LBB120_9
; %bb.19:                               ;   in Loop: Header=BB120_10 Depth=1
	v_mul_u64_e32 v[22:23], s[16:17], v[4:5]
	v_add_nc_u32_e32 v6, s8, v20
	s_delay_alu instid0(VALU_DEP_2) | instskip(NEXT) | instid1(VALU_DEP_1)
	v_lshlrev_b64_e32 v[24:25], 3, v[22:23]
	v_add_nc_u64_e32 v[22:23], v[8:9], v[24:25]
	v_add_nc_u64_e32 v[20:21], v[10:11], v[24:25]
	v_lshl_add_u64 v[24:25], v[4:5], 2, s[2:3]
	global_store_b32 v[24:25], v6, off
	s_wait_xcnt 0x0
	s_and_saveexec_b32 s21, s18
	s_cbranch_execz .LBB120_23
; %bb.20:                               ;   in Loop: Header=BB120_10 Depth=1
	ds_load_b64 v[24:25], v34
	s_and_b32 vcc_lo, exec_lo, s4
	s_cbranch_vccz .LBB120_26
; %bb.21:                               ;   in Loop: Header=BB120_10 Depth=1
	v_lshl_add_u64 v[26:27], v[12:13], 3, v[22:23]
	s_wait_dscnt 0x0
	global_store_b64 v[26:27], v[24:25], off
	s_cbranch_execnz .LBB120_23
.LBB120_22:                             ;   in Loop: Header=BB120_10 Depth=1
	v_lshlrev_b32_e32 v6, 3, v0
	s_wait_xcnt 0x0
	s_delay_alu instid0(VALU_DEP_1)
	v_add_nc_u64_e32 v[26:27], v[20:21], v[6:7]
	s_wait_dscnt 0x0
	global_store_b64 v[26:27], v[24:25], off
.LBB120_23:                             ;   in Loop: Header=BB120_10 Depth=1
	s_wait_xcnt 0x0
	s_or_b32 exec_lo, exec_lo, s21
	s_and_saveexec_b32 s21, s1
	s_cbranch_execz .LBB120_8
; %bb.24:                               ;   in Loop: Header=BB120_10 Depth=1
	s_and_not1_b32 vcc_lo, exec_lo, s4
	s_cbranch_vccnz .LBB120_27
; %bb.25:                               ;   in Loop: Header=BB120_10 Depth=1
	s_wait_dscnt 0x0
	ds_load_b64 v[24:25], v34 offset:32
	v_lshl_add_u64 v[22:23], v[14:15], 3, v[22:23]
	s_wait_dscnt 0x0
	global_store_b64 v[22:23], v[24:25], off
	s_cbranch_execnz .LBB120_8
	s_branch .LBB120_28
.LBB120_26:                             ;   in Loop: Header=BB120_10 Depth=1
	s_branch .LBB120_22
.LBB120_27:                             ;   in Loop: Header=BB120_10 Depth=1
.LBB120_28:                             ;   in Loop: Header=BB120_10 Depth=1
	s_wait_xcnt 0x0
	ds_load_b64 v[22:23], v34 offset:32
	v_lshlrev_b32_e32 v6, 3, v0
	s_delay_alu instid0(VALU_DEP_1)
	v_add_nc_u64_e32 v[20:21], v[20:21], v[6:7]
	s_wait_dscnt 0x0
	global_store_b64 v[20:21], v[22:23], off offset:32
	s_branch .LBB120_8
.LBB120_29:
	s_endpgm
	.section	.rodata,"a",@progbits
	.p2align	6, 0x0
	.amdhsa_kernel _ZN9rocsparseL42csr2bsr_wavefront_per_row_multipass_kernelILj256ELj32ELj8EdliEEv20rocsparse_direction_T4_S2_S2_S2_S2_21rocsparse_index_base_PKT2_PKT3_PKS2_S3_PS4_PS7_PS2_
		.amdhsa_group_segment_fixed_size 4104
		.amdhsa_private_segment_fixed_size 0
		.amdhsa_kernarg_size 88
		.amdhsa_user_sgpr_count 2
		.amdhsa_user_sgpr_dispatch_ptr 0
		.amdhsa_user_sgpr_queue_ptr 0
		.amdhsa_user_sgpr_kernarg_segment_ptr 1
		.amdhsa_user_sgpr_dispatch_id 0
		.amdhsa_user_sgpr_kernarg_preload_length 0
		.amdhsa_user_sgpr_kernarg_preload_offset 0
		.amdhsa_user_sgpr_private_segment_size 0
		.amdhsa_wavefront_size32 1
		.amdhsa_uses_dynamic_stack 0
		.amdhsa_enable_private_segment 0
		.amdhsa_system_sgpr_workgroup_id_x 1
		.amdhsa_system_sgpr_workgroup_id_y 0
		.amdhsa_system_sgpr_workgroup_id_z 0
		.amdhsa_system_sgpr_workgroup_info 0
		.amdhsa_system_vgpr_workitem_id 0
		.amdhsa_next_free_vgpr 48
		.amdhsa_next_free_sgpr 24
		.amdhsa_named_barrier_count 0
		.amdhsa_reserve_vcc 1
		.amdhsa_float_round_mode_32 0
		.amdhsa_float_round_mode_16_64 0
		.amdhsa_float_denorm_mode_32 3
		.amdhsa_float_denorm_mode_16_64 3
		.amdhsa_fp16_overflow 0
		.amdhsa_memory_ordered 1
		.amdhsa_forward_progress 1
		.amdhsa_inst_pref_size 13
		.amdhsa_round_robin_scheduling 0
		.amdhsa_exception_fp_ieee_invalid_op 0
		.amdhsa_exception_fp_denorm_src 0
		.amdhsa_exception_fp_ieee_div_zero 0
		.amdhsa_exception_fp_ieee_overflow 0
		.amdhsa_exception_fp_ieee_underflow 0
		.amdhsa_exception_fp_ieee_inexact 0
		.amdhsa_exception_int_div_zero 0
	.end_amdhsa_kernel
	.section	.text._ZN9rocsparseL42csr2bsr_wavefront_per_row_multipass_kernelILj256ELj32ELj8EdliEEv20rocsparse_direction_T4_S2_S2_S2_S2_21rocsparse_index_base_PKT2_PKT3_PKS2_S3_PS4_PS7_PS2_,"axG",@progbits,_ZN9rocsparseL42csr2bsr_wavefront_per_row_multipass_kernelILj256ELj32ELj8EdliEEv20rocsparse_direction_T4_S2_S2_S2_S2_21rocsparse_index_base_PKT2_PKT3_PKS2_S3_PS4_PS7_PS2_,comdat
.Lfunc_end120:
	.size	_ZN9rocsparseL42csr2bsr_wavefront_per_row_multipass_kernelILj256ELj32ELj8EdliEEv20rocsparse_direction_T4_S2_S2_S2_S2_21rocsparse_index_base_PKT2_PKT3_PKS2_S3_PS4_PS7_PS2_, .Lfunc_end120-_ZN9rocsparseL42csr2bsr_wavefront_per_row_multipass_kernelILj256ELj32ELj8EdliEEv20rocsparse_direction_T4_S2_S2_S2_S2_21rocsparse_index_base_PKT2_PKT3_PKS2_S3_PS4_PS7_PS2_
                                        ; -- End function
	.set _ZN9rocsparseL42csr2bsr_wavefront_per_row_multipass_kernelILj256ELj32ELj8EdliEEv20rocsparse_direction_T4_S2_S2_S2_S2_21rocsparse_index_base_PKT2_PKT3_PKS2_S3_PS4_PS7_PS2_.num_vgpr, 48
	.set _ZN9rocsparseL42csr2bsr_wavefront_per_row_multipass_kernelILj256ELj32ELj8EdliEEv20rocsparse_direction_T4_S2_S2_S2_S2_21rocsparse_index_base_PKT2_PKT3_PKS2_S3_PS4_PS7_PS2_.num_agpr, 0
	.set _ZN9rocsparseL42csr2bsr_wavefront_per_row_multipass_kernelILj256ELj32ELj8EdliEEv20rocsparse_direction_T4_S2_S2_S2_S2_21rocsparse_index_base_PKT2_PKT3_PKS2_S3_PS4_PS7_PS2_.numbered_sgpr, 24
	.set _ZN9rocsparseL42csr2bsr_wavefront_per_row_multipass_kernelILj256ELj32ELj8EdliEEv20rocsparse_direction_T4_S2_S2_S2_S2_21rocsparse_index_base_PKT2_PKT3_PKS2_S3_PS4_PS7_PS2_.num_named_barrier, 0
	.set _ZN9rocsparseL42csr2bsr_wavefront_per_row_multipass_kernelILj256ELj32ELj8EdliEEv20rocsparse_direction_T4_S2_S2_S2_S2_21rocsparse_index_base_PKT2_PKT3_PKS2_S3_PS4_PS7_PS2_.private_seg_size, 0
	.set _ZN9rocsparseL42csr2bsr_wavefront_per_row_multipass_kernelILj256ELj32ELj8EdliEEv20rocsparse_direction_T4_S2_S2_S2_S2_21rocsparse_index_base_PKT2_PKT3_PKS2_S3_PS4_PS7_PS2_.uses_vcc, 1
	.set _ZN9rocsparseL42csr2bsr_wavefront_per_row_multipass_kernelILj256ELj32ELj8EdliEEv20rocsparse_direction_T4_S2_S2_S2_S2_21rocsparse_index_base_PKT2_PKT3_PKS2_S3_PS4_PS7_PS2_.uses_flat_scratch, 0
	.set _ZN9rocsparseL42csr2bsr_wavefront_per_row_multipass_kernelILj256ELj32ELj8EdliEEv20rocsparse_direction_T4_S2_S2_S2_S2_21rocsparse_index_base_PKT2_PKT3_PKS2_S3_PS4_PS7_PS2_.has_dyn_sized_stack, 0
	.set _ZN9rocsparseL42csr2bsr_wavefront_per_row_multipass_kernelILj256ELj32ELj8EdliEEv20rocsparse_direction_T4_S2_S2_S2_S2_21rocsparse_index_base_PKT2_PKT3_PKS2_S3_PS4_PS7_PS2_.has_recursion, 0
	.set _ZN9rocsparseL42csr2bsr_wavefront_per_row_multipass_kernelILj256ELj32ELj8EdliEEv20rocsparse_direction_T4_S2_S2_S2_S2_21rocsparse_index_base_PKT2_PKT3_PKS2_S3_PS4_PS7_PS2_.has_indirect_call, 0
	.section	.AMDGPU.csdata,"",@progbits
; Kernel info:
; codeLenInByte = 1600
; TotalNumSgprs: 26
; NumVgprs: 48
; ScratchSize: 0
; MemoryBound: 0
; FloatMode: 240
; IeeeMode: 1
; LDSByteSize: 4104 bytes/workgroup (compile time only)
; SGPRBlocks: 0
; VGPRBlocks: 2
; NumSGPRsForWavesPerEU: 26
; NumVGPRsForWavesPerEU: 48
; NamedBarCnt: 0
; Occupancy: 16
; WaveLimiterHint : 0
; COMPUTE_PGM_RSRC2:SCRATCH_EN: 0
; COMPUTE_PGM_RSRC2:USER_SGPR: 2
; COMPUTE_PGM_RSRC2:TRAP_HANDLER: 0
; COMPUTE_PGM_RSRC2:TGID_X_EN: 1
; COMPUTE_PGM_RSRC2:TGID_Y_EN: 0
; COMPUTE_PGM_RSRC2:TGID_Z_EN: 0
; COMPUTE_PGM_RSRC2:TIDIG_COMP_CNT: 0
	.section	.text._ZN9rocsparseL42csr2bsr_wavefront_per_row_multipass_kernelILj256ELj64ELj16EdliEEv20rocsparse_direction_T4_S2_S2_S2_S2_21rocsparse_index_base_PKT2_PKT3_PKS2_S3_PS4_PS7_PS2_,"axG",@progbits,_ZN9rocsparseL42csr2bsr_wavefront_per_row_multipass_kernelILj256ELj64ELj16EdliEEv20rocsparse_direction_T4_S2_S2_S2_S2_21rocsparse_index_base_PKT2_PKT3_PKS2_S3_PS4_PS7_PS2_,comdat
	.globl	_ZN9rocsparseL42csr2bsr_wavefront_per_row_multipass_kernelILj256ELj64ELj16EdliEEv20rocsparse_direction_T4_S2_S2_S2_S2_21rocsparse_index_base_PKT2_PKT3_PKS2_S3_PS4_PS7_PS2_ ; -- Begin function _ZN9rocsparseL42csr2bsr_wavefront_per_row_multipass_kernelILj256ELj64ELj16EdliEEv20rocsparse_direction_T4_S2_S2_S2_S2_21rocsparse_index_base_PKT2_PKT3_PKS2_S3_PS4_PS7_PS2_
	.p2align	8
	.type	_ZN9rocsparseL42csr2bsr_wavefront_per_row_multipass_kernelILj256ELj64ELj16EdliEEv20rocsparse_direction_T4_S2_S2_S2_S2_21rocsparse_index_base_PKT2_PKT3_PKS2_S3_PS4_PS7_PS2_,@function
_ZN9rocsparseL42csr2bsr_wavefront_per_row_multipass_kernelILj256ELj64ELj16EdliEEv20rocsparse_direction_T4_S2_S2_S2_S2_21rocsparse_index_base_PKT2_PKT3_PKS2_S3_PS4_PS7_PS2_: ; @_ZN9rocsparseL42csr2bsr_wavefront_per_row_multipass_kernelILj256ELj64ELj16EdliEEv20rocsparse_direction_T4_S2_S2_S2_S2_21rocsparse_index_base_PKT2_PKT3_PKS2_S3_PS4_PS7_PS2_
; %bb.0:
	s_clause 0x1
	s_load_b128 s[4:7], s[0:1], 0xc
	s_load_b64 s[16:17], s[0:1], 0x0
	s_bfe_u32 s2, ttmp6, 0x4000c
	s_and_b32 s3, ttmp6, 15
	s_add_co_i32 s2, s2, 1
	s_getreg_b32 s8, hwreg(HW_REG_IB_STS2, 6, 4)
	s_mul_i32 s2, ttmp9, s2
	v_lshrrev_b32_e32 v38, 6, v0
	s_add_co_i32 s3, s3, s2
	s_cmp_eq_u32 s8, 0
	v_bfe_u32 v10, v0, 2, 4
	s_cselect_b32 s2, ttmp9, s3
	s_load_b64 s[8:9], s[0:1], 0x28
	v_lshl_or_b32 v1, s2, 2, v38
	v_mov_b64_e32 v[2:3], 0
	v_mov_b64_e32 v[14:15], 0
	s_mov_b32 s3, 0
	s_wait_kmcnt 0x0
	v_mad_u32 v4, v1, s6, v10
	v_cmp_gt_i32_e32 vcc_lo, s6, v10
	s_delay_alu instid0(VALU_DEP_2) | instskip(SKIP_1) | instid1(SALU_CYCLE_1)
	v_cmp_gt_i32_e64 s2, s17, v4
	s_and_b32 s10, vcc_lo, s2
	s_and_saveexec_b32 s11, s10
	s_cbranch_execz .LBB121_2
; %bb.1:
	global_load_b64 v[6:7], v4, s[8:9] scale_offset
	s_mov_b32 s2, s7
	s_wait_loadcnt 0x0
	v_sub_nc_u64_e64 v[14:15], v[6:7], s[2:3]
.LBB121_2:
	s_or_b32 exec_lo, exec_lo, s11
	s_and_saveexec_b32 s2, s10
	s_cbranch_execz .LBB121_4
; %bb.3:
	global_load_b64 v[2:3], v4, s[8:9] offset:8 scale_offset
	s_wait_xcnt 0x0
	s_mov_b32 s9, 0
	s_mov_b32 s8, s7
	s_wait_loadcnt 0x0
	v_sub_nc_u64_e64 v[2:3], v[2:3], s[8:9]
.LBB121_4:
	s_or_b32 exec_lo, exec_lo, s2
	s_load_b32 s8, s[0:1], 0x38
	v_mov_b64_e32 v[4:5], 0
	s_mov_b32 s3, exec_lo
	v_cmpx_gt_i32_e64 s4, v1
	s_cbranch_execz .LBB121_6
; %bb.5:
	s_load_b64 s[10:11], s[0:1], 0x48
	s_mov_b32 s9, 0
	s_wait_kmcnt 0x0
	global_load_b64 v[4:5], v1, s[10:11] scale_offset
	s_wait_loadcnt 0x0
	v_sub_nc_u64_e64 v[4:5], v[4:5], s[8:9]
.LBB121_6:
	s_or_b32 exec_lo, exec_lo, s3
	s_cmp_lt_i32 s5, 1
	s_cbranch_scc1 .LBB121_39
; %bb.7:
	s_clause 0x3
	s_load_b64 s[2:3], s[0:1], 0x40
	s_load_b64 s[10:11], s[0:1], 0x50
	;; [unrolled: 1-line block ×4, first 2 shown]
	v_dual_lshlrev_b32 v1, 7, v10 :: v_dual_bitop2_b32 v0, 3, v0 bitop3:0x40
	v_dual_mov_b32 v7, 0 :: v_dual_lshlrev_b32 v6, 3, v10
	v_mbcnt_lo_u32_b32 v12, -1, 0
	s_cmp_lg_u32 s16, 0
	s_delay_alu instid0(VALU_DEP_3) | instskip(NEXT) | instid1(VALU_DEP_3)
	v_lshl_or_b32 v39, v38, 11, v1
	v_mov_b32_e32 v1, v7
	s_cselect_b32 s4, -1, 0
	v_xor_b32_e32 v11, 2, v12
	s_abs_i32 s9, s6
	v_lshl_or_b32 v40, v12, 2, 12
	s_wait_xcnt 0x0
	s_cvt_f32_u32 s1, s9
	s_mov_b32 s17, 0
	v_cmp_gt_i32_e64 s0, 32, v11
	v_xor_b32_e32 v13, 1, v12
	s_wait_kmcnt 0x0
	v_add_nc_u64_e32 v[8:9], s[2:3], v[6:7]
	v_mul_lo_u32 v6, s6, v10
	v_rcp_iflag_f32_e32 v18, s1
	v_cndmask_b32_e64 v10, v12, v11, s0
	v_cmp_gt_i32_e64 s0, 32, v13
	v_or_b32_e32 v16, 32, v12
	s_mov_b32 s16, s6
	v_dual_mov_b32 v19, v7 :: v_dual_bitop2_b32 v20, 12, v0 bitop3:0x54
	v_dual_cndmask_b32 v11, v12, v13, s0 :: v_dual_bitop2_b32 v13, 16, v12 bitop3:0x14
	v_lshlrev_b32_e32 v42, 2, v10
	v_cmp_gt_i32_e64 s0, 32, v16
	s_delay_alu instid0(VALU_DEP_3)
	v_dual_lshlrev_b32 v43, 2, v11 :: v_dual_bitop2_b32 v17, 8, v12 bitop3:0x14
	v_lshl_add_u64 v[10:11], v[6:7], 3, s[2:3]
	s_mul_u64 s[18:19], s[16:17], s[16:17]
	v_cndmask_b32_e64 v6, v12, v16, s0
	v_cmp_gt_i32_e64 s0, 32, v13
	s_lshl_b32 s16, s6, 2
	v_readfirstlane_b32 s20, v18
	v_cmp_gt_u32_e64 s3, s6, v20
	v_mov_b64_e32 v[26:27], 0
	v_cndmask_b32_e64 v13, v12, v13, s0
	v_cmp_gt_i32_e64 s0, 32, v17
	v_dual_lshlrev_b32 v44, 2, v6 :: v_dual_bitop2_b32 v16, 4, v12 bitop3:0x14
	v_or_b32_e32 v6, 4, v0
	s_mul_f32 s21, s20, 0x4f7ffffe
	v_cndmask_b32_e64 v17, v12, v17, s0
	s_delay_alu instid0(VALU_DEP_3) | instskip(SKIP_2) | instid1(VALU_DEP_4)
	v_cmp_gt_i32_e64 s0, 32, v16
	v_mov_b64_e32 v[22:23], 0
	v_cmp_gt_u32_e64 s1, s6, v6
	v_dual_lshlrev_b32 v46, 2, v17 :: v_dual_bitop2_b32 v6, 8, v0 bitop3:0x54
	s_delay_alu instid0(VALU_DEP_4) | instskip(SKIP_3) | instid1(VALU_DEP_4)
	v_cndmask_b32_e64 v16, v12, v16, s0
	v_mul_lo_u32 v12, v0, s6
	v_dual_lshlrev_b32 v45, 2, v13 :: v_dual_mov_b32 v13, v7
	v_cmp_gt_u32_e64 s0, s6, v0
	v_dual_lshlrev_b32 v47, 2, v16 :: v_dual_mov_b32 v17, v7
	v_mov_b32_e32 v21, v7
	v_cmp_gt_u32_e64 s2, s6, v6
	s_and_b32 s20, s0, vcc_lo
	s_cvt_u32_f32 s0, s21
	v_lshl_or_b32 v41, v0, 3, v39
	v_add_nc_u32_e32 v16, s16, v12
	v_bfrev_b32_e32 v48, 0.5
	v_dual_mov_b32 v49, 1 :: v_dual_lshlrev_b32 v24, 3, v0
	s_and_b32 s1, vcc_lo, s1
	s_delay_alu instid0(VALU_DEP_3)
	v_add_nc_u32_e32 v18, s16, v16
	s_and_b32 s2, vcc_lo, s2
	s_and_b32 s3, vcc_lo, s3
	s_ashr_i32 s21, s6, 31
	s_mov_b32 s22, s17
	v_add_nc_u32_e32 v20, s16, v18
	s_sub_co_i32 s16, 0, s9
	s_delay_alu instid0(SALU_CYCLE_1) | instskip(NEXT) | instid1(SALU_CYCLE_1)
	s_mul_i32 s16, s16, s0
	s_mul_hi_u32 s16, s0, s16
	s_delay_alu instid0(SALU_CYCLE_1)
	s_add_co_i32 s16, s0, s16
	s_branch .LBB121_10
.LBB121_8:                              ;   in Loop: Header=BB121_10 Depth=1
	s_wait_xcnt 0x0
	s_or_b32 exec_lo, exec_lo, s23
	v_mov_b64_e32 v[28:29], 1
.LBB121_9:                              ;   in Loop: Header=BB121_10 Depth=1
	s_or_b32 exec_lo, exec_lo, s0
	ds_bpermute_b32 v6, v44, v50
	v_add_nc_u64_e32 v[4:5], v[28:29], v[4:5]
	s_wait_storecnt_dscnt 0x0
	v_min_i32_e32 v6, v6, v50
	ds_bpermute_b32 v25, v45, v6
	s_wait_dscnt 0x0
	v_min_i32_e32 v6, v25, v6
	ds_bpermute_b32 v25, v46, v6
	s_wait_dscnt 0x0
	;; [unrolled: 3-line block ×6, first 2 shown]
	v_cmp_le_i32_e32 vcc_lo, s5, v26
	v_ashrrev_i32_e32 v27, 31, v26
	s_or_b32 s22, vcc_lo, s22
	s_delay_alu instid0(SALU_CYCLE_1)
	s_and_not1_b32 exec_lo, exec_lo, s22
	s_cbranch_execz .LBB121_39
.LBB121_10:                             ; =>This Loop Header: Depth=1
                                        ;     Child Loop BB121_13 Depth 2
	v_add_nc_u64_e32 v[14:15], v[14:15], v[0:1]
	v_mov_b64_e32 v[32:33], v[2:3]
	v_mov_b32_e32 v50, s5
	s_mov_b32 s23, exec_lo
	ds_store_b8 v38, v7 offset:8192
	ds_store_2addr_b64 v41, v[22:23], v[22:23] offset1:4
	ds_store_2addr_b64 v41, v[22:23], v[22:23] offset0:8 offset1:12
	s_wait_dscnt 0x0
	v_cmpx_lt_i64_e64 v[14:15], v[2:3]
	s_cbranch_execz .LBB121_18
; %bb.11:                               ;   in Loop: Header=BB121_10 Depth=1
	v_mov_b64_e32 v[32:33], v[2:3]
	v_lshl_add_u64 v[28:29], v[14:15], 3, s[12:13]
	v_lshl_add_u64 v[30:31], v[14:15], 2, s[14:15]
	v_mov_b32_e32 v50, s5
	s_mov_b32 s24, 0
	s_branch .LBB121_13
.LBB121_12:                             ;   in Loop: Header=BB121_13 Depth=2
	s_wait_xcnt 0x0
	s_or_b32 exec_lo, exec_lo, s0
	v_add_nc_u64_e32 v[14:15], 4, v[14:15]
	s_xor_b32 s25, vcc_lo, -1
	v_add_nc_u64_e32 v[28:29], 32, v[28:29]
	v_add_nc_u64_e32 v[30:31], 16, v[30:31]
	s_delay_alu instid0(VALU_DEP_3) | instskip(SKIP_1) | instid1(SALU_CYCLE_1)
	v_cmp_ge_i64_e64 s0, v[14:15], v[2:3]
	s_or_b32 s0, s25, s0
	s_and_b32 s0, exec_lo, s0
	s_delay_alu instid0(SALU_CYCLE_1) | instskip(NEXT) | instid1(SALU_CYCLE_1)
	s_or_b32 s24, s0, s24
	s_and_not1_b32 exec_lo, exec_lo, s24
	s_cbranch_execz .LBB121_17
.LBB121_13:                             ;   Parent Loop BB121_10 Depth=1
                                        ; =>  This Inner Loop Header: Depth=2
	global_load_b32 v6, v[30:31], off
	s_wait_loadcnt 0x0
	v_subrev_nc_u32_e32 v25, s7, v6
	s_delay_alu instid0(VALU_DEP_1) | instskip(NEXT) | instid1(VALU_DEP_1)
	v_sub_nc_u32_e32 v6, 0, v25
	v_max_i32_e32 v6, v25, v6
	s_delay_alu instid0(VALU_DEP_1) | instskip(NEXT) | instid1(VALU_DEP_1)
	v_mul_u64_e32 v[34:35], s[16:17], v[6:7]
	v_mul_lo_u32 v34, v35, s9
	s_delay_alu instid0(VALU_DEP_1) | instskip(NEXT) | instid1(VALU_DEP_1)
	v_dual_sub_nc_u32 v6, v6, v34 :: v_dual_add_nc_u32 v34, 1, v35
	v_cmp_le_u32_e32 vcc_lo, s9, v6
	s_delay_alu instid0(VALU_DEP_2) | instskip(SKIP_1) | instid1(VALU_DEP_1)
	v_cndmask_b32_e32 v34, v35, v34, vcc_lo
	v_subrev_nc_u32_e32 v36, s9, v6
	v_dual_cndmask_b32 v6, v6, v36 :: v_dual_ashrrev_i32 v35, 31, v25
	s_delay_alu instid0(VALU_DEP_3) | instskip(NEXT) | instid1(VALU_DEP_2)
	v_add_nc_u32_e32 v36, 1, v34
	v_cmp_le_u32_e32 vcc_lo, s9, v6
	s_delay_alu instid0(VALU_DEP_2) | instskip(SKIP_1) | instid1(VALU_DEP_2)
	v_dual_cndmask_b32 v6, v34, v36, vcc_lo :: v_dual_bitop2_b32 v35, s21, v35 bitop3:0x14
	v_mov_b64_e32 v[36:37], v[32:33]
	v_xor_b32_e32 v6, v6, v35
	s_delay_alu instid0(VALU_DEP_1) | instskip(NEXT) | instid1(VALU_DEP_1)
	v_sub_nc_u32_e32 v34, v6, v35
	v_ashrrev_i32_e32 v35, 31, v34
	s_delay_alu instid0(VALU_DEP_1) | instskip(SKIP_3) | instid1(SALU_CYCLE_1)
	v_cmp_ne_u64_e64 s0, v[26:27], v[34:35]
	v_cmp_eq_u64_e32 vcc_lo, v[26:27], v[34:35]
	s_wait_xcnt 0x0
	s_and_saveexec_b32 s25, s0
	s_xor_b32 s0, exec_lo, s25
; %bb.14:                               ;   in Loop: Header=BB121_13 Depth=2
	v_min_i32_e32 v50, v34, v50
                                        ; implicit-def: $vgpr34
                                        ; implicit-def: $vgpr25
                                        ; implicit-def: $vgpr36_vgpr37
; %bb.15:                               ;   in Loop: Header=BB121_13 Depth=2
	s_or_saveexec_b32 s0, s0
	v_mov_b64_e32 v[32:33], v[14:15]
	s_xor_b32 exec_lo, exec_lo, s0
	s_cbranch_execz .LBB121_12
; %bb.16:                               ;   in Loop: Header=BB121_13 Depth=2
	global_load_b64 v[52:53], v[28:29], off
	v_mul_lo_u32 v6, v34, s6
	v_mov_b64_e32 v[32:33], v[36:37]
	s_delay_alu instid0(VALU_DEP_2) | instskip(NEXT) | instid1(VALU_DEP_1)
	v_sub_nc_u32_e32 v6, v25, v6
	v_lshl_add_u32 v6, v6, 3, v39
	ds_store_b8 v38, v49 offset:8192
	s_wait_loadcnt 0x0
	ds_store_b64 v6, v[52:53]
	s_branch .LBB121_12
.LBB121_17:                             ;   in Loop: Header=BB121_10 Depth=1
	s_or_b32 exec_lo, exec_lo, s24
.LBB121_18:                             ;   in Loop: Header=BB121_10 Depth=1
	s_delay_alu instid0(SALU_CYCLE_1)
	s_or_b32 exec_lo, exec_lo, s23
	ds_bpermute_b32 v14, v42, v32
	ds_bpermute_b32 v15, v42, v33
	s_wait_dscnt 0x0
	ds_load_u8 v6, v38 offset:8192
	s_mov_b32 s0, exec_lo
	v_min_i64 v[14:15], v[14:15], v[32:33]
	s_wait_dscnt 0x0
	v_and_b32_e32 v6, 1, v6
	ds_bpermute_b32 v28, v43, v14
	ds_bpermute_b32 v29, v43, v15
	s_wait_dscnt 0x0
	v_min_i64 v[14:15], v[28:29], v[14:15]
	v_mov_b64_e32 v[28:29], 0
	ds_bpermute_b32 v14, v40, v14
	ds_bpermute_b32 v15, v40, v15
	v_cmpx_eq_u32_e32 1, v6
	s_cbranch_execz .LBB121_9
; %bb.19:                               ;   in Loop: Header=BB121_10 Depth=1
	v_mul_u64_e32 v[28:29], s[18:19], v[4:5]
	v_add_nc_u32_e32 v6, s8, v26
	s_delay_alu instid0(VALU_DEP_2) | instskip(NEXT) | instid1(VALU_DEP_1)
	v_lshlrev_b64_e32 v[30:31], 3, v[28:29]
	v_add_nc_u64_e32 v[28:29], v[8:9], v[30:31]
	v_add_nc_u64_e32 v[26:27], v[10:11], v[30:31]
	v_lshl_add_u64 v[30:31], v[4:5], 2, s[10:11]
	global_store_b32 v[30:31], v6, off
	s_wait_xcnt 0x0
	s_and_saveexec_b32 s23, s20
	s_cbranch_execz .LBB121_23
; %bb.20:                               ;   in Loop: Header=BB121_10 Depth=1
	ds_load_b64 v[30:31], v41
	s_and_b32 vcc_lo, exec_lo, s4
	s_cbranch_vccz .LBB121_34
; %bb.21:                               ;   in Loop: Header=BB121_10 Depth=1
	v_lshl_add_u64 v[32:33], v[12:13], 3, v[28:29]
	s_wait_dscnt 0x0
	global_store_b64 v[32:33], v[30:31], off
	s_cbranch_execnz .LBB121_23
.LBB121_22:                             ;   in Loop: Header=BB121_10 Depth=1
	v_mov_b32_e32 v25, v7
	s_wait_xcnt 0x0
	s_delay_alu instid0(VALU_DEP_1)
	v_add_nc_u64_e32 v[32:33], v[26:27], v[24:25]
	s_wait_dscnt 0x0
	global_store_b64 v[32:33], v[30:31], off
.LBB121_23:                             ;   in Loop: Header=BB121_10 Depth=1
	s_wait_xcnt 0x0
	s_or_b32 exec_lo, exec_lo, s23
	s_and_saveexec_b32 s23, s1
	s_cbranch_execz .LBB121_27
; %bb.24:                               ;   in Loop: Header=BB121_10 Depth=1
	s_and_not1_b32 vcc_lo, exec_lo, s4
	s_cbranch_vccnz .LBB121_35
; %bb.25:                               ;   in Loop: Header=BB121_10 Depth=1
	s_wait_dscnt 0x0
	ds_load_b64 v[30:31], v41 offset:32
	v_lshl_add_u64 v[32:33], v[16:17], 3, v[28:29]
	s_wait_dscnt 0x0
	global_store_b64 v[32:33], v[30:31], off
	s_cbranch_execnz .LBB121_27
.LBB121_26:                             ;   in Loop: Header=BB121_10 Depth=1
	s_wait_dscnt 0x0
	s_wait_xcnt 0x0
	ds_load_b64 v[30:31], v41 offset:32
	v_mov_b32_e32 v25, v7
	s_delay_alu instid0(VALU_DEP_1)
	v_add_nc_u64_e32 v[32:33], v[26:27], v[24:25]
	s_wait_dscnt 0x0
	global_store_b64 v[32:33], v[30:31], off offset:32
.LBB121_27:                             ;   in Loop: Header=BB121_10 Depth=1
	s_wait_xcnt 0x0
	s_or_b32 exec_lo, exec_lo, s23
	s_and_saveexec_b32 s23, s2
	s_cbranch_execz .LBB121_31
; %bb.28:                               ;   in Loop: Header=BB121_10 Depth=1
	s_and_not1_b32 vcc_lo, exec_lo, s4
	s_cbranch_vccnz .LBB121_36
; %bb.29:                               ;   in Loop: Header=BB121_10 Depth=1
	s_wait_dscnt 0x0
	ds_load_b64 v[30:31], v41 offset:64
	v_lshl_add_u64 v[32:33], v[18:19], 3, v[28:29]
	s_wait_dscnt 0x0
	global_store_b64 v[32:33], v[30:31], off
	s_cbranch_execnz .LBB121_31
.LBB121_30:                             ;   in Loop: Header=BB121_10 Depth=1
	s_wait_dscnt 0x0
	s_wait_xcnt 0x0
	ds_load_b64 v[30:31], v41 offset:64
	v_mov_b32_e32 v25, v7
	s_delay_alu instid0(VALU_DEP_1)
	v_add_nc_u64_e32 v[32:33], v[26:27], v[24:25]
	s_wait_dscnt 0x0
	global_store_b64 v[32:33], v[30:31], off offset:64
.LBB121_31:                             ;   in Loop: Header=BB121_10 Depth=1
	s_wait_xcnt 0x0
	s_or_b32 exec_lo, exec_lo, s23
	s_and_saveexec_b32 s23, s3
	s_cbranch_execz .LBB121_8
; %bb.32:                               ;   in Loop: Header=BB121_10 Depth=1
	s_and_not1_b32 vcc_lo, exec_lo, s4
	s_cbranch_vccnz .LBB121_37
; %bb.33:                               ;   in Loop: Header=BB121_10 Depth=1
	s_wait_dscnt 0x0
	ds_load_b64 v[30:31], v41 offset:96
	v_lshl_add_u64 v[28:29], v[20:21], 3, v[28:29]
	s_wait_dscnt 0x0
	global_store_b64 v[28:29], v[30:31], off
	s_cbranch_execnz .LBB121_8
	s_branch .LBB121_38
.LBB121_34:                             ;   in Loop: Header=BB121_10 Depth=1
	s_branch .LBB121_22
.LBB121_35:                             ;   in Loop: Header=BB121_10 Depth=1
	s_branch .LBB121_26
.LBB121_36:                             ;   in Loop: Header=BB121_10 Depth=1
	s_branch .LBB121_30
.LBB121_37:                             ;   in Loop: Header=BB121_10 Depth=1
.LBB121_38:                             ;   in Loop: Header=BB121_10 Depth=1
	s_wait_xcnt 0x0
	ds_load_b64 v[28:29], v41 offset:96
	v_mov_b32_e32 v25, v7
	s_delay_alu instid0(VALU_DEP_1)
	v_add_nc_u64_e32 v[26:27], v[26:27], v[24:25]
	s_wait_dscnt 0x0
	global_store_b64 v[26:27], v[28:29], off offset:96
	s_branch .LBB121_8
.LBB121_39:
	s_endpgm
	.section	.rodata,"a",@progbits
	.p2align	6, 0x0
	.amdhsa_kernel _ZN9rocsparseL42csr2bsr_wavefront_per_row_multipass_kernelILj256ELj64ELj16EdliEEv20rocsparse_direction_T4_S2_S2_S2_S2_21rocsparse_index_base_PKT2_PKT3_PKS2_S3_PS4_PS7_PS2_
		.amdhsa_group_segment_fixed_size 8200
		.amdhsa_private_segment_fixed_size 0
		.amdhsa_kernarg_size 88
		.amdhsa_user_sgpr_count 2
		.amdhsa_user_sgpr_dispatch_ptr 0
		.amdhsa_user_sgpr_queue_ptr 0
		.amdhsa_user_sgpr_kernarg_segment_ptr 1
		.amdhsa_user_sgpr_dispatch_id 0
		.amdhsa_user_sgpr_kernarg_preload_length 0
		.amdhsa_user_sgpr_kernarg_preload_offset 0
		.amdhsa_user_sgpr_private_segment_size 0
		.amdhsa_wavefront_size32 1
		.amdhsa_uses_dynamic_stack 0
		.amdhsa_enable_private_segment 0
		.amdhsa_system_sgpr_workgroup_id_x 1
		.amdhsa_system_sgpr_workgroup_id_y 0
		.amdhsa_system_sgpr_workgroup_id_z 0
		.amdhsa_system_sgpr_workgroup_info 0
		.amdhsa_system_vgpr_workitem_id 0
		.amdhsa_next_free_vgpr 54
		.amdhsa_next_free_sgpr 26
		.amdhsa_named_barrier_count 0
		.amdhsa_reserve_vcc 1
		.amdhsa_float_round_mode_32 0
		.amdhsa_float_round_mode_16_64 0
		.amdhsa_float_denorm_mode_32 3
		.amdhsa_float_denorm_mode_16_64 3
		.amdhsa_fp16_overflow 0
		.amdhsa_memory_ordered 1
		.amdhsa_forward_progress 1
		.amdhsa_inst_pref_size 16
		.amdhsa_round_robin_scheduling 0
		.amdhsa_exception_fp_ieee_invalid_op 0
		.amdhsa_exception_fp_denorm_src 0
		.amdhsa_exception_fp_ieee_div_zero 0
		.amdhsa_exception_fp_ieee_overflow 0
		.amdhsa_exception_fp_ieee_underflow 0
		.amdhsa_exception_fp_ieee_inexact 0
		.amdhsa_exception_int_div_zero 0
	.end_amdhsa_kernel
	.section	.text._ZN9rocsparseL42csr2bsr_wavefront_per_row_multipass_kernelILj256ELj64ELj16EdliEEv20rocsparse_direction_T4_S2_S2_S2_S2_21rocsparse_index_base_PKT2_PKT3_PKS2_S3_PS4_PS7_PS2_,"axG",@progbits,_ZN9rocsparseL42csr2bsr_wavefront_per_row_multipass_kernelILj256ELj64ELj16EdliEEv20rocsparse_direction_T4_S2_S2_S2_S2_21rocsparse_index_base_PKT2_PKT3_PKS2_S3_PS4_PS7_PS2_,comdat
.Lfunc_end121:
	.size	_ZN9rocsparseL42csr2bsr_wavefront_per_row_multipass_kernelILj256ELj64ELj16EdliEEv20rocsparse_direction_T4_S2_S2_S2_S2_21rocsparse_index_base_PKT2_PKT3_PKS2_S3_PS4_PS7_PS2_, .Lfunc_end121-_ZN9rocsparseL42csr2bsr_wavefront_per_row_multipass_kernelILj256ELj64ELj16EdliEEv20rocsparse_direction_T4_S2_S2_S2_S2_21rocsparse_index_base_PKT2_PKT3_PKS2_S3_PS4_PS7_PS2_
                                        ; -- End function
	.set _ZN9rocsparseL42csr2bsr_wavefront_per_row_multipass_kernelILj256ELj64ELj16EdliEEv20rocsparse_direction_T4_S2_S2_S2_S2_21rocsparse_index_base_PKT2_PKT3_PKS2_S3_PS4_PS7_PS2_.num_vgpr, 54
	.set _ZN9rocsparseL42csr2bsr_wavefront_per_row_multipass_kernelILj256ELj64ELj16EdliEEv20rocsparse_direction_T4_S2_S2_S2_S2_21rocsparse_index_base_PKT2_PKT3_PKS2_S3_PS4_PS7_PS2_.num_agpr, 0
	.set _ZN9rocsparseL42csr2bsr_wavefront_per_row_multipass_kernelILj256ELj64ELj16EdliEEv20rocsparse_direction_T4_S2_S2_S2_S2_21rocsparse_index_base_PKT2_PKT3_PKS2_S3_PS4_PS7_PS2_.numbered_sgpr, 26
	.set _ZN9rocsparseL42csr2bsr_wavefront_per_row_multipass_kernelILj256ELj64ELj16EdliEEv20rocsparse_direction_T4_S2_S2_S2_S2_21rocsparse_index_base_PKT2_PKT3_PKS2_S3_PS4_PS7_PS2_.num_named_barrier, 0
	.set _ZN9rocsparseL42csr2bsr_wavefront_per_row_multipass_kernelILj256ELj64ELj16EdliEEv20rocsparse_direction_T4_S2_S2_S2_S2_21rocsparse_index_base_PKT2_PKT3_PKS2_S3_PS4_PS7_PS2_.private_seg_size, 0
	.set _ZN9rocsparseL42csr2bsr_wavefront_per_row_multipass_kernelILj256ELj64ELj16EdliEEv20rocsparse_direction_T4_S2_S2_S2_S2_21rocsparse_index_base_PKT2_PKT3_PKS2_S3_PS4_PS7_PS2_.uses_vcc, 1
	.set _ZN9rocsparseL42csr2bsr_wavefront_per_row_multipass_kernelILj256ELj64ELj16EdliEEv20rocsparse_direction_T4_S2_S2_S2_S2_21rocsparse_index_base_PKT2_PKT3_PKS2_S3_PS4_PS7_PS2_.uses_flat_scratch, 0
	.set _ZN9rocsparseL42csr2bsr_wavefront_per_row_multipass_kernelILj256ELj64ELj16EdliEEv20rocsparse_direction_T4_S2_S2_S2_S2_21rocsparse_index_base_PKT2_PKT3_PKS2_S3_PS4_PS7_PS2_.has_dyn_sized_stack, 0
	.set _ZN9rocsparseL42csr2bsr_wavefront_per_row_multipass_kernelILj256ELj64ELj16EdliEEv20rocsparse_direction_T4_S2_S2_S2_S2_21rocsparse_index_base_PKT2_PKT3_PKS2_S3_PS4_PS7_PS2_.has_recursion, 0
	.set _ZN9rocsparseL42csr2bsr_wavefront_per_row_multipass_kernelILj256ELj64ELj16EdliEEv20rocsparse_direction_T4_S2_S2_S2_S2_21rocsparse_index_base_PKT2_PKT3_PKS2_S3_PS4_PS7_PS2_.has_indirect_call, 0
	.section	.AMDGPU.csdata,"",@progbits
; Kernel info:
; codeLenInByte = 1948
; TotalNumSgprs: 28
; NumVgprs: 54
; ScratchSize: 0
; MemoryBound: 0
; FloatMode: 240
; IeeeMode: 1
; LDSByteSize: 8200 bytes/workgroup (compile time only)
; SGPRBlocks: 0
; VGPRBlocks: 3
; NumSGPRsForWavesPerEU: 28
; NumVGPRsForWavesPerEU: 54
; NamedBarCnt: 0
; Occupancy: 16
; WaveLimiterHint : 0
; COMPUTE_PGM_RSRC2:SCRATCH_EN: 0
; COMPUTE_PGM_RSRC2:USER_SGPR: 2
; COMPUTE_PGM_RSRC2:TRAP_HANDLER: 0
; COMPUTE_PGM_RSRC2:TGID_X_EN: 1
; COMPUTE_PGM_RSRC2:TGID_Y_EN: 0
; COMPUTE_PGM_RSRC2:TGID_Z_EN: 0
; COMPUTE_PGM_RSRC2:TIDIG_COMP_CNT: 0
	.section	.text._ZN9rocsparseL42csr2bsr_wavefront_per_row_multipass_kernelILj256ELj32ELj16EdliEEv20rocsparse_direction_T4_S2_S2_S2_S2_21rocsparse_index_base_PKT2_PKT3_PKS2_S3_PS4_PS7_PS2_,"axG",@progbits,_ZN9rocsparseL42csr2bsr_wavefront_per_row_multipass_kernelILj256ELj32ELj16EdliEEv20rocsparse_direction_T4_S2_S2_S2_S2_21rocsparse_index_base_PKT2_PKT3_PKS2_S3_PS4_PS7_PS2_,comdat
	.globl	_ZN9rocsparseL42csr2bsr_wavefront_per_row_multipass_kernelILj256ELj32ELj16EdliEEv20rocsparse_direction_T4_S2_S2_S2_S2_21rocsparse_index_base_PKT2_PKT3_PKS2_S3_PS4_PS7_PS2_ ; -- Begin function _ZN9rocsparseL42csr2bsr_wavefront_per_row_multipass_kernelILj256ELj32ELj16EdliEEv20rocsparse_direction_T4_S2_S2_S2_S2_21rocsparse_index_base_PKT2_PKT3_PKS2_S3_PS4_PS7_PS2_
	.p2align	8
	.type	_ZN9rocsparseL42csr2bsr_wavefront_per_row_multipass_kernelILj256ELj32ELj16EdliEEv20rocsparse_direction_T4_S2_S2_S2_S2_21rocsparse_index_base_PKT2_PKT3_PKS2_S3_PS4_PS7_PS2_,@function
_ZN9rocsparseL42csr2bsr_wavefront_per_row_multipass_kernelILj256ELj32ELj16EdliEEv20rocsparse_direction_T4_S2_S2_S2_S2_21rocsparse_index_base_PKT2_PKT3_PKS2_S3_PS4_PS7_PS2_: ; @_ZN9rocsparseL42csr2bsr_wavefront_per_row_multipass_kernelILj256ELj32ELj16EdliEEv20rocsparse_direction_T4_S2_S2_S2_S2_21rocsparse_index_base_PKT2_PKT3_PKS2_S3_PS4_PS7_PS2_
; %bb.0:
	s_clause 0x1
	s_load_b128 s[8:11], s[0:1], 0xc
	s_load_b64 s[4:5], s[0:1], 0x0
	s_bfe_u32 s2, ttmp6, 0x4000c
	s_and_b32 s3, ttmp6, 15
	s_add_co_i32 s2, s2, 1
	s_getreg_b32 s6, hwreg(HW_REG_IB_STS2, 6, 4)
	s_mul_i32 s2, ttmp9, s2
	v_lshrrev_b32_e32 v46, 5, v0
	s_add_co_i32 s3, s3, s2
	s_cmp_eq_u32 s6, 0
	v_bfe_u32 v10, v0, 1, 4
	s_cselect_b32 s2, ttmp9, s3
	s_load_b64 s[6:7], s[0:1], 0x28
	v_lshl_or_b32 v1, s2, 3, v46
	v_mov_b64_e32 v[2:3], 0
	v_mov_b64_e32 v[18:19], 0
	s_mov_b32 s3, 0
	s_wait_kmcnt 0x0
	v_mad_u32 v4, v1, s10, v10
	v_cmp_gt_i32_e32 vcc_lo, s10, v10
	s_delay_alu instid0(VALU_DEP_2) | instskip(SKIP_1) | instid1(SALU_CYCLE_1)
	v_cmp_gt_i32_e64 s2, s5, v4
	s_and_b32 s5, vcc_lo, s2
	s_and_saveexec_b32 s12, s5
	s_cbranch_execz .LBB122_2
; %bb.1:
	global_load_b64 v[6:7], v4, s[6:7] scale_offset
	s_mov_b32 s2, s11
	s_wait_loadcnt 0x0
	v_sub_nc_u64_e64 v[18:19], v[6:7], s[2:3]
.LBB122_2:
	s_or_b32 exec_lo, exec_lo, s12
	s_and_saveexec_b32 s2, s5
	s_cbranch_execz .LBB122_4
; %bb.3:
	global_load_b64 v[2:3], v4, s[6:7] offset:8 scale_offset
	s_wait_xcnt 0x0
	s_mov_b32 s7, 0
	s_mov_b32 s6, s11
	s_wait_loadcnt 0x0
	v_sub_nc_u64_e64 v[2:3], v[2:3], s[6:7]
.LBB122_4:
	s_or_b32 exec_lo, exec_lo, s2
	s_load_b32 s12, s[0:1], 0x38
	v_mov_b64_e32 v[4:5], 0
	s_mov_b32 s3, exec_lo
	v_cmpx_gt_i32_e64 s8, v1
	s_cbranch_execz .LBB122_6
; %bb.5:
	s_load_b64 s[6:7], s[0:1], 0x48
	s_mov_b32 s13, 0
	s_wait_kmcnt 0x0
	global_load_b64 v[4:5], v1, s[6:7] scale_offset
	s_wait_loadcnt 0x0
	v_sub_nc_u64_e64 v[4:5], v[4:5], s[12:13]
.LBB122_6:
	s_or_b32 exec_lo, exec_lo, s3
	s_cmp_lt_i32 s9, 1
	s_cbranch_scc1 .LBB122_59
; %bb.7:
	v_mbcnt_lo_u32_b32 v11, -1, 0
	v_lshlrev_b32_e32 v1, 7, v10
	s_load_b64 s[6:7], s[0:1], 0x40
	v_dual_mov_b32 v7, 0 :: v_dual_bitop2_b32 v0, 1, v0 bitop3:0x40
	s_delay_alu instid0(VALU_DEP_3) | instskip(NEXT) | instid1(VALU_DEP_3)
	v_xor_b32_e32 v6, 1, v11
	v_lshl_or_b32 v47, v46, 11, v1
	s_clause 0x2
	s_load_b64 s[14:15], s[0:1], 0x50
	s_load_b64 s[16:17], s[0:1], 0x20
	;; [unrolled: 1-line block ×3, first 2 shown]
	s_mov_b32 s21, 0
	s_cmp_lg_u32 s4, 0
	v_cmp_gt_i32_e64 s2, 32, v6
	s_mov_b32 s20, s10
	s_cselect_b32 s8, -1, 0
	s_mul_u64 s[22:23], s[20:21], s[20:21]
	s_lshl_b32 s20, s10, 1
	v_dual_cndmask_b32 v6, v11, v6, s2 :: v_dual_bitop2_b32 v12, 16, v11 bitop3:0x14
	v_mov_b32_e32 v1, v7
	v_lshl_or_b32 v50, v11, 2, 4
	s_abs_i32 s13, s10
	s_delay_alu instid0(VALU_DEP_3)
	v_lshlrev_b32_e32 v49, 2, v6
	v_lshlrev_b32_e32 v6, 3, v10
	s_wait_xcnt 0x0
	v_cmp_gt_i32_e64 s0, 32, v12
	v_xor_b32_e32 v13, 4, v11
	v_or_b32_e32 v17, 4, v0
	v_or_b32_e32 v22, 8, v0
	s_wait_kmcnt 0x0
	v_add_nc_u64_e32 v[8:9], s[6:7], v[6:7]
	v_mul_lo_u32 v6, s10, v10
	v_dual_cndmask_b32 v14, v11, v12, s0 :: v_dual_bitop2_b32 v10, 8, v11 bitop3:0x14
	v_dual_mov_b32 v27, v7 :: v_dual_bitop2_b32 v29, 14, v0 bitop3:0x54
	v_mov_b64_e32 v[34:35], 0
	s_delay_alu instid0(VALU_DEP_3) | instskip(SKIP_3) | instid1(VALU_DEP_4)
	v_cmp_gt_i32_e64 s0, 32, v10
	v_xor_b32_e32 v12, 2, v11
	v_mov_b64_e32 v[30:31], 0
	v_lshl_or_b32 v48, v0, 3, v47
	v_dual_lshlrev_b32 v32, 3, v0 :: v_dual_cndmask_b32 v15, v11, v10, s0
	v_mul_lo_u32 v10, v0, s10
	v_cmp_gt_i32_e64 s0, 32, v13
	v_lshlrev_b32_e32 v51, 2, v14
	s_delay_alu instid0(VALU_DEP_4) | instskip(SKIP_1) | instid1(VALU_DEP_4)
	v_dual_mov_b32 v55, 0x7c :: v_dual_lshlrev_b32 v52, 2, v15
	v_mov_b32_e32 v15, v7
	v_cndmask_b32_e64 v16, v11, v13, s0
	v_cmp_gt_i32_e64 s0, 32, v12
	v_cmp_gt_u32_e64 s2, s10, v17
	v_mov_b32_e32 v17, v7
	v_cmp_gt_u32_e64 s4, s10, v22
	s_delay_alu instid0(VALU_DEP_4) | instskip(SKIP_2) | instid1(VALU_DEP_3)
	v_dual_add_nc_u32 v14, s20, v10 :: v_dual_cndmask_b32 v11, v11, v12, s0
	v_lshl_add_u64 v[12:13], v[6:7], 3, s[6:7]
	v_lshlrev_b32_e32 v53, 2, v16
	v_dual_add_nc_u32 v16, s20, v14 :: v_dual_bitop2_b32 v6, 2, v0 bitop3:0x54
	s_cvt_f32_u32 s6, s13
	v_dual_mov_b32 v11, v7 :: v_dual_lshlrev_b32 v54, 2, v11
	s_delay_alu instid0(VALU_DEP_2) | instskip(SKIP_4) | instid1(VALU_DEP_3)
	v_cmp_gt_u32_e64 s1, s10, v6
	v_or_b32_e32 v6, 6, v0
	v_dual_mov_b32 v21, v7 :: v_dual_add_nc_u32 v20, s20, v16
	v_rcp_iflag_f32_e32 v28, s6
	v_cmp_gt_u32_e64 s0, s10, v0
	v_cmp_gt_u32_e64 s3, s10, v6
	s_delay_alu instid0(VALU_DEP_3) | instskip(SKIP_1) | instid1(TRANS32_DEP_1)
	v_dual_mov_b32 v25, v7 :: v_dual_add_nc_u32 v22, s20, v20
	v_dual_mov_b32 v23, v7 :: v_dual_bitop2_b32 v6, 10, v0 bitop3:0x54
	v_readfirstlane_b32 s25, v28
	s_delay_alu instid0(VALU_DEP_3)
	v_add_nc_u32_e32 v24, s20, v22
	s_and_b32 s24, s0, vcc_lo
	v_cmp_gt_u32_e64 s5, s10, v6
	v_or_b32_e32 v6, 12, v0
	s_mul_f32 s0, s25, 0x4f7ffffe
	v_add_nc_u32_e32 v26, s20, v24
	v_cmp_gt_u32_e64 s7, s10, v29
	v_mov_b32_e32 v29, v7
	s_cvt_u32_f32 s0, s0
	v_cmp_gt_u32_e64 s6, s10, v6
	v_dual_add_nc_u32 v28, s20, v26 :: v_dual_mov_b32 v56, 1
	s_sub_co_i32 s20, 0, s13
	s_and_b32 s1, vcc_lo, s1
	s_mul_i32 s20, s20, s0
	s_and_b32 s2, vcc_lo, s2
	s_mul_hi_u32 s20, s0, s20
	s_and_b32 s3, vcc_lo, s3
	s_and_b32 s4, vcc_lo, s4
	;; [unrolled: 1-line block ×5, first 2 shown]
	s_ashr_i32 s25, s10, 31
	s_add_co_i32 s20, s0, s20
	s_mov_b32 s26, s21
	s_branch .LBB122_10
.LBB122_8:                              ;   in Loop: Header=BB122_10 Depth=1
	s_wait_xcnt 0x0
	s_or_b32 exec_lo, exec_lo, s27
	v_mov_b64_e32 v[36:37], 1
.LBB122_9:                              ;   in Loop: Header=BB122_10 Depth=1
	s_or_b32 exec_lo, exec_lo, s0
	ds_bpermute_b32 v6, v51, v57
	v_add_nc_u64_e32 v[4:5], v[36:37], v[4:5]
	s_wait_storecnt_dscnt 0x0
	v_min_i32_e32 v6, v6, v57
	ds_bpermute_b32 v33, v52, v6
	s_wait_dscnt 0x0
	v_min_i32_e32 v6, v33, v6
	ds_bpermute_b32 v33, v53, v6
	s_wait_dscnt 0x0
	;; [unrolled: 3-line block ×5, first 2 shown]
	v_cmp_le_i32_e32 vcc_lo, s9, v34
	v_ashrrev_i32_e32 v35, 31, v34
	s_or_b32 s26, vcc_lo, s26
	s_delay_alu instid0(SALU_CYCLE_1)
	s_and_not1_b32 exec_lo, exec_lo, s26
	s_cbranch_execz .LBB122_59
.LBB122_10:                             ; =>This Loop Header: Depth=1
                                        ;     Child Loop BB122_13 Depth 2
	v_add_nc_u64_e32 v[18:19], v[18:19], v[0:1]
	v_mov_b64_e32 v[40:41], v[2:3]
	v_mov_b32_e32 v57, s9
	s_mov_b32 s27, exec_lo
	ds_store_b8 v46, v7 offset:16384
	ds_store_2addr_b64 v48, v[30:31], v[30:31] offset1:2
	ds_store_2addr_b64 v48, v[30:31], v[30:31] offset0:4 offset1:6
	ds_store_2addr_b64 v48, v[30:31], v[30:31] offset0:8 offset1:10
	;; [unrolled: 1-line block ×3, first 2 shown]
	s_wait_dscnt 0x0
	v_cmpx_lt_i64_e64 v[18:19], v[2:3]
	s_cbranch_execz .LBB122_18
; %bb.11:                               ;   in Loop: Header=BB122_10 Depth=1
	v_mov_b64_e32 v[40:41], v[2:3]
	v_lshl_add_u64 v[36:37], v[18:19], 3, s[16:17]
	v_lshl_add_u64 v[38:39], v[18:19], 2, s[18:19]
	v_mov_b32_e32 v57, s9
	s_mov_b32 s28, 0
	s_branch .LBB122_13
.LBB122_12:                             ;   in Loop: Header=BB122_13 Depth=2
	s_wait_xcnt 0x0
	s_or_b32 exec_lo, exec_lo, s0
	v_add_nc_u64_e32 v[18:19], 2, v[18:19]
	s_xor_b32 s29, vcc_lo, -1
	v_add_nc_u64_e32 v[36:37], 16, v[36:37]
	v_add_nc_u64_e32 v[38:39], 8, v[38:39]
	s_delay_alu instid0(VALU_DEP_3) | instskip(SKIP_1) | instid1(SALU_CYCLE_1)
	v_cmp_ge_i64_e64 s0, v[18:19], v[2:3]
	s_or_b32 s0, s29, s0
	s_and_b32 s0, exec_lo, s0
	s_delay_alu instid0(SALU_CYCLE_1) | instskip(NEXT) | instid1(SALU_CYCLE_1)
	s_or_b32 s28, s0, s28
	s_and_not1_b32 exec_lo, exec_lo, s28
	s_cbranch_execz .LBB122_17
.LBB122_13:                             ;   Parent Loop BB122_10 Depth=1
                                        ; =>  This Inner Loop Header: Depth=2
	global_load_b32 v6, v[38:39], off
	s_wait_loadcnt 0x0
	v_subrev_nc_u32_e32 v33, s11, v6
	s_delay_alu instid0(VALU_DEP_1) | instskip(NEXT) | instid1(VALU_DEP_1)
	v_sub_nc_u32_e32 v6, 0, v33
	v_max_i32_e32 v6, v33, v6
	s_delay_alu instid0(VALU_DEP_1) | instskip(NEXT) | instid1(VALU_DEP_1)
	v_mul_u64_e32 v[42:43], s[20:21], v[6:7]
	v_mul_lo_u32 v42, v43, s13
	s_delay_alu instid0(VALU_DEP_1) | instskip(NEXT) | instid1(VALU_DEP_1)
	v_dual_sub_nc_u32 v6, v6, v42 :: v_dual_add_nc_u32 v42, 1, v43
	v_cmp_le_u32_e32 vcc_lo, s13, v6
	s_delay_alu instid0(VALU_DEP_2) | instskip(SKIP_1) | instid1(VALU_DEP_1)
	v_cndmask_b32_e32 v42, v43, v42, vcc_lo
	v_subrev_nc_u32_e32 v44, s13, v6
	v_dual_cndmask_b32 v6, v6, v44 :: v_dual_ashrrev_i32 v43, 31, v33
	s_delay_alu instid0(VALU_DEP_3) | instskip(NEXT) | instid1(VALU_DEP_2)
	v_add_nc_u32_e32 v44, 1, v42
	v_cmp_le_u32_e32 vcc_lo, s13, v6
	s_delay_alu instid0(VALU_DEP_2) | instskip(SKIP_1) | instid1(VALU_DEP_2)
	v_dual_cndmask_b32 v6, v42, v44, vcc_lo :: v_dual_bitop2_b32 v43, s25, v43 bitop3:0x14
	v_mov_b64_e32 v[44:45], v[40:41]
	v_xor_b32_e32 v6, v6, v43
	s_delay_alu instid0(VALU_DEP_1) | instskip(NEXT) | instid1(VALU_DEP_1)
	v_sub_nc_u32_e32 v42, v6, v43
	v_ashrrev_i32_e32 v43, 31, v42
	s_delay_alu instid0(VALU_DEP_1) | instskip(SKIP_3) | instid1(SALU_CYCLE_1)
	v_cmp_ne_u64_e64 s0, v[34:35], v[42:43]
	v_cmp_eq_u64_e32 vcc_lo, v[34:35], v[42:43]
	s_wait_xcnt 0x0
	s_and_saveexec_b32 s29, s0
	s_xor_b32 s0, exec_lo, s29
; %bb.14:                               ;   in Loop: Header=BB122_13 Depth=2
	v_min_i32_e32 v57, v42, v57
                                        ; implicit-def: $vgpr42
                                        ; implicit-def: $vgpr33
                                        ; implicit-def: $vgpr44_vgpr45
; %bb.15:                               ;   in Loop: Header=BB122_13 Depth=2
	s_or_saveexec_b32 s0, s0
	v_mov_b64_e32 v[40:41], v[18:19]
	s_xor_b32 exec_lo, exec_lo, s0
	s_cbranch_execz .LBB122_12
; %bb.16:                               ;   in Loop: Header=BB122_13 Depth=2
	global_load_b64 v[58:59], v[36:37], off
	v_mul_lo_u32 v6, v42, s10
	v_mov_b64_e32 v[40:41], v[44:45]
	s_delay_alu instid0(VALU_DEP_2) | instskip(NEXT) | instid1(VALU_DEP_1)
	v_sub_nc_u32_e32 v6, v33, v6
	v_lshl_add_u32 v6, v6, 3, v47
	ds_store_b8 v46, v56 offset:16384
	s_wait_loadcnt 0x0
	ds_store_b64 v6, v[58:59]
	s_branch .LBB122_12
.LBB122_17:                             ;   in Loop: Header=BB122_10 Depth=1
	s_or_b32 exec_lo, exec_lo, s28
.LBB122_18:                             ;   in Loop: Header=BB122_10 Depth=1
	s_delay_alu instid0(SALU_CYCLE_1)
	s_or_b32 exec_lo, exec_lo, s27
	ds_bpermute_b32 v18, v49, v40
	ds_bpermute_b32 v19, v49, v41
	s_wait_dscnt 0x0
	ds_load_u8 v6, v46 offset:16384
	v_mov_b64_e32 v[36:37], 0
	s_mov_b32 s0, exec_lo
	v_min_i64 v[18:19], v[18:19], v[40:41]
	s_wait_dscnt 0x0
	v_and_b32_e32 v6, 1, v6
	ds_bpermute_b32 v18, v50, v18
	ds_bpermute_b32 v19, v50, v19
	v_cmpx_eq_u32_e32 1, v6
	s_cbranch_execz .LBB122_9
; %bb.19:                               ;   in Loop: Header=BB122_10 Depth=1
	v_mul_u64_e32 v[36:37], s[22:23], v[4:5]
	v_add_nc_u32_e32 v6, s12, v34
	s_delay_alu instid0(VALU_DEP_2) | instskip(NEXT) | instid1(VALU_DEP_1)
	v_lshlrev_b64_e32 v[38:39], 3, v[36:37]
	v_add_nc_u64_e32 v[36:37], v[8:9], v[38:39]
	v_add_nc_u64_e32 v[34:35], v[12:13], v[38:39]
	v_lshl_add_u64 v[38:39], v[4:5], 2, s[14:15]
	global_store_b32 v[38:39], v6, off
	s_wait_xcnt 0x0
	s_and_saveexec_b32 s27, s24
	s_cbranch_execz .LBB122_23
; %bb.20:                               ;   in Loop: Header=BB122_10 Depth=1
	ds_load_b64 v[38:39], v48
	s_and_b32 vcc_lo, exec_lo, s8
	s_cbranch_vccz .LBB122_50
; %bb.21:                               ;   in Loop: Header=BB122_10 Depth=1
	v_lshl_add_u64 v[40:41], v[10:11], 3, v[36:37]
	s_wait_dscnt 0x0
	global_store_b64 v[40:41], v[38:39], off
	s_cbranch_execnz .LBB122_23
.LBB122_22:                             ;   in Loop: Header=BB122_10 Depth=1
	v_mov_b32_e32 v33, v7
	s_wait_xcnt 0x0
	s_delay_alu instid0(VALU_DEP_1)
	v_add_nc_u64_e32 v[40:41], v[34:35], v[32:33]
	s_wait_dscnt 0x0
	global_store_b64 v[40:41], v[38:39], off
.LBB122_23:                             ;   in Loop: Header=BB122_10 Depth=1
	s_wait_xcnt 0x0
	s_or_b32 exec_lo, exec_lo, s27
	s_and_saveexec_b32 s27, s1
	s_cbranch_execz .LBB122_27
; %bb.24:                               ;   in Loop: Header=BB122_10 Depth=1
	s_and_not1_b32 vcc_lo, exec_lo, s8
	s_cbranch_vccnz .LBB122_51
; %bb.25:                               ;   in Loop: Header=BB122_10 Depth=1
	s_wait_dscnt 0x0
	ds_load_b64 v[38:39], v48 offset:16
	v_lshl_add_u64 v[40:41], v[14:15], 3, v[36:37]
	s_wait_dscnt 0x0
	global_store_b64 v[40:41], v[38:39], off
	s_cbranch_execnz .LBB122_27
.LBB122_26:                             ;   in Loop: Header=BB122_10 Depth=1
	s_wait_dscnt 0x0
	s_wait_xcnt 0x0
	ds_load_b64 v[38:39], v48 offset:16
	v_mov_b32_e32 v33, v7
	s_delay_alu instid0(VALU_DEP_1)
	v_add_nc_u64_e32 v[40:41], v[34:35], v[32:33]
	s_wait_dscnt 0x0
	global_store_b64 v[40:41], v[38:39], off offset:16
.LBB122_27:                             ;   in Loop: Header=BB122_10 Depth=1
	s_wait_xcnt 0x0
	s_or_b32 exec_lo, exec_lo, s27
	s_and_saveexec_b32 s27, s2
	s_cbranch_execz .LBB122_31
; %bb.28:                               ;   in Loop: Header=BB122_10 Depth=1
	s_and_not1_b32 vcc_lo, exec_lo, s8
	s_cbranch_vccnz .LBB122_52
; %bb.29:                               ;   in Loop: Header=BB122_10 Depth=1
	s_wait_dscnt 0x0
	ds_load_b64 v[38:39], v48 offset:32
	v_lshl_add_u64 v[40:41], v[16:17], 3, v[36:37]
	s_wait_dscnt 0x0
	global_store_b64 v[40:41], v[38:39], off
	s_cbranch_execnz .LBB122_31
.LBB122_30:                             ;   in Loop: Header=BB122_10 Depth=1
	s_wait_dscnt 0x0
	s_wait_xcnt 0x0
	ds_load_b64 v[38:39], v48 offset:32
	v_mov_b32_e32 v33, v7
	s_delay_alu instid0(VALU_DEP_1)
	v_add_nc_u64_e32 v[40:41], v[34:35], v[32:33]
	s_wait_dscnt 0x0
	global_store_b64 v[40:41], v[38:39], off offset:32
.LBB122_31:                             ;   in Loop: Header=BB122_10 Depth=1
	s_wait_xcnt 0x0
	s_or_b32 exec_lo, exec_lo, s27
	s_and_saveexec_b32 s27, s3
	s_cbranch_execz .LBB122_35
; %bb.32:                               ;   in Loop: Header=BB122_10 Depth=1
	s_and_not1_b32 vcc_lo, exec_lo, s8
	s_cbranch_vccnz .LBB122_53
; %bb.33:                               ;   in Loop: Header=BB122_10 Depth=1
	s_wait_dscnt 0x0
	ds_load_b64 v[38:39], v48 offset:48
	v_lshl_add_u64 v[40:41], v[20:21], 3, v[36:37]
	s_wait_dscnt 0x0
	global_store_b64 v[40:41], v[38:39], off
	s_cbranch_execnz .LBB122_35
.LBB122_34:                             ;   in Loop: Header=BB122_10 Depth=1
	s_wait_dscnt 0x0
	s_wait_xcnt 0x0
	ds_load_b64 v[38:39], v48 offset:48
	v_mov_b32_e32 v33, v7
	s_delay_alu instid0(VALU_DEP_1)
	v_add_nc_u64_e32 v[40:41], v[34:35], v[32:33]
	s_wait_dscnt 0x0
	global_store_b64 v[40:41], v[38:39], off offset:48
.LBB122_35:                             ;   in Loop: Header=BB122_10 Depth=1
	s_wait_xcnt 0x0
	s_or_b32 exec_lo, exec_lo, s27
	s_and_saveexec_b32 s27, s4
	s_cbranch_execz .LBB122_39
; %bb.36:                               ;   in Loop: Header=BB122_10 Depth=1
	s_and_not1_b32 vcc_lo, exec_lo, s8
	s_cbranch_vccnz .LBB122_54
; %bb.37:                               ;   in Loop: Header=BB122_10 Depth=1
	s_wait_dscnt 0x0
	ds_load_b64 v[38:39], v48 offset:64
	v_lshl_add_u64 v[40:41], v[22:23], 3, v[36:37]
	s_wait_dscnt 0x0
	global_store_b64 v[40:41], v[38:39], off
	s_cbranch_execnz .LBB122_39
.LBB122_38:                             ;   in Loop: Header=BB122_10 Depth=1
	s_wait_dscnt 0x0
	s_wait_xcnt 0x0
	ds_load_b64 v[38:39], v48 offset:64
	v_mov_b32_e32 v33, v7
	s_delay_alu instid0(VALU_DEP_1)
	v_add_nc_u64_e32 v[40:41], v[34:35], v[32:33]
	s_wait_dscnt 0x0
	global_store_b64 v[40:41], v[38:39], off offset:64
.LBB122_39:                             ;   in Loop: Header=BB122_10 Depth=1
	s_wait_xcnt 0x0
	s_or_b32 exec_lo, exec_lo, s27
	s_and_saveexec_b32 s27, s5
	s_cbranch_execz .LBB122_43
; %bb.40:                               ;   in Loop: Header=BB122_10 Depth=1
	s_and_not1_b32 vcc_lo, exec_lo, s8
	s_cbranch_vccnz .LBB122_55
; %bb.41:                               ;   in Loop: Header=BB122_10 Depth=1
	s_wait_dscnt 0x0
	ds_load_b64 v[38:39], v48 offset:80
	v_lshl_add_u64 v[40:41], v[24:25], 3, v[36:37]
	s_wait_dscnt 0x0
	global_store_b64 v[40:41], v[38:39], off
	s_cbranch_execnz .LBB122_43
.LBB122_42:                             ;   in Loop: Header=BB122_10 Depth=1
	s_wait_dscnt 0x0
	s_wait_xcnt 0x0
	ds_load_b64 v[38:39], v48 offset:80
	v_mov_b32_e32 v33, v7
	s_delay_alu instid0(VALU_DEP_1)
	v_add_nc_u64_e32 v[40:41], v[34:35], v[32:33]
	s_wait_dscnt 0x0
	global_store_b64 v[40:41], v[38:39], off offset:80
.LBB122_43:                             ;   in Loop: Header=BB122_10 Depth=1
	s_wait_xcnt 0x0
	s_or_b32 exec_lo, exec_lo, s27
	s_and_saveexec_b32 s27, s6
	s_cbranch_execz .LBB122_47
; %bb.44:                               ;   in Loop: Header=BB122_10 Depth=1
	s_and_not1_b32 vcc_lo, exec_lo, s8
	s_cbranch_vccnz .LBB122_56
; %bb.45:                               ;   in Loop: Header=BB122_10 Depth=1
	s_wait_dscnt 0x0
	ds_load_b64 v[38:39], v48 offset:96
	v_lshl_add_u64 v[40:41], v[26:27], 3, v[36:37]
	s_wait_dscnt 0x0
	global_store_b64 v[40:41], v[38:39], off
	s_cbranch_execnz .LBB122_47
.LBB122_46:                             ;   in Loop: Header=BB122_10 Depth=1
	s_wait_dscnt 0x0
	s_wait_xcnt 0x0
	ds_load_b64 v[38:39], v48 offset:96
	v_mov_b32_e32 v33, v7
	s_delay_alu instid0(VALU_DEP_1)
	v_add_nc_u64_e32 v[40:41], v[34:35], v[32:33]
	s_wait_dscnt 0x0
	global_store_b64 v[40:41], v[38:39], off offset:96
.LBB122_47:                             ;   in Loop: Header=BB122_10 Depth=1
	s_wait_xcnt 0x0
	s_or_b32 exec_lo, exec_lo, s27
	s_and_saveexec_b32 s27, s7
	s_cbranch_execz .LBB122_8
; %bb.48:                               ;   in Loop: Header=BB122_10 Depth=1
	s_and_not1_b32 vcc_lo, exec_lo, s8
	s_cbranch_vccnz .LBB122_57
; %bb.49:                               ;   in Loop: Header=BB122_10 Depth=1
	s_wait_dscnt 0x0
	ds_load_b64 v[38:39], v48 offset:112
	v_lshl_add_u64 v[36:37], v[28:29], 3, v[36:37]
	s_wait_dscnt 0x0
	global_store_b64 v[36:37], v[38:39], off
	s_cbranch_execnz .LBB122_8
	s_branch .LBB122_58
.LBB122_50:                             ;   in Loop: Header=BB122_10 Depth=1
	s_branch .LBB122_22
.LBB122_51:                             ;   in Loop: Header=BB122_10 Depth=1
	s_branch .LBB122_26
.LBB122_52:                             ;   in Loop: Header=BB122_10 Depth=1
	s_branch .LBB122_30
.LBB122_53:                             ;   in Loop: Header=BB122_10 Depth=1
	s_branch .LBB122_34
.LBB122_54:                             ;   in Loop: Header=BB122_10 Depth=1
	s_branch .LBB122_38
.LBB122_55:                             ;   in Loop: Header=BB122_10 Depth=1
	s_branch .LBB122_42
.LBB122_56:                             ;   in Loop: Header=BB122_10 Depth=1
	s_branch .LBB122_46
.LBB122_57:                             ;   in Loop: Header=BB122_10 Depth=1
.LBB122_58:                             ;   in Loop: Header=BB122_10 Depth=1
	s_wait_xcnt 0x0
	ds_load_b64 v[36:37], v48 offset:112
	v_mov_b32_e32 v33, v7
	s_delay_alu instid0(VALU_DEP_1)
	v_add_nc_u64_e32 v[34:35], v[34:35], v[32:33]
	s_wait_dscnt 0x0
	global_store_b64 v[34:35], v[36:37], off offset:112
	s_branch .LBB122_8
.LBB122_59:
	s_endpgm
	.section	.rodata,"a",@progbits
	.p2align	6, 0x0
	.amdhsa_kernel _ZN9rocsparseL42csr2bsr_wavefront_per_row_multipass_kernelILj256ELj32ELj16EdliEEv20rocsparse_direction_T4_S2_S2_S2_S2_21rocsparse_index_base_PKT2_PKT3_PKS2_S3_PS4_PS7_PS2_
		.amdhsa_group_segment_fixed_size 16392
		.amdhsa_private_segment_fixed_size 0
		.amdhsa_kernarg_size 88
		.amdhsa_user_sgpr_count 2
		.amdhsa_user_sgpr_dispatch_ptr 0
		.amdhsa_user_sgpr_queue_ptr 0
		.amdhsa_user_sgpr_kernarg_segment_ptr 1
		.amdhsa_user_sgpr_dispatch_id 0
		.amdhsa_user_sgpr_kernarg_preload_length 0
		.amdhsa_user_sgpr_kernarg_preload_offset 0
		.amdhsa_user_sgpr_private_segment_size 0
		.amdhsa_wavefront_size32 1
		.amdhsa_uses_dynamic_stack 0
		.amdhsa_enable_private_segment 0
		.amdhsa_system_sgpr_workgroup_id_x 1
		.amdhsa_system_sgpr_workgroup_id_y 0
		.amdhsa_system_sgpr_workgroup_id_z 0
		.amdhsa_system_sgpr_workgroup_info 0
		.amdhsa_system_vgpr_workitem_id 0
		.amdhsa_next_free_vgpr 60
		.amdhsa_next_free_sgpr 30
		.amdhsa_named_barrier_count 0
		.amdhsa_reserve_vcc 1
		.amdhsa_float_round_mode_32 0
		.amdhsa_float_round_mode_16_64 0
		.amdhsa_float_denorm_mode_32 3
		.amdhsa_float_denorm_mode_16_64 3
		.amdhsa_fp16_overflow 0
		.amdhsa_memory_ordered 1
		.amdhsa_forward_progress 1
		.amdhsa_inst_pref_size 20
		.amdhsa_round_robin_scheduling 0
		.amdhsa_exception_fp_ieee_invalid_op 0
		.amdhsa_exception_fp_denorm_src 0
		.amdhsa_exception_fp_ieee_div_zero 0
		.amdhsa_exception_fp_ieee_overflow 0
		.amdhsa_exception_fp_ieee_underflow 0
		.amdhsa_exception_fp_ieee_inexact 0
		.amdhsa_exception_int_div_zero 0
	.end_amdhsa_kernel
	.section	.text._ZN9rocsparseL42csr2bsr_wavefront_per_row_multipass_kernelILj256ELj32ELj16EdliEEv20rocsparse_direction_T4_S2_S2_S2_S2_21rocsparse_index_base_PKT2_PKT3_PKS2_S3_PS4_PS7_PS2_,"axG",@progbits,_ZN9rocsparseL42csr2bsr_wavefront_per_row_multipass_kernelILj256ELj32ELj16EdliEEv20rocsparse_direction_T4_S2_S2_S2_S2_21rocsparse_index_base_PKT2_PKT3_PKS2_S3_PS4_PS7_PS2_,comdat
.Lfunc_end122:
	.size	_ZN9rocsparseL42csr2bsr_wavefront_per_row_multipass_kernelILj256ELj32ELj16EdliEEv20rocsparse_direction_T4_S2_S2_S2_S2_21rocsparse_index_base_PKT2_PKT3_PKS2_S3_PS4_PS7_PS2_, .Lfunc_end122-_ZN9rocsparseL42csr2bsr_wavefront_per_row_multipass_kernelILj256ELj32ELj16EdliEEv20rocsparse_direction_T4_S2_S2_S2_S2_21rocsparse_index_base_PKT2_PKT3_PKS2_S3_PS4_PS7_PS2_
                                        ; -- End function
	.set _ZN9rocsparseL42csr2bsr_wavefront_per_row_multipass_kernelILj256ELj32ELj16EdliEEv20rocsparse_direction_T4_S2_S2_S2_S2_21rocsparse_index_base_PKT2_PKT3_PKS2_S3_PS4_PS7_PS2_.num_vgpr, 60
	.set _ZN9rocsparseL42csr2bsr_wavefront_per_row_multipass_kernelILj256ELj32ELj16EdliEEv20rocsparse_direction_T4_S2_S2_S2_S2_21rocsparse_index_base_PKT2_PKT3_PKS2_S3_PS4_PS7_PS2_.num_agpr, 0
	.set _ZN9rocsparseL42csr2bsr_wavefront_per_row_multipass_kernelILj256ELj32ELj16EdliEEv20rocsparse_direction_T4_S2_S2_S2_S2_21rocsparse_index_base_PKT2_PKT3_PKS2_S3_PS4_PS7_PS2_.numbered_sgpr, 30
	.set _ZN9rocsparseL42csr2bsr_wavefront_per_row_multipass_kernelILj256ELj32ELj16EdliEEv20rocsparse_direction_T4_S2_S2_S2_S2_21rocsparse_index_base_PKT2_PKT3_PKS2_S3_PS4_PS7_PS2_.num_named_barrier, 0
	.set _ZN9rocsparseL42csr2bsr_wavefront_per_row_multipass_kernelILj256ELj32ELj16EdliEEv20rocsparse_direction_T4_S2_S2_S2_S2_21rocsparse_index_base_PKT2_PKT3_PKS2_S3_PS4_PS7_PS2_.private_seg_size, 0
	.set _ZN9rocsparseL42csr2bsr_wavefront_per_row_multipass_kernelILj256ELj32ELj16EdliEEv20rocsparse_direction_T4_S2_S2_S2_S2_21rocsparse_index_base_PKT2_PKT3_PKS2_S3_PS4_PS7_PS2_.uses_vcc, 1
	.set _ZN9rocsparseL42csr2bsr_wavefront_per_row_multipass_kernelILj256ELj32ELj16EdliEEv20rocsparse_direction_T4_S2_S2_S2_S2_21rocsparse_index_base_PKT2_PKT3_PKS2_S3_PS4_PS7_PS2_.uses_flat_scratch, 0
	.set _ZN9rocsparseL42csr2bsr_wavefront_per_row_multipass_kernelILj256ELj32ELj16EdliEEv20rocsparse_direction_T4_S2_S2_S2_S2_21rocsparse_index_base_PKT2_PKT3_PKS2_S3_PS4_PS7_PS2_.has_dyn_sized_stack, 0
	.set _ZN9rocsparseL42csr2bsr_wavefront_per_row_multipass_kernelILj256ELj32ELj16EdliEEv20rocsparse_direction_T4_S2_S2_S2_S2_21rocsparse_index_base_PKT2_PKT3_PKS2_S3_PS4_PS7_PS2_.has_recursion, 0
	.set _ZN9rocsparseL42csr2bsr_wavefront_per_row_multipass_kernelILj256ELj32ELj16EdliEEv20rocsparse_direction_T4_S2_S2_S2_S2_21rocsparse_index_base_PKT2_PKT3_PKS2_S3_PS4_PS7_PS2_.has_indirect_call, 0
	.section	.AMDGPU.csdata,"",@progbits
; Kernel info:
; codeLenInByte = 2440
; TotalNumSgprs: 32
; NumVgprs: 60
; ScratchSize: 0
; MemoryBound: 0
; FloatMode: 240
; IeeeMode: 1
; LDSByteSize: 16392 bytes/workgroup (compile time only)
; SGPRBlocks: 0
; VGPRBlocks: 3
; NumSGPRsForWavesPerEU: 32
; NumVGPRsForWavesPerEU: 60
; NamedBarCnt: 0
; Occupancy: 16
; WaveLimiterHint : 0
; COMPUTE_PGM_RSRC2:SCRATCH_EN: 0
; COMPUTE_PGM_RSRC2:USER_SGPR: 2
; COMPUTE_PGM_RSRC2:TRAP_HANDLER: 0
; COMPUTE_PGM_RSRC2:TGID_X_EN: 1
; COMPUTE_PGM_RSRC2:TGID_Y_EN: 0
; COMPUTE_PGM_RSRC2:TGID_Z_EN: 0
; COMPUTE_PGM_RSRC2:TIDIG_COMP_CNT: 0
	.section	.text._ZN9rocsparseL38csr2bsr_block_per_row_multipass_kernelILj256ELj32EdliEEv20rocsparse_direction_T3_S2_S2_S2_S2_21rocsparse_index_base_PKT1_PKT2_PKS2_S3_PS4_PS7_PS2_,"axG",@progbits,_ZN9rocsparseL38csr2bsr_block_per_row_multipass_kernelILj256ELj32EdliEEv20rocsparse_direction_T3_S2_S2_S2_S2_21rocsparse_index_base_PKT1_PKT2_PKS2_S3_PS4_PS7_PS2_,comdat
	.globl	_ZN9rocsparseL38csr2bsr_block_per_row_multipass_kernelILj256ELj32EdliEEv20rocsparse_direction_T3_S2_S2_S2_S2_21rocsparse_index_base_PKT1_PKT2_PKS2_S3_PS4_PS7_PS2_ ; -- Begin function _ZN9rocsparseL38csr2bsr_block_per_row_multipass_kernelILj256ELj32EdliEEv20rocsparse_direction_T3_S2_S2_S2_S2_21rocsparse_index_base_PKT1_PKT2_PKS2_S3_PS4_PS7_PS2_
	.p2align	8
	.type	_ZN9rocsparseL38csr2bsr_block_per_row_multipass_kernelILj256ELj32EdliEEv20rocsparse_direction_T3_S2_S2_S2_S2_21rocsparse_index_base_PKT1_PKT2_PKS2_S3_PS4_PS7_PS2_,@function
_ZN9rocsparseL38csr2bsr_block_per_row_multipass_kernelILj256ELj32EdliEEv20rocsparse_direction_T3_S2_S2_S2_S2_21rocsparse_index_base_PKT1_PKT2_PKS2_S3_PS4_PS7_PS2_: ; @_ZN9rocsparseL38csr2bsr_block_per_row_multipass_kernelILj256ELj32EdliEEv20rocsparse_direction_T3_S2_S2_S2_S2_21rocsparse_index_base_PKT1_PKT2_PKS2_S3_PS4_PS7_PS2_
; %bb.0:
	s_clause 0x1
	s_load_b96 s[12:14], s[0:1], 0x10
	s_load_b64 s[4:5], s[0:1], 0x0
	s_bfe_u32 s2, ttmp6, 0x4000c
	s_and_b32 s3, ttmp6, 15
	s_add_co_i32 s2, s2, 1
	s_getreg_b32 s6, hwreg(HW_REG_IB_STS2, 6, 4)
	s_mul_i32 s2, ttmp9, s2
	v_lshrrev_b32_e32 v1, 3, v0
	s_add_co_i32 s3, s3, s2
	s_cmp_eq_u32 s6, 0
	s_load_b64 s[8:9], s[0:1], 0x28
	s_cselect_b32 s6, ttmp9, s3
	v_mov_b64_e32 v[2:3], 0
	v_mov_b64_e32 v[16:17], 0
	s_mov_b32 s3, 0
	s_wait_kmcnt 0x0
	v_mad_u32 v4, s13, s6, v1
	v_cmp_gt_i32_e32 vcc_lo, s13, v1
	s_delay_alu instid0(VALU_DEP_2) | instskip(SKIP_1) | instid1(SALU_CYCLE_1)
	v_cmp_gt_i32_e64 s2, s5, v4
	s_and_b32 s5, vcc_lo, s2
	s_and_saveexec_b32 s7, s5
	s_cbranch_execnz .LBB123_3
; %bb.1:
	s_or_b32 exec_lo, exec_lo, s7
	s_and_saveexec_b32 s2, s5
	s_cbranch_execnz .LBB123_4
.LBB123_2:
	s_or_b32 exec_lo, exec_lo, s2
	s_cmp_lt_i32 s12, 1
	s_cbranch_scc0 .LBB123_5
	s_branch .LBB123_53
.LBB123_3:
	global_load_b64 v[6:7], v4, s[8:9] scale_offset
	s_mov_b32 s2, s14
	s_wait_loadcnt 0x0
	v_sub_nc_u64_e64 v[16:17], v[6:7], s[2:3]
	s_or_b32 exec_lo, exec_lo, s7
	s_and_saveexec_b32 s2, s5
	s_cbranch_execz .LBB123_2
.LBB123_4:
	global_load_b64 v[2:3], v4, s[8:9] offset:8 scale_offset
	s_wait_xcnt 0x0
	s_mov_b32 s9, 0
	s_mov_b32 s8, s14
	s_wait_loadcnt 0x0
	v_sub_nc_u64_e64 v[2:3], v[2:3], s[8:9]
	s_or_b32 exec_lo, exec_lo, s2
	s_cmp_lt_i32 s12, 1
	s_cbranch_scc1 .LBB123_53
.LBB123_5:
	s_clause 0x3
	s_load_b128 s[8:11], s[0:1], 0x40
	s_load_b64 s[20:21], s[0:1], 0x50
	s_load_b64 s[22:23], s[0:1], 0x20
	s_load_b96 s[16:18], s[0:1], 0x30
	s_ashr_i32 s7, s6, 31
	v_dual_lshlrev_b32 v34, 8, v1 :: v_dual_bitop2_b32 v4, 7, v0 bitop3:0x40
	v_mbcnt_lo_u32_b32 v10, -1, 0
	s_lshl_b64 s[6:7], s[6:7], 3
	s_cmp_lg_u32 s4, 0
	s_delay_alu instid0(VALU_DEP_2) | instskip(NEXT) | instid1(VALU_DEP_2)
	v_dual_mov_b32 v7, 0 :: v_dual_lshlrev_b32 v20, 3, v4
	v_dual_lshlrev_b32 v6, 3, v1 :: v_dual_bitop2_b32 v11, 4, v10 bitop3:0x14
	s_mov_b32 s25, 0
	s_cselect_b32 s15, -1, 0
	s_abs_i32 s19, s13
	v_lshl_or_b32 v36, v10, 2, 28
	v_dual_mov_b32 v19, v7 :: v_dual_bitop2_b32 v14, 24, v4 bitop3:0x54
	s_wait_kmcnt 0x0
	s_add_nc_u64 s[4:5], s[10:11], s[6:7]
	v_add_nc_u64_e32 v[8:9], s[8:9], v[6:7]
	s_load_b64 s[6:7], s[4:5], 0x0
	s_wait_xcnt 0x0
	v_cmp_gt_i32_e64 s4, 32, v11
	v_xor_b32_e32 v12, 2, v10
	v_mul_lo_u32 v6, s13, v1
	s_mov_b32 s24, s18
	v_dual_lshlrev_b32 v35, 2, v0 :: v_dual_mov_b32 v5, v7
	v_cndmask_b32_e64 v1, v10, v11, s4
	v_cmp_gt_i32_e64 s4, 32, v12
	v_dual_mov_b32 v15, v7 :: v_dual_bitop2_b32 v13, 1, v10 bitop3:0x14
	v_cmp_gt_u32_e64 s0, 0x80, v0
	v_cmp_gt_u32_e64 s1, 64, v0
	s_delay_alu instid0(VALU_DEP_4) | instskip(NEXT) | instid1(VALU_DEP_4)
	v_cndmask_b32_e64 v11, v10, v12, s4
	v_cmp_gt_i32_e64 s4, 32, v13
	v_dual_mov_b32 v21, v7 :: v_dual_lshlrev_b32 v37, 2, v1
	s_delay_alu instid0(VALU_DEP_3) | instskip(NEXT) | instid1(VALU_DEP_3)
	v_dual_lshlrev_b32 v38, 2, v11 :: v_dual_bitop2_b32 v1, 8, v4 bitop3:0x54
	v_cndmask_b32_e64 v12, v10, v13, s4
	s_wait_kmcnt 0x0
	s_sub_nc_u64 s[10:11], s[6:7], s[24:25]
	s_mov_b32 s24, s13
	v_lshl_add_u64 v[10:11], v[6:7], 3, s[8:9]
	s_mul_u64 s[26:27], s[24:25], s[24:25]
	s_cvt_f32_u32 s24, s19
	v_dual_lshlrev_b32 v39, 2, v12 :: v_dual_mov_b32 v13, v7
	v_mul_lo_u32 v12, v4, s13
	v_cmp_gt_u32_e64 s9, s13, v1
	v_rcp_iflag_f32_e32 v1, s24
	v_cmp_gt_u32_e64 s8, s13, v4
	v_or_b32_e32 v6, 16, v4
	s_lshl_b32 s24, s13, 3
	v_cmp_gt_u32_e64 s2, 32, v0
	v_cmp_gt_u32_e64 s3, 16, v0
	;; [unrolled: 1-line block ×3, first 2 shown]
	v_readfirstlane_b32 s30, v1
	v_cmp_gt_u32_e64 s5, 4, v0
	v_cmp_gt_u32_e64 s6, 2, v0
	v_cmp_eq_u32_e64 s7, 0, v0
	s_and_b32 s28, vcc_lo, s8
	v_dual_mov_b32 v1, v7 :: v_dual_add_nc_u32 v0, s24, v12
	v_cmp_gt_u32_e64 s8, s13, v6
	s_mul_f32 s33, s30, 0x4f7ffffe
	s_and_b32 s29, vcc_lo, s9
	v_cmp_gt_u32_e64 s9, s13, v14
	v_dual_add_nc_u32 v14, s24, v0 :: v_dual_add_nc_u32 v40, v20, v34
	s_and_b32 s30, vcc_lo, s8
	s_cvt_u32_f32 s8, s33
	s_and_b32 s31, vcc_lo, s9
	s_sub_co_i32 s9, 0, s19
	v_add_nc_u64_e32 v[10:11], v[10:11], v[20:21]
	v_mov_b64_e32 v[22:23], 0
	v_mov_b64_e32 v[20:21], 0
	s_mul_i32 s9, s9, s8
	v_dual_mov_b32 v41, 1 :: v_dual_add_nc_u32 v18, s24, v14
	s_mul_hi_u32 s9, s8, s9
	s_ashr_i32 s33, s13, 31
	s_add_co_i32 s24, s8, s9
	s_branch .LBB123_7
.LBB123_6:                              ;   in Loop: Header=BB123_7 Depth=1
	s_or_b32 exec_lo, exec_lo, s34
	s_wait_dscnt 0x0
	s_barrier_signal -1
	s_barrier_wait -1
	ds_load_b32 v22, v7
	s_add_nc_u64 s[10:11], s[8:9], s[10:11]
	s_wait_dscnt 0x0
	s_barrier_signal -1
	s_barrier_wait -1
	v_cmp_gt_i32_e32 vcc_lo, s12, v22
	v_ashrrev_i32_e32 v23, 31, v22
	s_cbranch_vccz .LBB123_53
.LBB123_7:                              ; =>This Loop Header: Depth=1
                                        ;     Child Loop BB123_10 Depth 2
	v_add_nc_u64_e32 v[16:17], v[16:17], v[4:5]
	v_mov_b64_e32 v[28:29], v[2:3]
	v_mov_b32_e32 v42, s12
	s_mov_b32 s9, exec_lo
	ds_store_b8 v7, v7 offset:8192
	ds_store_2addr_b64 v40, v[20:21], v[20:21] offset1:8
	ds_store_2addr_b64 v40, v[20:21], v[20:21] offset0:16 offset1:24
	s_wait_dscnt 0x0
	s_barrier_signal -1
	s_barrier_wait -1
	v_cmpx_lt_i64_e64 v[16:17], v[2:3]
	s_cbranch_execz .LBB123_15
; %bb.8:                                ;   in Loop: Header=BB123_7 Depth=1
	v_mov_b64_e32 v[28:29], v[2:3]
	v_lshl_add_u64 v[24:25], v[16:17], 3, s[22:23]
	v_lshl_add_u64 v[26:27], v[16:17], 2, s[16:17]
	v_mov_b32_e32 v42, s12
	s_mov_b32 s34, 0
	s_branch .LBB123_10
.LBB123_9:                              ;   in Loop: Header=BB123_10 Depth=2
	s_wait_xcnt 0x0
	s_or_b32 exec_lo, exec_lo, s8
	v_add_nc_u64_e32 v[16:17], 8, v[16:17]
	s_xor_b32 s35, vcc_lo, -1
	v_add_nc_u64_e32 v[24:25], 64, v[24:25]
	v_add_nc_u64_e32 v[26:27], 32, v[26:27]
	s_delay_alu instid0(VALU_DEP_3) | instskip(SKIP_1) | instid1(SALU_CYCLE_1)
	v_cmp_ge_i64_e64 s8, v[16:17], v[2:3]
	s_or_b32 s8, s35, s8
	s_and_b32 s8, exec_lo, s8
	s_delay_alu instid0(SALU_CYCLE_1) | instskip(NEXT) | instid1(SALU_CYCLE_1)
	s_or_b32 s34, s8, s34
	s_and_not1_b32 exec_lo, exec_lo, s34
	s_cbranch_execz .LBB123_14
.LBB123_10:                             ;   Parent Loop BB123_7 Depth=1
                                        ; =>  This Inner Loop Header: Depth=2
	global_load_b32 v6, v[26:27], off
	s_wait_loadcnt 0x0
	v_subrev_nc_u32_e32 v43, s14, v6
	s_delay_alu instid0(VALU_DEP_1) | instskip(NEXT) | instid1(VALU_DEP_1)
	v_sub_nc_u32_e32 v6, 0, v43
	v_max_i32_e32 v6, v43, v6
	s_delay_alu instid0(VALU_DEP_1) | instskip(NEXT) | instid1(VALU_DEP_1)
	v_mul_u64_e32 v[30:31], s[24:25], v[6:7]
	v_mul_lo_u32 v30, v31, s19
	s_delay_alu instid0(VALU_DEP_1) | instskip(NEXT) | instid1(VALU_DEP_1)
	v_dual_sub_nc_u32 v6, v6, v30 :: v_dual_add_nc_u32 v30, 1, v31
	v_cmp_le_u32_e32 vcc_lo, s19, v6
	s_delay_alu instid0(VALU_DEP_2) | instskip(SKIP_1) | instid1(VALU_DEP_1)
	v_dual_cndmask_b32 v30, v31, v30 :: v_dual_ashrrev_i32 v31, 31, v43
	v_subrev_nc_u32_e32 v32, s19, v6
	v_dual_cndmask_b32 v6, v6, v32, vcc_lo :: v_dual_add_nc_u32 v32, 1, v30
	s_delay_alu instid0(VALU_DEP_1) | instskip(NEXT) | instid1(VALU_DEP_2)
	v_cmp_le_u32_e32 vcc_lo, s19, v6
	v_dual_cndmask_b32 v6, v30, v32, vcc_lo :: v_dual_bitop2_b32 v31, s33, v31 bitop3:0x14
	v_mov_b64_e32 v[32:33], v[28:29]
	s_delay_alu instid0(VALU_DEP_2) | instskip(NEXT) | instid1(VALU_DEP_1)
	v_xor_b32_e32 v6, v6, v31
	v_sub_nc_u32_e32 v30, v6, v31
	s_delay_alu instid0(VALU_DEP_1) | instskip(NEXT) | instid1(VALU_DEP_1)
	v_ashrrev_i32_e32 v31, 31, v30
	v_cmp_ne_u64_e64 s8, v[22:23], v[30:31]
	v_cmp_eq_u64_e32 vcc_lo, v[22:23], v[30:31]
	s_wait_xcnt 0x0
	s_and_saveexec_b32 s35, s8
	s_delay_alu instid0(SALU_CYCLE_1)
	s_xor_b32 s8, exec_lo, s35
; %bb.11:                               ;   in Loop: Header=BB123_10 Depth=2
	v_min_i32_e32 v42, v30, v42
                                        ; implicit-def: $vgpr30
                                        ; implicit-def: $vgpr43
                                        ; implicit-def: $vgpr32_vgpr33
; %bb.12:                               ;   in Loop: Header=BB123_10 Depth=2
	s_or_saveexec_b32 s8, s8
	v_mov_b64_e32 v[28:29], v[16:17]
	s_xor_b32 exec_lo, exec_lo, s8
	s_cbranch_execz .LBB123_9
; %bb.13:                               ;   in Loop: Header=BB123_10 Depth=2
	global_load_b64 v[44:45], v[24:25], off
	v_mul_lo_u32 v6, v30, s13
	v_mov_b64_e32 v[28:29], v[32:33]
	s_delay_alu instid0(VALU_DEP_2) | instskip(NEXT) | instid1(VALU_DEP_1)
	v_sub_nc_u32_e32 v6, v43, v6
	v_lshl_add_u32 v6, v6, 3, v34
	ds_store_b8 v7, v41 offset:8192
	s_wait_loadcnt 0x0
	ds_store_b64 v6, v[44:45]
	s_branch .LBB123_9
.LBB123_14:                             ;   in Loop: Header=BB123_7 Depth=1
	s_or_b32 exec_lo, exec_lo, s34
.LBB123_15:                             ;   in Loop: Header=BB123_7 Depth=1
	s_delay_alu instid0(SALU_CYCLE_1)
	s_or_b32 exec_lo, exec_lo, s9
	ds_bpermute_b32 v16, v37, v28
	ds_bpermute_b32 v17, v37, v29
	s_wait_dscnt 0x0
	s_barrier_signal -1
	s_barrier_wait -1
	ds_load_u8 v6, v7 offset:8192
	s_mov_b64 s[8:9], 0
	v_min_i64 v[16:17], v[16:17], v[28:29]
	s_wait_dscnt 0x0
	v_and_b32_e32 v6, 1, v6
	s_delay_alu instid0(VALU_DEP_1)
	v_cmp_eq_u32_e32 vcc_lo, 0, v6
	s_and_b32 vcc_lo, exec_lo, vcc_lo
	ds_bpermute_b32 v24, v38, v16
	ds_bpermute_b32 v25, v38, v17
	s_wait_dscnt 0x0
	v_min_i64 v[16:17], v[24:25], v[16:17]
	ds_bpermute_b32 v24, v39, v16
	ds_bpermute_b32 v25, v39, v17
	s_wait_dscnt 0x0
	v_min_i64 v[16:17], v[24:25], v[16:17]
	ds_bpermute_b32 v16, v36, v16
	ds_bpermute_b32 v17, v36, v17
	s_cbranch_vccnz .LBB123_33
; %bb.16:                               ;   in Loop: Header=BB123_7 Depth=1
	s_mul_u64 s[8:9], s[26:27], s[10:11]
	v_add_nc_u32_e32 v6, s18, v22
	s_lshl_b64 s[8:9], s[8:9], 3
	s_delay_alu instid0(SALU_CYCLE_1) | instskip(SKIP_2) | instid1(SALU_CYCLE_1)
	v_add_nc_u64_e32 v[26:27], s[8:9], v[8:9]
	v_add_nc_u64_e32 v[24:25], s[8:9], v[10:11]
	s_lshl_b64 s[8:9], s[10:11], 2
	s_add_nc_u64 s[8:9], s[20:21], s[8:9]
	global_store_b32 v7, v6, s[8:9]
	s_wait_xcnt 0x0
	s_and_saveexec_b32 s8, s28
	s_cbranch_execz .LBB123_20
; %bb.17:                               ;   in Loop: Header=BB123_7 Depth=1
	ds_load_b64 v[22:23], v40
	s_and_b32 vcc_lo, exec_lo, s15
	s_cbranch_vccz .LBB123_49
; %bb.18:                               ;   in Loop: Header=BB123_7 Depth=1
	v_lshl_add_u64 v[28:29], v[12:13], 3, v[26:27]
	s_wait_dscnt 0x0
	global_store_b64 v[28:29], v[22:23], off
	s_cbranch_execnz .LBB123_20
.LBB123_19:                             ;   in Loop: Header=BB123_7 Depth=1
	s_wait_dscnt 0x0
	global_store_b64 v[24:25], v[22:23], off
.LBB123_20:                             ;   in Loop: Header=BB123_7 Depth=1
	s_wait_xcnt 0x0
	s_or_b32 exec_lo, exec_lo, s8
	s_and_saveexec_b32 s8, s29
	s_cbranch_execz .LBB123_24
; %bb.21:                               ;   in Loop: Header=BB123_7 Depth=1
	s_wait_dscnt 0x0
	ds_load_b64 v[22:23], v40 offset:64
	s_and_not1_b32 vcc_lo, exec_lo, s15
	s_cbranch_vccnz .LBB123_50
; %bb.22:                               ;   in Loop: Header=BB123_7 Depth=1
	v_lshl_add_u64 v[28:29], v[0:1], 3, v[26:27]
	s_wait_dscnt 0x0
	global_store_b64 v[28:29], v[22:23], off
	s_cbranch_execnz .LBB123_24
.LBB123_23:                             ;   in Loop: Header=BB123_7 Depth=1
	s_wait_dscnt 0x0
	global_store_b64 v[24:25], v[22:23], off offset:64
.LBB123_24:                             ;   in Loop: Header=BB123_7 Depth=1
	s_wait_xcnt 0x0
	s_or_b32 exec_lo, exec_lo, s8
	s_and_saveexec_b32 s8, s30
	s_cbranch_execz .LBB123_28
; %bb.25:                               ;   in Loop: Header=BB123_7 Depth=1
	s_wait_dscnt 0x0
	ds_load_b64 v[22:23], v40 offset:128
	s_and_not1_b32 vcc_lo, exec_lo, s15
	s_cbranch_vccnz .LBB123_51
; %bb.26:                               ;   in Loop: Header=BB123_7 Depth=1
	v_lshl_add_u64 v[28:29], v[14:15], 3, v[26:27]
	s_wait_dscnt 0x0
	global_store_b64 v[28:29], v[22:23], off
	s_cbranch_execnz .LBB123_28
.LBB123_27:                             ;   in Loop: Header=BB123_7 Depth=1
	s_wait_dscnt 0x0
	global_store_b64 v[24:25], v[22:23], off offset:128
.LBB123_28:                             ;   in Loop: Header=BB123_7 Depth=1
	s_wait_xcnt 0x0
	s_or_b32 exec_lo, exec_lo, s8
	s_and_saveexec_b32 s8, s31
	s_cbranch_execz .LBB123_32
; %bb.29:                               ;   in Loop: Header=BB123_7 Depth=1
	s_wait_dscnt 0x0
	ds_load_b64 v[22:23], v40 offset:192
	s_and_not1_b32 vcc_lo, exec_lo, s15
	s_cbranch_vccnz .LBB123_52
; %bb.30:                               ;   in Loop: Header=BB123_7 Depth=1
	v_lshl_add_u64 v[26:27], v[18:19], 3, v[26:27]
	s_wait_dscnt 0x0
	global_store_b64 v[26:27], v[22:23], off
	s_cbranch_execnz .LBB123_32
.LBB123_31:                             ;   in Loop: Header=BB123_7 Depth=1
	s_wait_dscnt 0x0
	global_store_b64 v[24:25], v[22:23], off offset:192
.LBB123_32:                             ;   in Loop: Header=BB123_7 Depth=1
	s_wait_xcnt 0x0
	s_or_b32 exec_lo, exec_lo, s8
	s_mov_b64 s[8:9], 1
.LBB123_33:                             ;   in Loop: Header=BB123_7 Depth=1
	s_wait_storecnt_dscnt 0x0
	s_barrier_signal -1
	s_barrier_wait -1
	ds_store_b32 v35, v42
	s_wait_dscnt 0x0
	s_barrier_signal -1
	s_barrier_wait -1
	s_and_saveexec_b32 s34, s0
	s_cbranch_execz .LBB123_35
; %bb.34:                               ;   in Loop: Header=BB123_7 Depth=1
	ds_load_2addr_stride64_b32 v[22:23], v35 offset1:2
	s_wait_dscnt 0x0
	v_min_i32_e32 v6, v23, v22
	ds_store_b32 v35, v6
.LBB123_35:                             ;   in Loop: Header=BB123_7 Depth=1
	s_or_b32 exec_lo, exec_lo, s34
	s_wait_dscnt 0x0
	s_barrier_signal -1
	s_barrier_wait -1
	s_and_saveexec_b32 s34, s1
	s_cbranch_execz .LBB123_37
; %bb.36:                               ;   in Loop: Header=BB123_7 Depth=1
	ds_load_2addr_stride64_b32 v[22:23], v35 offset1:1
	s_wait_dscnt 0x0
	v_min_i32_e32 v6, v23, v22
	ds_store_b32 v35, v6
.LBB123_37:                             ;   in Loop: Header=BB123_7 Depth=1
	s_or_b32 exec_lo, exec_lo, s34
	s_wait_dscnt 0x0
	s_barrier_signal -1
	s_barrier_wait -1
	s_and_saveexec_b32 s34, s2
	s_cbranch_execz .LBB123_39
; %bb.38:                               ;   in Loop: Header=BB123_7 Depth=1
	ds_load_2addr_b32 v[22:23], v35 offset1:32
	s_wait_dscnt 0x0
	v_min_i32_e32 v6, v23, v22
	ds_store_b32 v35, v6
.LBB123_39:                             ;   in Loop: Header=BB123_7 Depth=1
	s_or_b32 exec_lo, exec_lo, s34
	s_wait_dscnt 0x0
	s_barrier_signal -1
	s_barrier_wait -1
	s_and_saveexec_b32 s34, s3
	s_cbranch_execz .LBB123_41
; %bb.40:                               ;   in Loop: Header=BB123_7 Depth=1
	ds_load_2addr_b32 v[22:23], v35 offset1:16
	s_wait_dscnt 0x0
	v_min_i32_e32 v6, v23, v22
	ds_store_b32 v35, v6
.LBB123_41:                             ;   in Loop: Header=BB123_7 Depth=1
	s_or_b32 exec_lo, exec_lo, s34
	s_wait_dscnt 0x0
	s_barrier_signal -1
	s_barrier_wait -1
	s_and_saveexec_b32 s34, s4
	s_cbranch_execz .LBB123_43
; %bb.42:                               ;   in Loop: Header=BB123_7 Depth=1
	ds_load_2addr_b32 v[22:23], v35 offset1:8
	s_wait_dscnt 0x0
	v_min_i32_e32 v6, v23, v22
	ds_store_b32 v35, v6
.LBB123_43:                             ;   in Loop: Header=BB123_7 Depth=1
	s_or_b32 exec_lo, exec_lo, s34
	s_wait_dscnt 0x0
	s_barrier_signal -1
	s_barrier_wait -1
	s_and_saveexec_b32 s34, s5
	s_cbranch_execz .LBB123_45
; %bb.44:                               ;   in Loop: Header=BB123_7 Depth=1
	ds_load_2addr_b32 v[22:23], v35 offset1:4
	s_wait_dscnt 0x0
	v_min_i32_e32 v6, v23, v22
	ds_store_b32 v35, v6
.LBB123_45:                             ;   in Loop: Header=BB123_7 Depth=1
	s_or_b32 exec_lo, exec_lo, s34
	s_wait_dscnt 0x0
	s_barrier_signal -1
	s_barrier_wait -1
	s_and_saveexec_b32 s34, s6
	s_cbranch_execz .LBB123_47
; %bb.46:                               ;   in Loop: Header=BB123_7 Depth=1
	ds_load_2addr_b32 v[22:23], v35 offset1:2
	s_wait_dscnt 0x0
	v_min_i32_e32 v6, v23, v22
	ds_store_b32 v35, v6
.LBB123_47:                             ;   in Loop: Header=BB123_7 Depth=1
	s_or_b32 exec_lo, exec_lo, s34
	s_wait_dscnt 0x0
	s_barrier_signal -1
	s_barrier_wait -1
	s_and_saveexec_b32 s34, s7
	s_cbranch_execz .LBB123_6
; %bb.48:                               ;   in Loop: Header=BB123_7 Depth=1
	ds_load_b64 v[22:23], v7
	s_wait_dscnt 0x0
	v_min_i32_e32 v6, v23, v22
	ds_store_b32 v7, v6
	s_branch .LBB123_6
.LBB123_49:                             ;   in Loop: Header=BB123_7 Depth=1
	s_branch .LBB123_19
.LBB123_50:                             ;   in Loop: Header=BB123_7 Depth=1
	s_branch .LBB123_23
.LBB123_51:                             ;   in Loop: Header=BB123_7 Depth=1
	s_branch .LBB123_27
.LBB123_52:                             ;   in Loop: Header=BB123_7 Depth=1
	s_branch .LBB123_31
.LBB123_53:
	s_endpgm
	.section	.rodata,"a",@progbits
	.p2align	6, 0x0
	.amdhsa_kernel _ZN9rocsparseL38csr2bsr_block_per_row_multipass_kernelILj256ELj32EdliEEv20rocsparse_direction_T3_S2_S2_S2_S2_21rocsparse_index_base_PKT1_PKT2_PKS2_S3_PS4_PS7_PS2_
		.amdhsa_group_segment_fixed_size 8200
		.amdhsa_private_segment_fixed_size 0
		.amdhsa_kernarg_size 88
		.amdhsa_user_sgpr_count 2
		.amdhsa_user_sgpr_dispatch_ptr 0
		.amdhsa_user_sgpr_queue_ptr 0
		.amdhsa_user_sgpr_kernarg_segment_ptr 1
		.amdhsa_user_sgpr_dispatch_id 0
		.amdhsa_user_sgpr_kernarg_preload_length 0
		.amdhsa_user_sgpr_kernarg_preload_offset 0
		.amdhsa_user_sgpr_private_segment_size 0
		.amdhsa_wavefront_size32 1
		.amdhsa_uses_dynamic_stack 0
		.amdhsa_enable_private_segment 0
		.amdhsa_system_sgpr_workgroup_id_x 1
		.amdhsa_system_sgpr_workgroup_id_y 0
		.amdhsa_system_sgpr_workgroup_id_z 0
		.amdhsa_system_sgpr_workgroup_info 0
		.amdhsa_system_vgpr_workitem_id 0
		.amdhsa_next_free_vgpr 46
		.amdhsa_next_free_sgpr 36
		.amdhsa_named_barrier_count 0
		.amdhsa_reserve_vcc 1
		.amdhsa_float_round_mode_32 0
		.amdhsa_float_round_mode_16_64 0
		.amdhsa_float_denorm_mode_32 3
		.amdhsa_float_denorm_mode_16_64 3
		.amdhsa_fp16_overflow 0
		.amdhsa_memory_ordered 1
		.amdhsa_forward_progress 1
		.amdhsa_inst_pref_size 17
		.amdhsa_round_robin_scheduling 0
		.amdhsa_exception_fp_ieee_invalid_op 0
		.amdhsa_exception_fp_denorm_src 0
		.amdhsa_exception_fp_ieee_div_zero 0
		.amdhsa_exception_fp_ieee_overflow 0
		.amdhsa_exception_fp_ieee_underflow 0
		.amdhsa_exception_fp_ieee_inexact 0
		.amdhsa_exception_int_div_zero 0
	.end_amdhsa_kernel
	.section	.text._ZN9rocsparseL38csr2bsr_block_per_row_multipass_kernelILj256ELj32EdliEEv20rocsparse_direction_T3_S2_S2_S2_S2_21rocsparse_index_base_PKT1_PKT2_PKS2_S3_PS4_PS7_PS2_,"axG",@progbits,_ZN9rocsparseL38csr2bsr_block_per_row_multipass_kernelILj256ELj32EdliEEv20rocsparse_direction_T3_S2_S2_S2_S2_21rocsparse_index_base_PKT1_PKT2_PKS2_S3_PS4_PS7_PS2_,comdat
.Lfunc_end123:
	.size	_ZN9rocsparseL38csr2bsr_block_per_row_multipass_kernelILj256ELj32EdliEEv20rocsparse_direction_T3_S2_S2_S2_S2_21rocsparse_index_base_PKT1_PKT2_PKS2_S3_PS4_PS7_PS2_, .Lfunc_end123-_ZN9rocsparseL38csr2bsr_block_per_row_multipass_kernelILj256ELj32EdliEEv20rocsparse_direction_T3_S2_S2_S2_S2_21rocsparse_index_base_PKT1_PKT2_PKS2_S3_PS4_PS7_PS2_
                                        ; -- End function
	.set _ZN9rocsparseL38csr2bsr_block_per_row_multipass_kernelILj256ELj32EdliEEv20rocsparse_direction_T3_S2_S2_S2_S2_21rocsparse_index_base_PKT1_PKT2_PKS2_S3_PS4_PS7_PS2_.num_vgpr, 46
	.set _ZN9rocsparseL38csr2bsr_block_per_row_multipass_kernelILj256ELj32EdliEEv20rocsparse_direction_T3_S2_S2_S2_S2_21rocsparse_index_base_PKT1_PKT2_PKS2_S3_PS4_PS7_PS2_.num_agpr, 0
	.set _ZN9rocsparseL38csr2bsr_block_per_row_multipass_kernelILj256ELj32EdliEEv20rocsparse_direction_T3_S2_S2_S2_S2_21rocsparse_index_base_PKT1_PKT2_PKS2_S3_PS4_PS7_PS2_.numbered_sgpr, 36
	.set _ZN9rocsparseL38csr2bsr_block_per_row_multipass_kernelILj256ELj32EdliEEv20rocsparse_direction_T3_S2_S2_S2_S2_21rocsparse_index_base_PKT1_PKT2_PKS2_S3_PS4_PS7_PS2_.num_named_barrier, 0
	.set _ZN9rocsparseL38csr2bsr_block_per_row_multipass_kernelILj256ELj32EdliEEv20rocsparse_direction_T3_S2_S2_S2_S2_21rocsparse_index_base_PKT1_PKT2_PKS2_S3_PS4_PS7_PS2_.private_seg_size, 0
	.set _ZN9rocsparseL38csr2bsr_block_per_row_multipass_kernelILj256ELj32EdliEEv20rocsparse_direction_T3_S2_S2_S2_S2_21rocsparse_index_base_PKT1_PKT2_PKS2_S3_PS4_PS7_PS2_.uses_vcc, 1
	.set _ZN9rocsparseL38csr2bsr_block_per_row_multipass_kernelILj256ELj32EdliEEv20rocsparse_direction_T3_S2_S2_S2_S2_21rocsparse_index_base_PKT1_PKT2_PKS2_S3_PS4_PS7_PS2_.uses_flat_scratch, 0
	.set _ZN9rocsparseL38csr2bsr_block_per_row_multipass_kernelILj256ELj32EdliEEv20rocsparse_direction_T3_S2_S2_S2_S2_21rocsparse_index_base_PKT1_PKT2_PKS2_S3_PS4_PS7_PS2_.has_dyn_sized_stack, 0
	.set _ZN9rocsparseL38csr2bsr_block_per_row_multipass_kernelILj256ELj32EdliEEv20rocsparse_direction_T3_S2_S2_S2_S2_21rocsparse_index_base_PKT1_PKT2_PKS2_S3_PS4_PS7_PS2_.has_recursion, 0
	.set _ZN9rocsparseL38csr2bsr_block_per_row_multipass_kernelILj256ELj32EdliEEv20rocsparse_direction_T3_S2_S2_S2_S2_21rocsparse_index_base_PKT1_PKT2_PKS2_S3_PS4_PS7_PS2_.has_indirect_call, 0
	.section	.AMDGPU.csdata,"",@progbits
; Kernel info:
; codeLenInByte = 2168
; TotalNumSgprs: 38
; NumVgprs: 46
; ScratchSize: 0
; MemoryBound: 0
; FloatMode: 240
; IeeeMode: 1
; LDSByteSize: 8200 bytes/workgroup (compile time only)
; SGPRBlocks: 0
; VGPRBlocks: 2
; NumSGPRsForWavesPerEU: 38
; NumVGPRsForWavesPerEU: 46
; NamedBarCnt: 0
; Occupancy: 16
; WaveLimiterHint : 0
; COMPUTE_PGM_RSRC2:SCRATCH_EN: 0
; COMPUTE_PGM_RSRC2:USER_SGPR: 2
; COMPUTE_PGM_RSRC2:TRAP_HANDLER: 0
; COMPUTE_PGM_RSRC2:TGID_X_EN: 1
; COMPUTE_PGM_RSRC2:TGID_Y_EN: 0
; COMPUTE_PGM_RSRC2:TGID_Z_EN: 0
; COMPUTE_PGM_RSRC2:TIDIG_COMP_CNT: 0
	.section	.text._ZN9rocsparseL38csr2bsr_block_per_row_multipass_kernelILj256ELj64EdliEEv20rocsparse_direction_T3_S2_S2_S2_S2_21rocsparse_index_base_PKT1_PKT2_PKS2_S3_PS4_PS7_PS2_,"axG",@progbits,_ZN9rocsparseL38csr2bsr_block_per_row_multipass_kernelILj256ELj64EdliEEv20rocsparse_direction_T3_S2_S2_S2_S2_21rocsparse_index_base_PKT1_PKT2_PKS2_S3_PS4_PS7_PS2_,comdat
	.globl	_ZN9rocsparseL38csr2bsr_block_per_row_multipass_kernelILj256ELj64EdliEEv20rocsparse_direction_T3_S2_S2_S2_S2_21rocsparse_index_base_PKT1_PKT2_PKS2_S3_PS4_PS7_PS2_ ; -- Begin function _ZN9rocsparseL38csr2bsr_block_per_row_multipass_kernelILj256ELj64EdliEEv20rocsparse_direction_T3_S2_S2_S2_S2_21rocsparse_index_base_PKT1_PKT2_PKS2_S3_PS4_PS7_PS2_
	.p2align	8
	.type	_ZN9rocsparseL38csr2bsr_block_per_row_multipass_kernelILj256ELj64EdliEEv20rocsparse_direction_T3_S2_S2_S2_S2_21rocsparse_index_base_PKT1_PKT2_PKS2_S3_PS4_PS7_PS2_,@function
_ZN9rocsparseL38csr2bsr_block_per_row_multipass_kernelILj256ELj64EdliEEv20rocsparse_direction_T3_S2_S2_S2_S2_21rocsparse_index_base_PKT1_PKT2_PKS2_S3_PS4_PS7_PS2_: ; @_ZN9rocsparseL38csr2bsr_block_per_row_multipass_kernelILj256ELj64EdliEEv20rocsparse_direction_T3_S2_S2_S2_S2_21rocsparse_index_base_PKT1_PKT2_PKS2_S3_PS4_PS7_PS2_
; %bb.0:
	s_clause 0x1
	s_load_b96 s[16:18], s[0:1], 0x10
	s_load_b64 s[6:7], s[0:1], 0x0
	s_bfe_u32 s2, ttmp6, 0x4000c
	s_and_b32 s3, ttmp6, 15
	s_add_co_i32 s2, s2, 1
	s_getreg_b32 s4, hwreg(HW_REG_IB_STS2, 6, 4)
	s_mul_i32 s2, ttmp9, s2
	v_lshrrev_b32_e32 v1, 2, v0
	s_add_co_i32 s3, s3, s2
	s_cmp_eq_u32 s4, 0
	s_load_b64 s[4:5], s[0:1], 0x28
	s_cselect_b32 s8, ttmp9, s3
	v_mov_b64_e32 v[2:3], 0
	v_mov_b64_e32 v[20:21], 0
	s_mov_b32 s3, 0
	s_wait_kmcnt 0x0
	v_mad_u32 v4, s17, s8, v1
	v_cmp_gt_i32_e32 vcc_lo, s17, v1
	s_delay_alu instid0(VALU_DEP_2) | instskip(SKIP_1) | instid1(SALU_CYCLE_1)
	v_cmp_gt_i32_e64 s2, s7, v4
	s_and_b32 s7, vcc_lo, s2
	s_and_saveexec_b32 s9, s7
	s_cbranch_execnz .LBB124_3
; %bb.1:
	s_or_b32 exec_lo, exec_lo, s9
	s_and_saveexec_b32 s2, s7
	s_cbranch_execnz .LBB124_4
.LBB124_2:
	s_or_b32 exec_lo, exec_lo, s2
	s_cmp_lt_i32 s16, 1
	s_cbranch_scc0 .LBB124_5
	s_branch .LBB124_113
.LBB124_3:
	global_load_b64 v[6:7], v4, s[4:5] scale_offset
	s_mov_b32 s2, s18
	s_wait_loadcnt 0x0
	v_sub_nc_u64_e64 v[20:21], v[6:7], s[2:3]
	s_or_b32 exec_lo, exec_lo, s9
	s_and_saveexec_b32 s2, s7
	s_cbranch_execz .LBB124_2
.LBB124_4:
	global_load_b64 v[2:3], v4, s[4:5] offset:8 scale_offset
	s_wait_xcnt 0x0
	s_mov_b32 s5, 0
	s_mov_b32 s4, s18
	s_wait_loadcnt 0x0
	v_sub_nc_u64_e64 v[2:3], v[2:3], s[4:5]
	s_or_b32 exec_lo, exec_lo, s2
	s_cmp_lt_i32 s16, 1
	s_cbranch_scc1 .LBB124_113
.LBB124_5:
	s_clause 0x3
	s_load_b128 s[12:15], s[0:1], 0x40
	s_load_b64 s[10:11], s[0:1], 0x50
	s_load_b64 s[24:25], s[0:1], 0x20
	s_load_b96 s[20:22], s[0:1], 0x30
	v_dual_lshlrev_b32 v58, 9, v1 :: v_dual_bitop2_b32 v4, 3, v0 bitop3:0x40
	v_mbcnt_lo_u32_b32 v10, -1, 0
	s_ashr_i32 s9, s8, 31
	v_dual_mov_b32 v7, 0 :: v_dual_lshlrev_b32 v6, 3, v1
	s_lshl_b64 s[8:9], s[8:9], 3
	s_delay_alu instid0(VALU_DEP_2) | instskip(SKIP_1) | instid1(VALU_DEP_2)
	v_dual_lshlrev_b32 v44, 3, v4 :: v_dual_bitop2_b32 v11, 2, v10 bitop3:0x14
	s_cmp_lg_u32 s6, 0
	v_dual_mov_b32 v45, v7 :: v_dual_bitop2_b32 v12, 1, v10 bitop3:0x14
	v_lshl_or_b32 v60, v10, 2, 12
	s_delay_alu instid0(VALU_DEP_3)
	v_cmp_gt_i32_e64 s6, 32, v11
	s_mov_b32 s27, 0
	v_dual_lshlrev_b32 v59, 2, v0 :: v_dual_mov_b32 v5, v7
	s_wait_kmcnt 0x0
	s_add_nc_u64 s[8:9], s[14:15], s[8:9]
	v_add_nc_u64_e32 v[8:9], s[12:13], v[6:7]
	s_load_b64 s[14:15], s[8:9], 0x0
	v_mul_lo_u32 v6, s17, v1
	v_cndmask_b32_e64 v1, v10, v11, s6
	v_cmp_gt_i32_e64 s6, 32, v12
	s_mov_b32 s26, s22
	v_cmp_gt_u32_e64 s0, 0x80, v0
	v_cmp_gt_u32_e64 s1, 64, v0
	;; [unrolled: 1-line block ×3, first 2 shown]
	v_cndmask_b32_e64 v11, v10, v12, s6
	v_mul_lo_u32 v10, v4, s17
	v_cmp_gt_u32_e64 s3, 16, v0
	v_cmp_gt_u32_e64 s4, 8, v0
	;; [unrolled: 1-line block ×3, first 2 shown]
	s_wait_xcnt 0x0
	v_cmp_gt_u32_e64 s8, s17, v4
	v_dual_lshlrev_b32 v61, 2, v1 :: v_dual_lshlrev_b32 v62, 2, v11
	v_dual_mov_b32 v11, v7 :: v_dual_bitop2_b32 v1, 4, v4 bitop3:0x54
	v_cmp_gt_u32_e64 s6, 2, v0
	v_cmp_eq_u32_e64 s7, 0, v0
	v_or_b32_e32 v0, 8, v4
	v_lshl_add_u64 v[12:13], v[6:7], 3, s[12:13]
	s_wait_kmcnt 0x0
	s_sub_nc_u64 s[12:13], s[14:15], s[26:27]
	s_mov_b32 s26, s17
	s_cselect_b32 s19, -1, 0
	s_mul_u64 s[14:15], s[26:27], s[26:27]
	s_lshl_b32 s26, s17, 2
	s_and_b32 s23, vcc_lo, s8
	v_cmp_gt_u32_e64 s8, s17, v1
	v_dual_mov_b32 v1, v7 :: v_dual_bitop2_b32 v6, 12, v4 bitop3:0x54
	v_cmp_gt_u32_e64 s9, s17, v0
	v_add_nc_u32_e32 v0, s26, v10
	s_and_b32 s28, vcc_lo, s8
	v_cmp_gt_u32_e64 s8, s17, v6
	v_dual_mov_b32 v15, v7 :: v_dual_bitop2_b32 v6, 16, v4 bitop3:0x54
	s_delay_alu instid0(VALU_DEP_3) | instskip(SKIP_3) | instid1(VALU_DEP_2)
	v_dual_mov_b32 v17, v7 :: v_dual_add_nc_u32 v14, s26, v0
	v_or_b32_e32 v18, 20, v4
	s_and_b32 s29, vcc_lo, s9
	s_and_b32 s30, vcc_lo, s8
	v_add_nc_u32_e32 v16, s26, v14
	v_cmp_gt_u32_e64 s8, s17, v6
	v_cmp_gt_u32_e64 s9, s17, v18
	v_dual_mov_b32 v19, v7 :: v_dual_bitop2_b32 v6, 24, v4 bitop3:0x54
	s_delay_alu instid0(VALU_DEP_4) | instskip(SKIP_1) | instid1(VALU_DEP_2)
	v_dual_mov_b32 v23, v7 :: v_dual_add_nc_u32 v18, s26, v16
	s_and_b32 s31, vcc_lo, s8
	v_cmp_gt_u32_e64 s8, s17, v6
	s_delay_alu instid0(VALU_DEP_2) | instskip(SKIP_3) | instid1(VALU_DEP_2)
	v_dual_add_nc_u32 v22, s26, v18 :: v_dual_bitop2_b32 v6, 28, v4 bitop3:0x54
	v_or_b32_e32 v26, 32, v4
	s_and_b32 s33, vcc_lo, s9
	s_and_b32 s34, vcc_lo, s8
	v_cmp_gt_u32_e64 s8, s17, v6
	v_dual_mov_b32 v25, v7 :: v_dual_add_nc_u32 v24, s26, v22
	v_or_b32_e32 v6, 36, v4
	v_cmp_gt_u32_e64 s9, s17, v26
	s_and_b32 s35, vcc_lo, s8
	v_dual_mov_b32 v27, v7 :: v_dual_add_nc_u32 v26, s26, v24
	v_cmp_gt_u32_e64 s8, s17, v6
	v_dual_mov_b32 v29, v7 :: v_dual_bitop2_b32 v6, 40, v4 bitop3:0x54
	s_delay_alu instid0(VALU_DEP_3) | instskip(SKIP_1) | instid1(VALU_DEP_2)
	v_dual_add_nc_u32 v28, s26, v26 :: v_dual_bitop2_b32 v32, 44, v4 bitop3:0x54
	s_and_b32 s37, vcc_lo, s8
	v_cmp_gt_u32_e64 s8, s17, v6
	v_mov_b32_e32 v31, v7
	s_and_b32 s36, vcc_lo, s9
	v_add_nc_u32_e32 v30, s26, v28
	v_or_b32_e32 v6, 48, v4
	v_cmp_gt_u32_e64 s9, s17, v32
	s_abs_i32 s40, s17
	s_and_b32 s38, vcc_lo, s8
	v_dual_mov_b32 v33, v7 :: v_dual_add_nc_u32 v32, s26, v30
	v_cmp_gt_u32_e64 s8, s17, v6
	v_or_b32_e32 v6, 52, v4
	s_and_b32 s39, vcc_lo, s9
	v_dual_mov_b32 v35, v7 :: v_dual_add_nc_u32 v34, s26, v32
	s_cvt_f32_u32 s9, s40
	s_and_b32 s41, vcc_lo, s8
	v_cmp_gt_u32_e64 s8, s17, v6
	s_delay_alu instid0(VALU_DEP_2) | instskip(SKIP_2) | instid1(VALU_DEP_2)
	v_dual_mov_b32 v37, v7 :: v_dual_add_nc_u32 v36, s26, v34
	v_rcp_iflag_f32_e32 v6, s9
	v_dual_mov_b32 v41, v7 :: v_dual_bitop2_b32 v40, 60, v4 bitop3:0x54
	v_add_nc_u32_e32 v38, s26, v36
	v_or_b32_e32 v39, 56, v4
	s_and_b32 s42, vcc_lo, s8
	s_delay_alu instid0(VALU_DEP_3) | instskip(NEXT) | instid1(TRANS32_DEP_1)
	v_cmp_gt_u32_e64 s9, s17, v40
	v_readfirstlane_b32 s43, v6
	v_add_nc_u32_e32 v40, s26, v38
	v_cmp_gt_u32_e64 s8, s17, v39
	v_add_nc_u64_e32 v[12:13], v[12:13], v[44:45]
	s_and_b32 s44, vcc_lo, s9
	s_mul_f32 s45, s43, 0x4f7ffffe
	s_sub_co_i32 s9, 0, s40
	s_and_b32 s43, vcc_lo, s8
	v_mov_b64_e32 v[50:51], 0
	s_cvt_u32_f32 s8, s45
	v_dual_mov_b32 v64, 1 :: v_dual_add_nc_u32 v63, v44, v58
	v_mov_b64_e32 v[44:45], 0
	s_delay_alu instid0(SALU_CYCLE_1)
	s_mul_i32 s9, s9, s8
	v_dual_mov_b32 v39, v7 :: v_dual_add_nc_u32 v42, s26, v40
	v_mov_b32_e32 v43, v7
	s_mul_hi_u32 s9, s8, s9
	s_ashr_i32 s45, s17, 31
	s_add_co_i32 s26, s8, s9
	s_branch .LBB124_7
.LBB124_6:                              ;   in Loop: Header=BB124_7 Depth=1
	s_or_b32 exec_lo, exec_lo, s46
	s_wait_dscnt 0x0
	s_barrier_signal -1
	s_barrier_wait -1
	ds_load_b32 v50, v7
	s_add_nc_u64 s[12:13], s[8:9], s[12:13]
	s_wait_dscnt 0x0
	s_barrier_signal -1
	s_barrier_wait -1
	v_cmp_gt_i32_e32 vcc_lo, s16, v50
	v_ashrrev_i32_e32 v51, 31, v50
	s_cbranch_vccz .LBB124_113
.LBB124_7:                              ; =>This Loop Header: Depth=1
                                        ;     Child Loop BB124_10 Depth 2
	v_add_nc_u64_e32 v[20:21], v[20:21], v[4:5]
	v_mov_b64_e32 v[52:53], v[2:3]
	v_mov_b32_e32 v65, s16
	s_mov_b32 s9, exec_lo
	ds_store_b8 v7, v7 offset:32768
	ds_store_2addr_b64 v63, v[44:45], v[44:45] offset1:4
	ds_store_2addr_b64 v63, v[44:45], v[44:45] offset0:8 offset1:12
	ds_store_2addr_b64 v63, v[44:45], v[44:45] offset0:16 offset1:20
	;; [unrolled: 1-line block ×7, first 2 shown]
	s_wait_dscnt 0x0
	s_barrier_signal -1
	s_barrier_wait -1
	v_cmpx_lt_i64_e64 v[20:21], v[2:3]
	s_cbranch_execz .LBB124_15
; %bb.8:                                ;   in Loop: Header=BB124_7 Depth=1
	v_mov_b64_e32 v[52:53], v[2:3]
	v_lshl_add_u64 v[46:47], v[20:21], 3, s[24:25]
	v_lshl_add_u64 v[48:49], v[20:21], 2, s[20:21]
	v_mov_b32_e32 v65, s16
	s_mov_b32 s46, 0
	s_branch .LBB124_10
.LBB124_9:                              ;   in Loop: Header=BB124_10 Depth=2
	s_wait_xcnt 0x0
	s_or_b32 exec_lo, exec_lo, s8
	v_add_nc_u64_e32 v[20:21], 4, v[20:21]
	s_xor_b32 s47, vcc_lo, -1
	v_add_nc_u64_e32 v[46:47], 32, v[46:47]
	v_add_nc_u64_e32 v[48:49], 16, v[48:49]
	s_delay_alu instid0(VALU_DEP_3) | instskip(SKIP_1) | instid1(SALU_CYCLE_1)
	v_cmp_ge_i64_e64 s8, v[20:21], v[2:3]
	s_or_b32 s8, s47, s8
	s_and_b32 s8, exec_lo, s8
	s_delay_alu instid0(SALU_CYCLE_1) | instskip(NEXT) | instid1(SALU_CYCLE_1)
	s_or_b32 s46, s8, s46
	s_and_not1_b32 exec_lo, exec_lo, s46
	s_cbranch_execz .LBB124_14
.LBB124_10:                             ;   Parent Loop BB124_7 Depth=1
                                        ; =>  This Inner Loop Header: Depth=2
	global_load_b32 v6, v[48:49], off
	s_wait_loadcnt 0x0
	v_subrev_nc_u32_e32 v66, s18, v6
	s_delay_alu instid0(VALU_DEP_1) | instskip(NEXT) | instid1(VALU_DEP_1)
	v_sub_nc_u32_e32 v6, 0, v66
	v_max_i32_e32 v6, v66, v6
	s_delay_alu instid0(VALU_DEP_1) | instskip(NEXT) | instid1(VALU_DEP_1)
	v_mul_u64_e32 v[54:55], s[26:27], v[6:7]
	v_mul_lo_u32 v54, v55, s40
	s_delay_alu instid0(VALU_DEP_1) | instskip(NEXT) | instid1(VALU_DEP_1)
	v_dual_sub_nc_u32 v6, v6, v54 :: v_dual_add_nc_u32 v54, 1, v55
	v_cmp_le_u32_e32 vcc_lo, s40, v6
	s_delay_alu instid0(VALU_DEP_2) | instskip(SKIP_1) | instid1(VALU_DEP_1)
	v_cndmask_b32_e32 v54, v55, v54, vcc_lo
	v_subrev_nc_u32_e32 v56, s40, v6
	v_dual_cndmask_b32 v6, v6, v56 :: v_dual_ashrrev_i32 v55, 31, v66
	s_delay_alu instid0(VALU_DEP_1) | instskip(NEXT) | instid1(VALU_DEP_2)
	v_dual_add_nc_u32 v56, 1, v54 :: v_dual_bitop2_b32 v55, s45, v55 bitop3:0x14
	v_cmp_le_u32_e32 vcc_lo, s40, v6
	s_delay_alu instid0(VALU_DEP_2) | instskip(SKIP_1) | instid1(VALU_DEP_2)
	v_cndmask_b32_e32 v6, v54, v56, vcc_lo
	v_mov_b64_e32 v[56:57], v[52:53]
	v_xor_b32_e32 v6, v6, v55
	s_delay_alu instid0(VALU_DEP_1) | instskip(NEXT) | instid1(VALU_DEP_1)
	v_sub_nc_u32_e32 v54, v6, v55
	v_ashrrev_i32_e32 v55, 31, v54
	s_delay_alu instid0(VALU_DEP_1) | instskip(SKIP_3) | instid1(SALU_CYCLE_1)
	v_cmp_ne_u64_e64 s8, v[50:51], v[54:55]
	v_cmp_eq_u64_e32 vcc_lo, v[50:51], v[54:55]
	s_wait_xcnt 0x0
	s_and_saveexec_b32 s47, s8
	s_xor_b32 s8, exec_lo, s47
; %bb.11:                               ;   in Loop: Header=BB124_10 Depth=2
	v_min_i32_e32 v65, v54, v65
                                        ; implicit-def: $vgpr54
                                        ; implicit-def: $vgpr66
                                        ; implicit-def: $vgpr56_vgpr57
; %bb.12:                               ;   in Loop: Header=BB124_10 Depth=2
	s_or_saveexec_b32 s8, s8
	v_mov_b64_e32 v[52:53], v[20:21]
	s_xor_b32 exec_lo, exec_lo, s8
	s_cbranch_execz .LBB124_9
; %bb.13:                               ;   in Loop: Header=BB124_10 Depth=2
	global_load_b64 v[68:69], v[46:47], off
	v_mul_lo_u32 v6, v54, s17
	v_mov_b64_e32 v[52:53], v[56:57]
	s_delay_alu instid0(VALU_DEP_2) | instskip(NEXT) | instid1(VALU_DEP_1)
	v_sub_nc_u32_e32 v6, v66, v6
	v_lshl_add_u32 v6, v6, 3, v58
	ds_store_b8 v7, v64 offset:32768
	s_wait_loadcnt 0x0
	ds_store_b64 v6, v[68:69]
	s_branch .LBB124_9
.LBB124_14:                             ;   in Loop: Header=BB124_7 Depth=1
	s_or_b32 exec_lo, exec_lo, s46
.LBB124_15:                             ;   in Loop: Header=BB124_7 Depth=1
	s_delay_alu instid0(SALU_CYCLE_1)
	s_or_b32 exec_lo, exec_lo, s9
	ds_bpermute_b32 v20, v61, v52
	ds_bpermute_b32 v21, v61, v53
	s_wait_dscnt 0x0
	s_barrier_signal -1
	s_barrier_wait -1
	ds_load_u8 v6, v7 offset:32768
	s_mov_b64 s[8:9], 0
	v_min_i64 v[20:21], v[20:21], v[52:53]
	s_wait_dscnt 0x0
	v_and_b32_e32 v6, 1, v6
	s_delay_alu instid0(VALU_DEP_1)
	v_cmp_eq_u32_e32 vcc_lo, 0, v6
	s_and_b32 vcc_lo, exec_lo, vcc_lo
	ds_bpermute_b32 v46, v62, v20
	ds_bpermute_b32 v47, v62, v21
	s_wait_dscnt 0x0
	v_min_i64 v[20:21], v[46:47], v[20:21]
	ds_bpermute_b32 v20, v60, v20
	ds_bpermute_b32 v21, v60, v21
	s_cbranch_vccnz .LBB124_81
; %bb.16:                               ;   in Loop: Header=BB124_7 Depth=1
	s_mul_u64 s[8:9], s[14:15], s[12:13]
	v_add_nc_u32_e32 v6, s22, v50
	s_lshl_b64 s[8:9], s[8:9], 3
	s_delay_alu instid0(SALU_CYCLE_1) | instskip(SKIP_2) | instid1(SALU_CYCLE_1)
	v_add_nc_u64_e32 v[48:49], s[8:9], v[8:9]
	v_add_nc_u64_e32 v[46:47], s[8:9], v[12:13]
	s_lshl_b64 s[8:9], s[12:13], 2
	s_add_nc_u64 s[8:9], s[10:11], s[8:9]
	global_store_b32 v7, v6, s[8:9]
	s_wait_xcnt 0x0
	s_and_saveexec_b32 s8, s23
	s_cbranch_execz .LBB124_20
; %bb.17:                               ;   in Loop: Header=BB124_7 Depth=1
	ds_load_b64 v[50:51], v63
	s_and_b32 vcc_lo, exec_lo, s19
	s_cbranch_vccz .LBB124_97
; %bb.18:                               ;   in Loop: Header=BB124_7 Depth=1
	v_lshl_add_u64 v[52:53], v[10:11], 3, v[48:49]
	s_wait_dscnt 0x0
	global_store_b64 v[52:53], v[50:51], off
	s_cbranch_execnz .LBB124_20
.LBB124_19:                             ;   in Loop: Header=BB124_7 Depth=1
	s_wait_dscnt 0x0
	global_store_b64 v[46:47], v[50:51], off
.LBB124_20:                             ;   in Loop: Header=BB124_7 Depth=1
	s_wait_xcnt 0x0
	s_or_b32 exec_lo, exec_lo, s8
	s_and_saveexec_b32 s8, s28
	s_cbranch_execz .LBB124_24
; %bb.21:                               ;   in Loop: Header=BB124_7 Depth=1
	s_wait_dscnt 0x0
	ds_load_b64 v[50:51], v63 offset:32
	s_and_not1_b32 vcc_lo, exec_lo, s19
	s_cbranch_vccnz .LBB124_98
; %bb.22:                               ;   in Loop: Header=BB124_7 Depth=1
	v_lshl_add_u64 v[52:53], v[0:1], 3, v[48:49]
	s_wait_dscnt 0x0
	global_store_b64 v[52:53], v[50:51], off
	s_cbranch_execnz .LBB124_24
.LBB124_23:                             ;   in Loop: Header=BB124_7 Depth=1
	s_wait_dscnt 0x0
	global_store_b64 v[46:47], v[50:51], off offset:32
.LBB124_24:                             ;   in Loop: Header=BB124_7 Depth=1
	s_wait_xcnt 0x0
	s_or_b32 exec_lo, exec_lo, s8
	s_and_saveexec_b32 s8, s29
	s_cbranch_execz .LBB124_28
; %bb.25:                               ;   in Loop: Header=BB124_7 Depth=1
	s_wait_dscnt 0x0
	ds_load_b64 v[50:51], v63 offset:64
	s_and_not1_b32 vcc_lo, exec_lo, s19
	s_cbranch_vccnz .LBB124_99
; %bb.26:                               ;   in Loop: Header=BB124_7 Depth=1
	v_lshl_add_u64 v[52:53], v[14:15], 3, v[48:49]
	s_wait_dscnt 0x0
	global_store_b64 v[52:53], v[50:51], off
	s_cbranch_execnz .LBB124_28
.LBB124_27:                             ;   in Loop: Header=BB124_7 Depth=1
	s_wait_dscnt 0x0
	global_store_b64 v[46:47], v[50:51], off offset:64
.LBB124_28:                             ;   in Loop: Header=BB124_7 Depth=1
	s_wait_xcnt 0x0
	s_or_b32 exec_lo, exec_lo, s8
	s_and_saveexec_b32 s8, s30
	s_cbranch_execz .LBB124_32
; %bb.29:                               ;   in Loop: Header=BB124_7 Depth=1
	s_wait_dscnt 0x0
	ds_load_b64 v[50:51], v63 offset:96
	s_and_not1_b32 vcc_lo, exec_lo, s19
	s_cbranch_vccnz .LBB124_100
; %bb.30:                               ;   in Loop: Header=BB124_7 Depth=1
	v_lshl_add_u64 v[52:53], v[16:17], 3, v[48:49]
	s_wait_dscnt 0x0
	global_store_b64 v[52:53], v[50:51], off
	s_cbranch_execnz .LBB124_32
.LBB124_31:                             ;   in Loop: Header=BB124_7 Depth=1
	s_wait_dscnt 0x0
	global_store_b64 v[46:47], v[50:51], off offset:96
.LBB124_32:                             ;   in Loop: Header=BB124_7 Depth=1
	s_wait_xcnt 0x0
	s_or_b32 exec_lo, exec_lo, s8
	s_and_saveexec_b32 s8, s31
	s_cbranch_execz .LBB124_36
; %bb.33:                               ;   in Loop: Header=BB124_7 Depth=1
	s_wait_dscnt 0x0
	ds_load_b64 v[50:51], v63 offset:128
	s_and_not1_b32 vcc_lo, exec_lo, s19
	s_cbranch_vccnz .LBB124_101
; %bb.34:                               ;   in Loop: Header=BB124_7 Depth=1
	v_lshl_add_u64 v[52:53], v[18:19], 3, v[48:49]
	s_wait_dscnt 0x0
	global_store_b64 v[52:53], v[50:51], off
	s_cbranch_execnz .LBB124_36
.LBB124_35:                             ;   in Loop: Header=BB124_7 Depth=1
	s_wait_dscnt 0x0
	global_store_b64 v[46:47], v[50:51], off offset:128
.LBB124_36:                             ;   in Loop: Header=BB124_7 Depth=1
	s_wait_xcnt 0x0
	s_or_b32 exec_lo, exec_lo, s8
	s_and_saveexec_b32 s8, s33
	s_cbranch_execz .LBB124_40
; %bb.37:                               ;   in Loop: Header=BB124_7 Depth=1
	s_wait_dscnt 0x0
	ds_load_b64 v[50:51], v63 offset:160
	s_and_not1_b32 vcc_lo, exec_lo, s19
	s_cbranch_vccnz .LBB124_102
; %bb.38:                               ;   in Loop: Header=BB124_7 Depth=1
	v_lshl_add_u64 v[52:53], v[22:23], 3, v[48:49]
	s_wait_dscnt 0x0
	global_store_b64 v[52:53], v[50:51], off
	s_cbranch_execnz .LBB124_40
.LBB124_39:                             ;   in Loop: Header=BB124_7 Depth=1
	s_wait_dscnt 0x0
	global_store_b64 v[46:47], v[50:51], off offset:160
.LBB124_40:                             ;   in Loop: Header=BB124_7 Depth=1
	s_wait_xcnt 0x0
	s_or_b32 exec_lo, exec_lo, s8
	s_and_saveexec_b32 s8, s34
	s_cbranch_execz .LBB124_44
; %bb.41:                               ;   in Loop: Header=BB124_7 Depth=1
	s_wait_dscnt 0x0
	ds_load_b64 v[50:51], v63 offset:192
	s_and_not1_b32 vcc_lo, exec_lo, s19
	s_cbranch_vccnz .LBB124_103
; %bb.42:                               ;   in Loop: Header=BB124_7 Depth=1
	v_lshl_add_u64 v[52:53], v[24:25], 3, v[48:49]
	s_wait_dscnt 0x0
	global_store_b64 v[52:53], v[50:51], off
	s_cbranch_execnz .LBB124_44
.LBB124_43:                             ;   in Loop: Header=BB124_7 Depth=1
	s_wait_dscnt 0x0
	global_store_b64 v[46:47], v[50:51], off offset:192
.LBB124_44:                             ;   in Loop: Header=BB124_7 Depth=1
	s_wait_xcnt 0x0
	s_or_b32 exec_lo, exec_lo, s8
	s_and_saveexec_b32 s8, s35
	s_cbranch_execz .LBB124_48
; %bb.45:                               ;   in Loop: Header=BB124_7 Depth=1
	s_wait_dscnt 0x0
	ds_load_b64 v[50:51], v63 offset:224
	s_and_not1_b32 vcc_lo, exec_lo, s19
	s_cbranch_vccnz .LBB124_104
; %bb.46:                               ;   in Loop: Header=BB124_7 Depth=1
	v_lshl_add_u64 v[52:53], v[26:27], 3, v[48:49]
	s_wait_dscnt 0x0
	global_store_b64 v[52:53], v[50:51], off
	s_cbranch_execnz .LBB124_48
.LBB124_47:                             ;   in Loop: Header=BB124_7 Depth=1
	s_wait_dscnt 0x0
	global_store_b64 v[46:47], v[50:51], off offset:224
.LBB124_48:                             ;   in Loop: Header=BB124_7 Depth=1
	s_wait_xcnt 0x0
	s_or_b32 exec_lo, exec_lo, s8
	s_and_saveexec_b32 s8, s36
	s_cbranch_execz .LBB124_52
; %bb.49:                               ;   in Loop: Header=BB124_7 Depth=1
	s_wait_dscnt 0x0
	ds_load_b64 v[50:51], v63 offset:256
	s_and_not1_b32 vcc_lo, exec_lo, s19
	s_cbranch_vccnz .LBB124_105
; %bb.50:                               ;   in Loop: Header=BB124_7 Depth=1
	v_lshl_add_u64 v[52:53], v[28:29], 3, v[48:49]
	s_wait_dscnt 0x0
	global_store_b64 v[52:53], v[50:51], off
	s_cbranch_execnz .LBB124_52
.LBB124_51:                             ;   in Loop: Header=BB124_7 Depth=1
	s_wait_dscnt 0x0
	global_store_b64 v[46:47], v[50:51], off offset:256
.LBB124_52:                             ;   in Loop: Header=BB124_7 Depth=1
	s_wait_xcnt 0x0
	s_or_b32 exec_lo, exec_lo, s8
	s_and_saveexec_b32 s8, s37
	s_cbranch_execz .LBB124_56
; %bb.53:                               ;   in Loop: Header=BB124_7 Depth=1
	s_wait_dscnt 0x0
	ds_load_b64 v[50:51], v63 offset:288
	s_and_not1_b32 vcc_lo, exec_lo, s19
	s_cbranch_vccnz .LBB124_106
; %bb.54:                               ;   in Loop: Header=BB124_7 Depth=1
	v_lshl_add_u64 v[52:53], v[30:31], 3, v[48:49]
	s_wait_dscnt 0x0
	global_store_b64 v[52:53], v[50:51], off
	s_cbranch_execnz .LBB124_56
.LBB124_55:                             ;   in Loop: Header=BB124_7 Depth=1
	s_wait_dscnt 0x0
	global_store_b64 v[46:47], v[50:51], off offset:288
.LBB124_56:                             ;   in Loop: Header=BB124_7 Depth=1
	s_wait_xcnt 0x0
	s_or_b32 exec_lo, exec_lo, s8
	s_and_saveexec_b32 s8, s38
	s_cbranch_execz .LBB124_60
; %bb.57:                               ;   in Loop: Header=BB124_7 Depth=1
	s_wait_dscnt 0x0
	ds_load_b64 v[50:51], v63 offset:320
	s_and_not1_b32 vcc_lo, exec_lo, s19
	s_cbranch_vccnz .LBB124_107
; %bb.58:                               ;   in Loop: Header=BB124_7 Depth=1
	v_lshl_add_u64 v[52:53], v[32:33], 3, v[48:49]
	s_wait_dscnt 0x0
	global_store_b64 v[52:53], v[50:51], off
	s_cbranch_execnz .LBB124_60
.LBB124_59:                             ;   in Loop: Header=BB124_7 Depth=1
	s_wait_dscnt 0x0
	global_store_b64 v[46:47], v[50:51], off offset:320
.LBB124_60:                             ;   in Loop: Header=BB124_7 Depth=1
	s_wait_xcnt 0x0
	s_or_b32 exec_lo, exec_lo, s8
	s_and_saveexec_b32 s8, s39
	s_cbranch_execz .LBB124_64
; %bb.61:                               ;   in Loop: Header=BB124_7 Depth=1
	s_wait_dscnt 0x0
	ds_load_b64 v[50:51], v63 offset:352
	s_and_not1_b32 vcc_lo, exec_lo, s19
	s_cbranch_vccnz .LBB124_108
; %bb.62:                               ;   in Loop: Header=BB124_7 Depth=1
	v_lshl_add_u64 v[52:53], v[34:35], 3, v[48:49]
	s_wait_dscnt 0x0
	global_store_b64 v[52:53], v[50:51], off
	s_cbranch_execnz .LBB124_64
.LBB124_63:                             ;   in Loop: Header=BB124_7 Depth=1
	s_wait_dscnt 0x0
	global_store_b64 v[46:47], v[50:51], off offset:352
.LBB124_64:                             ;   in Loop: Header=BB124_7 Depth=1
	s_wait_xcnt 0x0
	s_or_b32 exec_lo, exec_lo, s8
	s_and_saveexec_b32 s8, s41
	s_cbranch_execz .LBB124_68
; %bb.65:                               ;   in Loop: Header=BB124_7 Depth=1
	s_wait_dscnt 0x0
	ds_load_b64 v[50:51], v63 offset:384
	s_and_not1_b32 vcc_lo, exec_lo, s19
	s_cbranch_vccnz .LBB124_109
; %bb.66:                               ;   in Loop: Header=BB124_7 Depth=1
	v_lshl_add_u64 v[52:53], v[36:37], 3, v[48:49]
	s_wait_dscnt 0x0
	global_store_b64 v[52:53], v[50:51], off
	s_cbranch_execnz .LBB124_68
.LBB124_67:                             ;   in Loop: Header=BB124_7 Depth=1
	s_wait_dscnt 0x0
	global_store_b64 v[46:47], v[50:51], off offset:384
.LBB124_68:                             ;   in Loop: Header=BB124_7 Depth=1
	s_wait_xcnt 0x0
	s_or_b32 exec_lo, exec_lo, s8
	s_and_saveexec_b32 s8, s42
	s_cbranch_execz .LBB124_72
; %bb.69:                               ;   in Loop: Header=BB124_7 Depth=1
	s_wait_dscnt 0x0
	ds_load_b64 v[50:51], v63 offset:416
	s_and_not1_b32 vcc_lo, exec_lo, s19
	s_cbranch_vccnz .LBB124_110
; %bb.70:                               ;   in Loop: Header=BB124_7 Depth=1
	v_lshl_add_u64 v[52:53], v[38:39], 3, v[48:49]
	s_wait_dscnt 0x0
	global_store_b64 v[52:53], v[50:51], off
	s_cbranch_execnz .LBB124_72
.LBB124_71:                             ;   in Loop: Header=BB124_7 Depth=1
	s_wait_dscnt 0x0
	global_store_b64 v[46:47], v[50:51], off offset:416
.LBB124_72:                             ;   in Loop: Header=BB124_7 Depth=1
	s_wait_xcnt 0x0
	s_or_b32 exec_lo, exec_lo, s8
	s_and_saveexec_b32 s8, s43
	s_cbranch_execz .LBB124_76
; %bb.73:                               ;   in Loop: Header=BB124_7 Depth=1
	s_wait_dscnt 0x0
	ds_load_b64 v[50:51], v63 offset:448
	s_and_not1_b32 vcc_lo, exec_lo, s19
	s_cbranch_vccnz .LBB124_111
; %bb.74:                               ;   in Loop: Header=BB124_7 Depth=1
	v_lshl_add_u64 v[52:53], v[40:41], 3, v[48:49]
	s_wait_dscnt 0x0
	global_store_b64 v[52:53], v[50:51], off
	s_cbranch_execnz .LBB124_76
.LBB124_75:                             ;   in Loop: Header=BB124_7 Depth=1
	s_wait_dscnt 0x0
	global_store_b64 v[46:47], v[50:51], off offset:448
.LBB124_76:                             ;   in Loop: Header=BB124_7 Depth=1
	s_wait_xcnt 0x0
	s_or_b32 exec_lo, exec_lo, s8
	s_and_saveexec_b32 s8, s44
	s_cbranch_execz .LBB124_80
; %bb.77:                               ;   in Loop: Header=BB124_7 Depth=1
	s_wait_dscnt 0x0
	ds_load_b64 v[50:51], v63 offset:480
	s_and_not1_b32 vcc_lo, exec_lo, s19
	s_cbranch_vccnz .LBB124_112
; %bb.78:                               ;   in Loop: Header=BB124_7 Depth=1
	v_lshl_add_u64 v[48:49], v[42:43], 3, v[48:49]
	s_wait_dscnt 0x0
	global_store_b64 v[48:49], v[50:51], off
	s_cbranch_execnz .LBB124_80
.LBB124_79:                             ;   in Loop: Header=BB124_7 Depth=1
	s_wait_dscnt 0x0
	global_store_b64 v[46:47], v[50:51], off offset:480
.LBB124_80:                             ;   in Loop: Header=BB124_7 Depth=1
	s_wait_xcnt 0x0
	s_or_b32 exec_lo, exec_lo, s8
	s_mov_b64 s[8:9], 1
.LBB124_81:                             ;   in Loop: Header=BB124_7 Depth=1
	s_wait_storecnt_dscnt 0x0
	s_barrier_signal -1
	s_barrier_wait -1
	ds_store_b32 v59, v65
	s_wait_dscnt 0x0
	s_barrier_signal -1
	s_barrier_wait -1
	s_and_saveexec_b32 s46, s0
	s_cbranch_execz .LBB124_83
; %bb.82:                               ;   in Loop: Header=BB124_7 Depth=1
	ds_load_2addr_stride64_b32 v[46:47], v59 offset1:2
	s_wait_dscnt 0x0
	v_min_i32_e32 v6, v47, v46
	ds_store_b32 v59, v6
.LBB124_83:                             ;   in Loop: Header=BB124_7 Depth=1
	s_or_b32 exec_lo, exec_lo, s46
	s_wait_dscnt 0x0
	s_barrier_signal -1
	s_barrier_wait -1
	s_and_saveexec_b32 s46, s1
	s_cbranch_execz .LBB124_85
; %bb.84:                               ;   in Loop: Header=BB124_7 Depth=1
	ds_load_2addr_stride64_b32 v[46:47], v59 offset1:1
	s_wait_dscnt 0x0
	v_min_i32_e32 v6, v47, v46
	ds_store_b32 v59, v6
.LBB124_85:                             ;   in Loop: Header=BB124_7 Depth=1
	s_or_b32 exec_lo, exec_lo, s46
	s_wait_dscnt 0x0
	s_barrier_signal -1
	s_barrier_wait -1
	s_and_saveexec_b32 s46, s2
	s_cbranch_execz .LBB124_87
; %bb.86:                               ;   in Loop: Header=BB124_7 Depth=1
	ds_load_2addr_b32 v[46:47], v59 offset1:32
	s_wait_dscnt 0x0
	v_min_i32_e32 v6, v47, v46
	ds_store_b32 v59, v6
.LBB124_87:                             ;   in Loop: Header=BB124_7 Depth=1
	s_or_b32 exec_lo, exec_lo, s46
	s_wait_dscnt 0x0
	s_barrier_signal -1
	s_barrier_wait -1
	s_and_saveexec_b32 s46, s3
	s_cbranch_execz .LBB124_89
; %bb.88:                               ;   in Loop: Header=BB124_7 Depth=1
	ds_load_2addr_b32 v[46:47], v59 offset1:16
	s_wait_dscnt 0x0
	v_min_i32_e32 v6, v47, v46
	ds_store_b32 v59, v6
.LBB124_89:                             ;   in Loop: Header=BB124_7 Depth=1
	;; [unrolled: 12-line block ×5, first 2 shown]
	s_or_b32 exec_lo, exec_lo, s46
	s_wait_dscnt 0x0
	s_barrier_signal -1
	s_barrier_wait -1
	s_and_saveexec_b32 s46, s7
	s_cbranch_execz .LBB124_6
; %bb.96:                               ;   in Loop: Header=BB124_7 Depth=1
	ds_load_b64 v[46:47], v7
	s_wait_dscnt 0x0
	v_min_i32_e32 v6, v47, v46
	ds_store_b32 v7, v6
	s_branch .LBB124_6
.LBB124_97:                             ;   in Loop: Header=BB124_7 Depth=1
	s_branch .LBB124_19
.LBB124_98:                             ;   in Loop: Header=BB124_7 Depth=1
	s_branch .LBB124_23
.LBB124_99:                             ;   in Loop: Header=BB124_7 Depth=1
	s_branch .LBB124_27
.LBB124_100:                            ;   in Loop: Header=BB124_7 Depth=1
	s_branch .LBB124_31
.LBB124_101:                            ;   in Loop: Header=BB124_7 Depth=1
	s_branch .LBB124_35
.LBB124_102:                            ;   in Loop: Header=BB124_7 Depth=1
	s_branch .LBB124_39
.LBB124_103:                            ;   in Loop: Header=BB124_7 Depth=1
	s_branch .LBB124_43
.LBB124_104:                            ;   in Loop: Header=BB124_7 Depth=1
	s_branch .LBB124_47
.LBB124_105:                            ;   in Loop: Header=BB124_7 Depth=1
	s_branch .LBB124_51
.LBB124_106:                            ;   in Loop: Header=BB124_7 Depth=1
	s_branch .LBB124_55
.LBB124_107:                            ;   in Loop: Header=BB124_7 Depth=1
	s_branch .LBB124_59
.LBB124_108:                            ;   in Loop: Header=BB124_7 Depth=1
	s_branch .LBB124_63
.LBB124_109:                            ;   in Loop: Header=BB124_7 Depth=1
	s_branch .LBB124_67
.LBB124_110:                            ;   in Loop: Header=BB124_7 Depth=1
	s_branch .LBB124_71
.LBB124_111:                            ;   in Loop: Header=BB124_7 Depth=1
	s_branch .LBB124_75
.LBB124_112:                            ;   in Loop: Header=BB124_7 Depth=1
	s_branch .LBB124_79
.LBB124_113:
	s_endpgm
	.section	.rodata,"a",@progbits
	.p2align	6, 0x0
	.amdhsa_kernel _ZN9rocsparseL38csr2bsr_block_per_row_multipass_kernelILj256ELj64EdliEEv20rocsparse_direction_T3_S2_S2_S2_S2_21rocsparse_index_base_PKT1_PKT2_PKS2_S3_PS4_PS7_PS2_
		.amdhsa_group_segment_fixed_size 32776
		.amdhsa_private_segment_fixed_size 0
		.amdhsa_kernarg_size 88
		.amdhsa_user_sgpr_count 2
		.amdhsa_user_sgpr_dispatch_ptr 0
		.amdhsa_user_sgpr_queue_ptr 0
		.amdhsa_user_sgpr_kernarg_segment_ptr 1
		.amdhsa_user_sgpr_dispatch_id 0
		.amdhsa_user_sgpr_kernarg_preload_length 0
		.amdhsa_user_sgpr_kernarg_preload_offset 0
		.amdhsa_user_sgpr_private_segment_size 0
		.amdhsa_wavefront_size32 1
		.amdhsa_uses_dynamic_stack 0
		.amdhsa_enable_private_segment 0
		.amdhsa_system_sgpr_workgroup_id_x 1
		.amdhsa_system_sgpr_workgroup_id_y 0
		.amdhsa_system_sgpr_workgroup_id_z 0
		.amdhsa_system_sgpr_workgroup_info 0
		.amdhsa_system_vgpr_workitem_id 0
		.amdhsa_next_free_vgpr 70
		.amdhsa_next_free_sgpr 48
		.amdhsa_named_barrier_count 0
		.amdhsa_reserve_vcc 1
		.amdhsa_float_round_mode_32 0
		.amdhsa_float_round_mode_16_64 0
		.amdhsa_float_denorm_mode_32 3
		.amdhsa_float_denorm_mode_16_64 3
		.amdhsa_fp16_overflow 0
		.amdhsa_memory_ordered 1
		.amdhsa_forward_progress 1
		.amdhsa_inst_pref_size 28
		.amdhsa_round_robin_scheduling 0
		.amdhsa_exception_fp_ieee_invalid_op 0
		.amdhsa_exception_fp_denorm_src 0
		.amdhsa_exception_fp_ieee_div_zero 0
		.amdhsa_exception_fp_ieee_overflow 0
		.amdhsa_exception_fp_ieee_underflow 0
		.amdhsa_exception_fp_ieee_inexact 0
		.amdhsa_exception_int_div_zero 0
	.end_amdhsa_kernel
	.section	.text._ZN9rocsparseL38csr2bsr_block_per_row_multipass_kernelILj256ELj64EdliEEv20rocsparse_direction_T3_S2_S2_S2_S2_21rocsparse_index_base_PKT1_PKT2_PKS2_S3_PS4_PS7_PS2_,"axG",@progbits,_ZN9rocsparseL38csr2bsr_block_per_row_multipass_kernelILj256ELj64EdliEEv20rocsparse_direction_T3_S2_S2_S2_S2_21rocsparse_index_base_PKT1_PKT2_PKS2_S3_PS4_PS7_PS2_,comdat
.Lfunc_end124:
	.size	_ZN9rocsparseL38csr2bsr_block_per_row_multipass_kernelILj256ELj64EdliEEv20rocsparse_direction_T3_S2_S2_S2_S2_21rocsparse_index_base_PKT1_PKT2_PKS2_S3_PS4_PS7_PS2_, .Lfunc_end124-_ZN9rocsparseL38csr2bsr_block_per_row_multipass_kernelILj256ELj64EdliEEv20rocsparse_direction_T3_S2_S2_S2_S2_21rocsparse_index_base_PKT1_PKT2_PKS2_S3_PS4_PS7_PS2_
                                        ; -- End function
	.set _ZN9rocsparseL38csr2bsr_block_per_row_multipass_kernelILj256ELj64EdliEEv20rocsparse_direction_T3_S2_S2_S2_S2_21rocsparse_index_base_PKT1_PKT2_PKS2_S3_PS4_PS7_PS2_.num_vgpr, 70
	.set _ZN9rocsparseL38csr2bsr_block_per_row_multipass_kernelILj256ELj64EdliEEv20rocsparse_direction_T3_S2_S2_S2_S2_21rocsparse_index_base_PKT1_PKT2_PKS2_S3_PS4_PS7_PS2_.num_agpr, 0
	.set _ZN9rocsparseL38csr2bsr_block_per_row_multipass_kernelILj256ELj64EdliEEv20rocsparse_direction_T3_S2_S2_S2_S2_21rocsparse_index_base_PKT1_PKT2_PKS2_S3_PS4_PS7_PS2_.numbered_sgpr, 48
	.set _ZN9rocsparseL38csr2bsr_block_per_row_multipass_kernelILj256ELj64EdliEEv20rocsparse_direction_T3_S2_S2_S2_S2_21rocsparse_index_base_PKT1_PKT2_PKS2_S3_PS4_PS7_PS2_.num_named_barrier, 0
	.set _ZN9rocsparseL38csr2bsr_block_per_row_multipass_kernelILj256ELj64EdliEEv20rocsparse_direction_T3_S2_S2_S2_S2_21rocsparse_index_base_PKT1_PKT2_PKS2_S3_PS4_PS7_PS2_.private_seg_size, 0
	.set _ZN9rocsparseL38csr2bsr_block_per_row_multipass_kernelILj256ELj64EdliEEv20rocsparse_direction_T3_S2_S2_S2_S2_21rocsparse_index_base_PKT1_PKT2_PKS2_S3_PS4_PS7_PS2_.uses_vcc, 1
	.set _ZN9rocsparseL38csr2bsr_block_per_row_multipass_kernelILj256ELj64EdliEEv20rocsparse_direction_T3_S2_S2_S2_S2_21rocsparse_index_base_PKT1_PKT2_PKS2_S3_PS4_PS7_PS2_.uses_flat_scratch, 0
	.set _ZN9rocsparseL38csr2bsr_block_per_row_multipass_kernelILj256ELj64EdliEEv20rocsparse_direction_T3_S2_S2_S2_S2_21rocsparse_index_base_PKT1_PKT2_PKS2_S3_PS4_PS7_PS2_.has_dyn_sized_stack, 0
	.set _ZN9rocsparseL38csr2bsr_block_per_row_multipass_kernelILj256ELj64EdliEEv20rocsparse_direction_T3_S2_S2_S2_S2_21rocsparse_index_base_PKT1_PKT2_PKS2_S3_PS4_PS7_PS2_.has_recursion, 0
	.set _ZN9rocsparseL38csr2bsr_block_per_row_multipass_kernelILj256ELj64EdliEEv20rocsparse_direction_T3_S2_S2_S2_S2_21rocsparse_index_base_PKT1_PKT2_PKS2_S3_PS4_PS7_PS2_.has_indirect_call, 0
	.section	.AMDGPU.csdata,"",@progbits
; Kernel info:
; codeLenInByte = 3496
; TotalNumSgprs: 50
; NumVgprs: 70
; ScratchSize: 0
; MemoryBound: 0
; FloatMode: 240
; IeeeMode: 1
; LDSByteSize: 32776 bytes/workgroup (compile time only)
; SGPRBlocks: 0
; VGPRBlocks: 4
; NumSGPRsForWavesPerEU: 50
; NumVGPRsForWavesPerEU: 70
; NamedBarCnt: 0
; Occupancy: 12
; WaveLimiterHint : 0
; COMPUTE_PGM_RSRC2:SCRATCH_EN: 0
; COMPUTE_PGM_RSRC2:USER_SGPR: 2
; COMPUTE_PGM_RSRC2:TRAP_HANDLER: 0
; COMPUTE_PGM_RSRC2:TGID_X_EN: 1
; COMPUTE_PGM_RSRC2:TGID_Y_EN: 0
; COMPUTE_PGM_RSRC2:TGID_Z_EN: 0
; COMPUTE_PGM_RSRC2:TIDIG_COMP_CNT: 0
	.section	.text._ZN9rocsparseL21csr2bsr_65_inf_kernelILj32EdliEEv20rocsparse_direction_T2_S2_S2_S2_S2_S2_21rocsparse_index_base_PKT0_PKT1_PKS2_S3_PS4_PS7_PS2_SD_SE_SC_,"axG",@progbits,_ZN9rocsparseL21csr2bsr_65_inf_kernelILj32EdliEEv20rocsparse_direction_T2_S2_S2_S2_S2_S2_21rocsparse_index_base_PKT0_PKT1_PKS2_S3_PS4_PS7_PS2_SD_SE_SC_,comdat
	.globl	_ZN9rocsparseL21csr2bsr_65_inf_kernelILj32EdliEEv20rocsparse_direction_T2_S2_S2_S2_S2_S2_21rocsparse_index_base_PKT0_PKT1_PKS2_S3_PS4_PS7_PS2_SD_SE_SC_ ; -- Begin function _ZN9rocsparseL21csr2bsr_65_inf_kernelILj32EdliEEv20rocsparse_direction_T2_S2_S2_S2_S2_S2_21rocsparse_index_base_PKT0_PKT1_PKS2_S3_PS4_PS7_PS2_SD_SE_SC_
	.p2align	8
	.type	_ZN9rocsparseL21csr2bsr_65_inf_kernelILj32EdliEEv20rocsparse_direction_T2_S2_S2_S2_S2_S2_21rocsparse_index_base_PKT0_PKT1_PKS2_S3_PS4_PS7_PS2_SD_SE_SC_,@function
_ZN9rocsparseL21csr2bsr_65_inf_kernelILj32EdliEEv20rocsparse_direction_T2_S2_S2_S2_S2_S2_21rocsparse_index_base_PKT0_PKT1_PKS2_S3_PS4_PS7_PS2_SD_SE_SC_: ; @_ZN9rocsparseL21csr2bsr_65_inf_kernelILj32EdliEEv20rocsparse_direction_T2_S2_S2_S2_S2_S2_21rocsparse_index_base_PKT0_PKT1_PKS2_S3_PS4_PS7_PS2_SD_SE_SC_
; %bb.0:
	s_clause 0x2
	s_load_b128 s[4:7], s[0:1], 0x0
	s_load_b64 s[2:3], s[0:1], 0x58
	s_load_b32 s15, s[0:1], 0x38
	s_bfe_u32 s8, ttmp6, 0x4000c
	s_and_b32 s9, ttmp6, 15
	s_add_co_i32 s8, s8, 1
	s_getreg_b32 s10, hwreg(HW_REG_IB_STS2, 6, 4)
	s_mul_i32 s8, ttmp9, s8
	s_mov_b32 s27, 0
	s_add_co_i32 s9, s9, s8
	s_cmp_eq_u32 s10, 0
	s_cselect_b32 s22, ttmp9, s9
	s_wait_kmcnt 0x0
	s_cmp_ge_i32 s22, s7
	s_mov_b32 s7, 0
	s_cbranch_scc1 .LBB125_2
; %bb.1:
	s_load_b64 s[8:9], s[0:1], 0x48
	s_ashr_i32 s23, s22, 31
	s_delay_alu instid0(SALU_CYCLE_1)
	s_lshl_b64 s[10:11], s[22:23], 3
	s_wait_kmcnt 0x0
	s_add_nc_u64 s[8:9], s[8:9], s[10:11]
	s_load_b32 s7, s[8:9], 0x0
	s_wait_kmcnt 0x0
	s_sub_co_i32 s7, s7, s15
.LBB125_2:
	s_load_b96 s[12:14], s[0:1], 0x14
	s_wait_kmcnt 0x0
	v_mul_lo_u32 v6, s13, v0
	s_mul_i32 s8, s22, s13
	s_delay_alu instid0(SALU_CYCLE_1) | instskip(NEXT) | instid1(SALU_CYCLE_1)
	s_lshl_b32 s26, s8, 6
	s_lshl_b64 s[8:9], s[26:27], 3
	s_lshl_b32 s26, s13, 5
	s_add_nc_u64 s[24:25], s[2:3], s[8:9]
	s_cmp_gt_i32 s13, 0
	s_cselect_b32 s28, -1, 0
	s_delay_alu instid0(VALU_DEP_1) | instskip(SKIP_1) | instid1(VALU_DEP_1)
	v_ashrrev_i32_e32 v7, 31, v6
	s_cmp_lt_i32 s13, 1
	v_lshl_add_u64 v[2:3], v[6:7], 3, s[24:25]
	s_cbranch_scc1 .LBB125_7
; %bb.3:
	s_load_b64 s[8:9], s[0:1], 0x28
	v_mov_b64_e32 v[4:5], 0
	s_delay_alu instid0(VALU_DEP_2)
	v_mov_b64_e32 v[8:9], v[2:3]
	v_mov_b32_e32 v1, v0
	s_mul_i32 s3, s12, s22
	s_mov_b32 s11, 0
	s_mov_b32 s10, s14
	s_lshl_b64 s[16:17], s[26:27], 3
	s_mov_b32 s18, s13
	s_branch .LBB125_5
.LBB125_4:                              ;   in Loop: Header=BB125_5 Depth=1
	s_wait_xcnt 0x0
	s_or_b32 exec_lo, exec_lo, s2
	v_add_nc_u64_e32 v[8:9], 8, v[8:9]
	v_add_nc_u32_e32 v1, 32, v1
	s_add_co_i32 s18, s18, -1
	s_delay_alu instid0(SALU_CYCLE_1)
	s_cmp_eq_u32 s18, 0
	s_cbranch_scc1 .LBB125_7
.LBB125_5:                              ; =>This Inner Loop Header: Depth=1
	s_delay_alu instid0(VALU_DEP_1) | instskip(NEXT) | instid1(VALU_DEP_3)
	v_add_nc_u32_e32 v12, s3, v1
	v_add_nc_u64_e32 v[10:11], s[16:17], v[8:9]
	v_cmp_gt_u32_e64 s2, s12, v1
	global_store_b64 v[8:9], v[4:5], off
	v_cmp_gt_i32_e32 vcc_lo, s5, v12
	global_store_b64 v[10:11], v[4:5], off
	s_and_b32 s19, s2, vcc_lo
	s_wait_xcnt 0x0
	s_and_saveexec_b32 s2, s19
	s_cbranch_execz .LBB125_4
; %bb.6:                                ;   in Loop: Header=BB125_5 Depth=1
	v_ashrrev_i32_e32 v13, 31, v12
	s_wait_kmcnt 0x0
	s_delay_alu instid0(VALU_DEP_1)
	v_lshl_add_u64 v[12:13], v[12:13], 3, s[8:9]
	global_load_b128 v[12:15], v[12:13], off
	s_wait_loadcnt 0x0
	v_sub_nc_u64_e64 v[12:13], v[12:13], s[10:11]
	v_sub_nc_u64_e64 v[14:15], v[14:15], s[10:11]
	s_clause 0x1
	global_store_b64 v[8:9], v[12:13], off
	global_store_b64 v[10:11], v[14:15], off
	s_branch .LBB125_4
.LBB125_7:
	s_cmp_lt_i32 s6, 1
	s_cbranch_scc1 .LBB125_37
; %bb.8:
	v_mbcnt_lo_u32_b32 v10, -1, 0
	s_mul_i32 s22, s26, s22
	s_mov_b32 s23, 0
	s_wait_kmcnt 0x0
	s_clause 0x4
	s_load_b128 s[8:11], s[0:1], 0x60
	s_load_b64 s[2:3], s[0:1], 0x50
	s_load_b64 s[16:17], s[0:1], 0x40
	;; [unrolled: 1-line block ×4, first 2 shown]
	s_wait_xcnt 0x0
	s_lshl_b64 s[0:1], s[26:27], 3
	v_xor_b32_e32 v11, 8, v10
	v_xor_b32_e32 v1, 16, v10
	s_lshl_b64 s[26:27], s[22:23], 2
	s_lshl_b64 s[30:31], s[22:23], 3
	s_cmp_lg_u32 s4, 0
	s_add_nc_u64 s[4:5], s[24:25], s[0:1]
	v_cmp_gt_i32_e32 vcc_lo, 32, v1
	s_cselect_b32 s1, -1, 0
	s_abs_i32 s24, s12
	v_lshlrev_b64_e32 v[8:9], 3, v[6:7]
	s_cvt_f32_u32 s0, s24
	v_dual_cndmask_b32 v1, v10, v1, vcc_lo :: v_dual_bitop2_b32 v12, 4, v10 bitop3:0x14
	v_mul_lo_u32 v35, v0, s12
	s_delay_alu instid0(SALU_CYCLE_1) | instskip(NEXT) | instid1(VALU_DEP_2)
	v_rcp_iflag_f32_e32 v14, s0
	v_dual_mov_b32 v37, 0 :: v_dual_lshlrev_b32 v1, 2, v1
	v_cmp_gt_i32_e32 vcc_lo, 32, v11
	v_add_nc_u64_e32 v[4:5], s[4:5], v[8:9]
	s_wait_kmcnt 0x0
	s_add_nc_u64 s[4:5], s[8:9], s[26:27]
	s_add_nc_u64 s[8:9], s[10:11], s[30:31]
	v_readfirstlane_b32 s0, v14
	v_cndmask_b32_e32 v11, v10, v11, vcc_lo
	v_cmp_gt_i32_e32 vcc_lo, 32, v12
	v_xor_b32_e32 v13, 2, v10
	v_lshl_add_u64 v[6:7], v[6:7], 2, s[4:5]
	s_mul_f32 s4, s0, 0x4f7ffffe
	v_add_nc_u64_e32 v[8:9], s[8:9], v[8:9]
	v_cndmask_b32_e32 v12, v10, v12, vcc_lo
	v_cmp_gt_i32_e32 vcc_lo, 32, v13
	v_xor_b32_e32 v15, 1, v10
	s_cvt_u32_f32 s10, s4
	s_sub_co_i32 s4, 0, s24
	v_cmp_eq_u32_e64 s0, 31, v0
	v_cndmask_b32_e32 v13, v10, v13, vcc_lo
	v_cmp_gt_i32_e32 vcc_lo, 32, v15
	v_dual_lshlrev_b32 v30, 2, v11 :: v_dual_lshlrev_b32 v31, 2, v12
	s_mul_i32 s8, s4, s10
	s_delay_alu instid0(VALU_DEP_3) | instskip(SKIP_2) | instid1(VALU_DEP_3)
	v_dual_lshlrev_b32 v32, 2, v13 :: v_dual_cndmask_b32 v10, v10, v15, vcc_lo
	v_mov_b64_e32 v[12:13], 0
	v_dual_mov_b32 v34, 0x7c :: v_dual_mov_b32 v11, 0
	v_dual_mov_b32 v36, 0 :: v_dual_lshlrev_b32 v33, 2, v10
	v_mov_b32_e32 v10, 0
	s_ashr_i32 s5, s12, 31
	s_mov_b32 s4, s12
	s_mul_hi_u32 s11, s10, s8
	s_add_co_i32 s25, s7, -1
	s_mul_u64 s[8:9], s[4:5], s[4:5]
	s_add_co_i32 s10, s10, s11
	s_mov_b32 s11, s23
	s_lshl_b32 s4, s12, 5
	s_mov_b32 s26, 0
	s_branch .LBB125_10
.LBB125_9:                              ;   in Loop: Header=BB125_10 Depth=1
	s_wait_dscnt 0x1
	v_add_nc_u32_e32 v10, 1, v38
	s_delay_alu instid0(VALU_DEP_1) | instskip(SKIP_1) | instid1(SALU_CYCLE_1)
	v_cmp_le_i32_e32 vcc_lo, s6, v10
	s_or_b32 s26, vcc_lo, s26
	s_and_not1_b32 exec_lo, exec_lo, s26
	s_cbranch_execz .LBB125_37
.LBB125_10:                             ; =>This Loop Header: Depth=1
                                        ;     Child Loop BB125_14 Depth 2
                                        ;       Child Loop BB125_17 Depth 3
                                        ;     Child Loop BB125_31 Depth 2
	v_mov_b32_e32 v28, s6
	s_and_not1_b32 vcc_lo, exec_lo, s28
	s_cbranch_vccnz .LBB125_23
; %bb.11:                               ;   in Loop: Header=BB125_10 Depth=1
	v_mov_b32_e32 v28, s6
	s_mov_b32 s22, 0
	s_branch .LBB125_14
.LBB125_12:                             ;   in Loop: Header=BB125_14 Depth=2
	s_wait_xcnt 0x0
	s_or_b32 exec_lo, exec_lo, s29
.LBB125_13:                             ;   in Loop: Header=BB125_14 Depth=2
	s_delay_alu instid0(SALU_CYCLE_1) | instskip(SKIP_1) | instid1(SALU_CYCLE_1)
	s_or_b32 exec_lo, exec_lo, s27
	s_add_co_i32 s22, s22, 1
	s_cmp_eq_u32 s22, s13
	s_cbranch_scc1 .LBB125_23
.LBB125_14:                             ;   Parent Loop BB125_10 Depth=1
                                        ; =>  This Loop Header: Depth=2
                                        ;       Child Loop BB125_17 Depth 3
	s_lshl_b64 s[30:31], s[22:23], 3
	v_lshl_add_u64 v[18:19], s[22:23], 2, v[6:7]
	v_add_nc_u64_e32 v[14:15], s[30:31], v[2:3]
	v_add_nc_u64_e32 v[16:17], s[30:31], v[4:5]
	v_mov_b32_e32 v20, s6
	s_mov_b32 s27, exec_lo
	s_clause 0x1
	global_load_b64 v[24:25], v[14:15], off
	global_load_b64 v[22:23], v[16:17], off
	s_wait_xcnt 0x0
	v_add_nc_u64_e32 v[16:17], s[30:31], v[8:9]
	global_store_b64 v[16:17], v[12:13], off
	global_store_b32 v[18:19], v20, off
	s_wait_loadcnt 0x0
	s_wait_xcnt 0x0
	v_cmpx_lt_i64_e64 v[24:25], v[22:23]
	s_cbranch_execz .LBB125_13
; %bb.15:                               ;   in Loop: Header=BB125_14 Depth=2
	v_lshl_add_u64 v[26:27], v[24:25], 2, s[20:21]
	s_mov_b32 s29, 0
                                        ; implicit-def: $sgpr30
                                        ; implicit-def: $sgpr33
                                        ; implicit-def: $sgpr31
	s_branch .LBB125_17
.LBB125_16:                             ;   in Loop: Header=BB125_17 Depth=3
	s_or_b32 exec_lo, exec_lo, s34
	s_delay_alu instid0(SALU_CYCLE_1) | instskip(NEXT) | instid1(SALU_CYCLE_1)
	s_and_b32 s34, exec_lo, s33
	s_or_b32 s29, s34, s29
	s_and_not1_b32 s30, s30, exec_lo
	s_and_b32 s34, s31, exec_lo
	s_delay_alu instid0(SALU_CYCLE_1)
	s_or_b32 s30, s30, s34
	s_and_not1_b32 exec_lo, exec_lo, s29
	s_cbranch_execz .LBB125_19
.LBB125_17:                             ;   Parent Loop BB125_10 Depth=1
                                        ;     Parent Loop BB125_14 Depth=2
                                        ; =>    This Inner Loop Header: Depth=3
	global_load_b32 v20, v[26:27], off
	s_or_b32 s31, s31, exec_lo
	s_or_b32 s33, s33, exec_lo
	s_mov_b32 s34, exec_lo
	s_wait_loadcnt 0x0
	v_subrev_nc_u32_e32 v29, s14, v20
	v_mov_b64_e32 v[20:21], v[24:25]
                                        ; implicit-def: $vgpr24_vgpr25
	s_wait_xcnt 0x0
	s_delay_alu instid0(VALU_DEP_2)
	v_cmpx_lt_i32_e64 v29, v10
	s_cbranch_execz .LBB125_16
; %bb.18:                               ;   in Loop: Header=BB125_17 Depth=3
	s_delay_alu instid0(VALU_DEP_2) | instskip(SKIP_3) | instid1(VALU_DEP_2)
	v_add_nc_u64_e32 v[24:25], 1, v[20:21]
	v_add_nc_u64_e32 v[26:27], 4, v[26:27]
	s_and_not1_b32 s33, s33, exec_lo
	s_and_not1_b32 s31, s31, exec_lo
	v_cmp_ge_i64_e32 vcc_lo, v[24:25], v[22:23]
	s_and_b32 s35, vcc_lo, exec_lo
	s_delay_alu instid0(SALU_CYCLE_1)
	s_or_b32 s33, s33, s35
	s_branch .LBB125_16
.LBB125_19:                             ;   in Loop: Header=BB125_14 Depth=2
	s_or_b32 exec_lo, exec_lo, s29
	v_lshl_add_u64 v[22:23], v[20:21], 3, s[18:19]
	s_xor_b32 s29, s30, -1
	s_delay_alu instid0(SALU_CYCLE_1) | instskip(NEXT) | instid1(SALU_CYCLE_1)
	s_and_saveexec_b32 s30, s29
	s_xor_b32 s29, exec_lo, s30
	s_cbranch_execz .LBB125_21
; %bb.20:                               ;   in Loop: Header=BB125_14 Depth=2
	global_load_b64 v[14:15], v[22:23], off
                                        ; implicit-def: $vgpr22_vgpr23
	s_wait_loadcnt 0x0
	global_store_b64 v[16:17], v[14:15], off
	global_store_b32 v[18:19], v29, off
                                        ; implicit-def: $vgpr16_vgpr17
                                        ; implicit-def: $vgpr18_vgpr19
                                        ; implicit-def: $vgpr14_vgpr15
.LBB125_21:                             ;   in Loop: Header=BB125_14 Depth=2
	s_wait_xcnt 0x0
	s_and_not1_saveexec_b32 s29, s29
	s_cbranch_execz .LBB125_12
; %bb.22:                               ;   in Loop: Header=BB125_14 Depth=2
	global_load_b64 v[22:23], v[22:23], off
	v_min_i32_e32 v28, v29, v28
	global_store_b32 v[18:19], v29, off
	s_wait_loadcnt 0x0
	global_store_b64 v[16:17], v[22:23], off
	global_store_b64 v[14:15], v[20:21], off
	s_branch .LBB125_12
.LBB125_23:                             ;   in Loop: Header=BB125_10 Depth=1
	ds_bpermute_b32 v10, v1, v28
	s_wait_dscnt 0x0
	v_min_i32_e32 v10, v10, v28
	ds_bpermute_b32 v14, v30, v10
	s_wait_dscnt 0x0
	v_min_i32_e32 v10, v14, v10
	;; [unrolled: 3-line block ×5, first 2 shown]
	s_delay_alu instid0(VALU_DEP_1) | instskip(SKIP_1) | instid1(SALU_CYCLE_1)
	v_cmp_gt_i32_e32 vcc_lo, s6, v14
	s_and_b32 s27, s0, vcc_lo
	s_and_saveexec_b32 s22, s27
	s_cbranch_execz .LBB125_27
; %bb.24:                               ;   in Loop: Header=BB125_10 Depth=1
	v_sub_nc_u32_e32 v10, 0, v14
	s_mov_b32 s27, exec_lo
	s_delay_alu instid0(VALU_DEP_1) | instskip(NEXT) | instid1(VALU_DEP_1)
	v_max_i32_e32 v10, v14, v10
	v_mul_u64_e32 v[16:17], s[10:11], v[10:11]
	s_delay_alu instid0(VALU_DEP_1) | instskip(NEXT) | instid1(VALU_DEP_1)
	v_mul_lo_u32 v15, v17, s24
	v_dual_sub_nc_u32 v10, v10, v15 :: v_dual_add_nc_u32 v15, 1, v17
	s_delay_alu instid0(VALU_DEP_1) | instskip(NEXT) | instid1(VALU_DEP_2)
	v_cmp_le_u32_e32 vcc_lo, s24, v10
	v_dual_cndmask_b32 v15, v17, v15, vcc_lo :: v_dual_ashrrev_i32 v17, 31, v14
	v_subrev_nc_u32_e32 v16, s24, v10
	s_delay_alu instid0(VALU_DEP_1) | instskip(NEXT) | instid1(VALU_DEP_1)
	v_dual_cndmask_b32 v10, v10, v16, vcc_lo :: v_dual_add_nc_u32 v16, 1, v15
	v_cmp_le_u32_e32 vcc_lo, s24, v10
	s_delay_alu instid0(VALU_DEP_2) | instskip(NEXT) | instid1(VALU_DEP_1)
	v_dual_cndmask_b32 v10, v15, v16, vcc_lo :: v_dual_bitop2_b32 v17, s5, v17 bitop3:0x14
	v_xor_b32_e32 v10, v10, v17
	s_delay_alu instid0(VALU_DEP_1) | instskip(NEXT) | instid1(VALU_DEP_1)
	v_sub_nc_u32_e32 v10, v10, v17
	v_cmpx_ge_i32_e64 v10, v36
	s_cbranch_execz .LBB125_26
; %bb.25:                               ;   in Loop: Header=BB125_10 Depth=1
	v_dual_add_nc_u32 v15, 1, v37 :: v_dual_add_nc_u32 v36, 1, v10
	v_dual_add_nc_u32 v16, s7, v37 :: v_dual_add_nc_u32 v10, s15, v10
	s_delay_alu instid0(VALU_DEP_2)
	v_mov_b32_e32 v37, v15
	global_store_b32 v16, v10, s[2:3] scale_offset
.LBB125_26:                             ;   in Loop: Header=BB125_10 Depth=1
	s_wait_xcnt 0x0
	s_or_b32 exec_lo, exec_lo, s27
.LBB125_27:                             ;   in Loop: Header=BB125_10 Depth=1
	s_delay_alu instid0(SALU_CYCLE_1)
	s_or_b32 exec_lo, exec_lo, s22
	ds_bpermute_b32 v38, v34, v14
	ds_bpermute_b32 v37, v34, v37
	s_and_not1_b32 vcc_lo, exec_lo, s28
	s_cbranch_vccnz .LBB125_9
; %bb.28:                               ;   in Loop: Header=BB125_10 Depth=1
	s_wait_dscnt 0x0
	v_dual_sub_nc_u32 v10, 0, v38 :: v_dual_add_nc_u32 v16, s25, v37
	s_mov_b32 s22, s13
	v_dual_mov_b32 v18, v0 :: v_dual_mov_b32 v22, v35
	s_delay_alu instid0(VALU_DEP_2) | instskip(NEXT) | instid1(VALU_DEP_1)
	v_dual_ashrrev_i32 v17, 31, v16 :: v_dual_max_i32 v10, v38, v10
	v_mul_u64_e32 v[14:15], s[10:11], v[10:11]
	s_delay_alu instid0(VALU_DEP_2) | instskip(NEXT) | instid1(VALU_DEP_2)
	v_mul_u64_e32 v[20:21], s[8:9], v[16:17]
	v_mul_lo_u32 v14, v15, s24
	s_delay_alu instid0(VALU_DEP_2) | instskip(NEXT) | instid1(VALU_DEP_2)
	v_lshl_add_u64 v[20:21], v[20:21], 3, s[16:17]
	v_dual_sub_nc_u32 v10, v10, v14 :: v_dual_add_nc_u32 v14, 1, v15
	s_delay_alu instid0(VALU_DEP_1) | instskip(SKIP_1) | instid1(VALU_DEP_2)
	v_subrev_nc_u32_e32 v16, s24, v10
	v_cmp_le_u32_e32 vcc_lo, s24, v10
	v_dual_cndmask_b32 v14, v15, v14, vcc_lo :: v_dual_cndmask_b32 v10, v10, v16, vcc_lo
	s_delay_alu instid0(VALU_DEP_1) | instskip(NEXT) | instid1(VALU_DEP_2)
	v_add_nc_u32_e32 v16, 1, v14
	v_cmp_le_u32_e32 vcc_lo, s24, v10
	s_delay_alu instid0(VALU_DEP_2) | instskip(NEXT) | instid1(VALU_DEP_1)
	v_dual_cndmask_b32 v10, v14, v16 :: v_dual_ashrrev_i32 v15, 31, v38
	v_xor_b32_e32 v19, s5, v15
	v_mov_b64_e32 v[14:15], v[8:9]
	v_mov_b64_e32 v[16:17], v[6:7]
	s_delay_alu instid0(VALU_DEP_3) | instskip(NEXT) | instid1(VALU_DEP_1)
	v_xor_b32_e32 v10, v10, v19
	v_sub_nc_u32_e32 v39, v10, v19
	s_branch .LBB125_31
.LBB125_29:                             ;   in Loop: Header=BB125_31 Depth=2
	s_delay_alu instid0(VALU_DEP_1) | instskip(NEXT) | instid1(VALU_DEP_1)
	v_lshl_add_u64 v[26:27], v[26:27], 3, v[20:21]
	v_lshl_add_u64 v[26:27], v[28:29], 3, v[26:27]
	s_wait_loadcnt 0x0
	global_store_b64 v[26:27], v[24:25], off
.LBB125_30:                             ;   in Loop: Header=BB125_31 Depth=2
	s_wait_xcnt 0x0
	s_or_b32 exec_lo, exec_lo, s27
	v_add_nc_u64_e32 v[16:17], 4, v[16:17]
	v_add_nc_u64_e32 v[14:15], 8, v[14:15]
	v_add_nc_u32_e32 v22, s4, v22
	v_add_nc_u32_e32 v18, 32, v18
	s_add_co_i32 s22, s22, -1
	s_delay_alu instid0(SALU_CYCLE_1)
	s_cmp_eq_u32 s22, 0
	s_cbranch_scc1 .LBB125_9
.LBB125_31:                             ;   Parent Loop BB125_10 Depth=1
                                        ; =>  This Inner Loop Header: Depth=2
	global_load_b32 v19, v[16:17], off
	s_mov_b32 s27, exec_lo
	s_wait_loadcnt 0x0
	v_cmpx_gt_i32_e64 s6, v19
	s_cbranch_execz .LBB125_30
; %bb.32:                               ;   in Loop: Header=BB125_31 Depth=2
	v_sub_nc_u32_e32 v10, 0, v19
	s_delay_alu instid0(VALU_DEP_1) | instskip(NEXT) | instid1(VALU_DEP_1)
	v_max_i32_e32 v10, v19, v10
	v_mul_u64_e32 v[24:25], s[10:11], v[10:11]
	s_delay_alu instid0(VALU_DEP_1) | instskip(NEXT) | instid1(VALU_DEP_1)
	v_mul_lo_u32 v23, v25, s24
	v_dual_add_nc_u32 v24, 1, v25 :: v_dual_sub_nc_u32 v23, v10, v23
	s_delay_alu instid0(VALU_DEP_1) | instskip(NEXT) | instid1(VALU_DEP_2)
	v_cmp_le_u32_e32 vcc_lo, s24, v23
	v_cndmask_b32_e32 v24, v25, v24, vcc_lo
	s_delay_alu instid0(VALU_DEP_1) | instskip(SKIP_1) | instid1(VALU_DEP_1)
	v_add_nc_u32_e32 v25, 1, v24
	v_subrev_nc_u32_e32 v26, s24, v23
	v_dual_cndmask_b32 v23, v23, v26 :: v_dual_ashrrev_i32 v40, 31, v19
	s_delay_alu instid0(VALU_DEP_1) | instskip(NEXT) | instid1(VALU_DEP_2)
	v_cmp_le_u32_e32 vcc_lo, s24, v23
	v_dual_cndmask_b32 v23, v24, v25, vcc_lo :: v_dual_bitop2_b32 v26, s5, v40 bitop3:0x14
	s_delay_alu instid0(VALU_DEP_1) | instskip(NEXT) | instid1(VALU_DEP_1)
	v_xor_b32_e32 v23, v23, v26
	v_sub_nc_u32_e32 v23, v23, v26
	s_delay_alu instid0(VALU_DEP_1)
	v_cmp_eq_u32_e32 vcc_lo, v23, v39
	s_and_b32 exec_lo, exec_lo, vcc_lo
	s_cbranch_execz .LBB125_30
; %bb.33:                               ;   in Loop: Header=BB125_31 Depth=2
	global_load_b64 v[24:25], v[14:15], off
	s_and_b32 vcc_lo, exec_lo, s1
	s_cbranch_vccz .LBB125_35
; %bb.34:                               ;   in Loop: Header=BB125_31 Depth=2
	v_mul_lo_u32 v23, v39, s12
	s_delay_alu instid0(VALU_DEP_1) | instskip(NEXT) | instid1(VALU_DEP_1)
	v_sub_nc_u32_e32 v19, v19, v23
	v_mul_lo_u32 v26, v19, s12
	v_mov_b32_e32 v19, v11
	s_delay_alu instid0(VALU_DEP_1) | instskip(NEXT) | instid1(VALU_DEP_3)
	v_mov_b64_e32 v[28:29], v[18:19]
	v_ashrrev_i32_e32 v27, 31, v26
	s_cbranch_execnz .LBB125_29
	s_branch .LBB125_36
.LBB125_35:                             ;   in Loop: Header=BB125_31 Depth=2
	v_mov_b32_e32 v23, v11
                                        ; implicit-def: $vgpr28_vgpr29
	s_delay_alu instid0(VALU_DEP_1)
	v_mov_b64_e32 v[26:27], v[22:23]
.LBB125_36:                             ;   in Loop: Header=BB125_31 Depth=2
	v_mul_u64_e32 v[28:29], s[10:11], v[10:11]
	s_delay_alu instid0(VALU_DEP_1) | instskip(NEXT) | instid1(VALU_DEP_1)
	v_mul_lo_u32 v19, v29, s24
	v_sub_nc_u32_e32 v10, v10, v19
	s_delay_alu instid0(VALU_DEP_1) | instskip(SKIP_1) | instid1(VALU_DEP_2)
	v_subrev_nc_u32_e32 v19, s24, v10
	v_cmp_le_u32_e32 vcc_lo, s24, v10
	v_cndmask_b32_e32 v10, v10, v19, vcc_lo
	s_delay_alu instid0(VALU_DEP_1) | instskip(SKIP_1) | instid1(VALU_DEP_2)
	v_subrev_nc_u32_e32 v19, s24, v10
	v_cmp_le_u32_e32 vcc_lo, s24, v10
	v_cndmask_b32_e32 v10, v10, v19, vcc_lo
	s_delay_alu instid0(VALU_DEP_1) | instskip(NEXT) | instid1(VALU_DEP_1)
	v_xor_b32_e32 v10, v10, v40
	v_sub_nc_u32_e32 v28, v10, v40
	s_delay_alu instid0(VALU_DEP_1)
	v_ashrrev_i32_e32 v29, 31, v28
	s_branch .LBB125_29
.LBB125_37:
	s_endpgm
	.section	.rodata,"a",@progbits
	.p2align	6, 0x0
	.amdhsa_kernel _ZN9rocsparseL21csr2bsr_65_inf_kernelILj32EdliEEv20rocsparse_direction_T2_S2_S2_S2_S2_S2_21rocsparse_index_base_PKT0_PKT1_PKS2_S3_PS4_PS7_PS2_SD_SE_SC_
		.amdhsa_group_segment_fixed_size 0
		.amdhsa_private_segment_fixed_size 0
		.amdhsa_kernarg_size 112
		.amdhsa_user_sgpr_count 2
		.amdhsa_user_sgpr_dispatch_ptr 0
		.amdhsa_user_sgpr_queue_ptr 0
		.amdhsa_user_sgpr_kernarg_segment_ptr 1
		.amdhsa_user_sgpr_dispatch_id 0
		.amdhsa_user_sgpr_kernarg_preload_length 0
		.amdhsa_user_sgpr_kernarg_preload_offset 0
		.amdhsa_user_sgpr_private_segment_size 0
		.amdhsa_wavefront_size32 1
		.amdhsa_uses_dynamic_stack 0
		.amdhsa_enable_private_segment 0
		.amdhsa_system_sgpr_workgroup_id_x 1
		.amdhsa_system_sgpr_workgroup_id_y 0
		.amdhsa_system_sgpr_workgroup_id_z 0
		.amdhsa_system_sgpr_workgroup_info 0
		.amdhsa_system_vgpr_workitem_id 0
		.amdhsa_next_free_vgpr 41
		.amdhsa_next_free_sgpr 36
		.amdhsa_named_barrier_count 0
		.amdhsa_reserve_vcc 1
		.amdhsa_float_round_mode_32 0
		.amdhsa_float_round_mode_16_64 0
		.amdhsa_float_denorm_mode_32 3
		.amdhsa_float_denorm_mode_16_64 3
		.amdhsa_fp16_overflow 0
		.amdhsa_memory_ordered 1
		.amdhsa_forward_progress 1
		.amdhsa_inst_pref_size 17
		.amdhsa_round_robin_scheduling 0
		.amdhsa_exception_fp_ieee_invalid_op 0
		.amdhsa_exception_fp_denorm_src 0
		.amdhsa_exception_fp_ieee_div_zero 0
		.amdhsa_exception_fp_ieee_overflow 0
		.amdhsa_exception_fp_ieee_underflow 0
		.amdhsa_exception_fp_ieee_inexact 0
		.amdhsa_exception_int_div_zero 0
	.end_amdhsa_kernel
	.section	.text._ZN9rocsparseL21csr2bsr_65_inf_kernelILj32EdliEEv20rocsparse_direction_T2_S2_S2_S2_S2_S2_21rocsparse_index_base_PKT0_PKT1_PKS2_S3_PS4_PS7_PS2_SD_SE_SC_,"axG",@progbits,_ZN9rocsparseL21csr2bsr_65_inf_kernelILj32EdliEEv20rocsparse_direction_T2_S2_S2_S2_S2_S2_21rocsparse_index_base_PKT0_PKT1_PKS2_S3_PS4_PS7_PS2_SD_SE_SC_,comdat
.Lfunc_end125:
	.size	_ZN9rocsparseL21csr2bsr_65_inf_kernelILj32EdliEEv20rocsparse_direction_T2_S2_S2_S2_S2_S2_21rocsparse_index_base_PKT0_PKT1_PKS2_S3_PS4_PS7_PS2_SD_SE_SC_, .Lfunc_end125-_ZN9rocsparseL21csr2bsr_65_inf_kernelILj32EdliEEv20rocsparse_direction_T2_S2_S2_S2_S2_S2_21rocsparse_index_base_PKT0_PKT1_PKS2_S3_PS4_PS7_PS2_SD_SE_SC_
                                        ; -- End function
	.set _ZN9rocsparseL21csr2bsr_65_inf_kernelILj32EdliEEv20rocsparse_direction_T2_S2_S2_S2_S2_S2_21rocsparse_index_base_PKT0_PKT1_PKS2_S3_PS4_PS7_PS2_SD_SE_SC_.num_vgpr, 41
	.set _ZN9rocsparseL21csr2bsr_65_inf_kernelILj32EdliEEv20rocsparse_direction_T2_S2_S2_S2_S2_S2_21rocsparse_index_base_PKT0_PKT1_PKS2_S3_PS4_PS7_PS2_SD_SE_SC_.num_agpr, 0
	.set _ZN9rocsparseL21csr2bsr_65_inf_kernelILj32EdliEEv20rocsparse_direction_T2_S2_S2_S2_S2_S2_21rocsparse_index_base_PKT0_PKT1_PKS2_S3_PS4_PS7_PS2_SD_SE_SC_.numbered_sgpr, 36
	.set _ZN9rocsparseL21csr2bsr_65_inf_kernelILj32EdliEEv20rocsparse_direction_T2_S2_S2_S2_S2_S2_21rocsparse_index_base_PKT0_PKT1_PKS2_S3_PS4_PS7_PS2_SD_SE_SC_.num_named_barrier, 0
	.set _ZN9rocsparseL21csr2bsr_65_inf_kernelILj32EdliEEv20rocsparse_direction_T2_S2_S2_S2_S2_S2_21rocsparse_index_base_PKT0_PKT1_PKS2_S3_PS4_PS7_PS2_SD_SE_SC_.private_seg_size, 0
	.set _ZN9rocsparseL21csr2bsr_65_inf_kernelILj32EdliEEv20rocsparse_direction_T2_S2_S2_S2_S2_S2_21rocsparse_index_base_PKT0_PKT1_PKS2_S3_PS4_PS7_PS2_SD_SE_SC_.uses_vcc, 1
	.set _ZN9rocsparseL21csr2bsr_65_inf_kernelILj32EdliEEv20rocsparse_direction_T2_S2_S2_S2_S2_S2_21rocsparse_index_base_PKT0_PKT1_PKS2_S3_PS4_PS7_PS2_SD_SE_SC_.uses_flat_scratch, 0
	.set _ZN9rocsparseL21csr2bsr_65_inf_kernelILj32EdliEEv20rocsparse_direction_T2_S2_S2_S2_S2_S2_21rocsparse_index_base_PKT0_PKT1_PKS2_S3_PS4_PS7_PS2_SD_SE_SC_.has_dyn_sized_stack, 0
	.set _ZN9rocsparseL21csr2bsr_65_inf_kernelILj32EdliEEv20rocsparse_direction_T2_S2_S2_S2_S2_S2_21rocsparse_index_base_PKT0_PKT1_PKS2_S3_PS4_PS7_PS2_SD_SE_SC_.has_recursion, 0
	.set _ZN9rocsparseL21csr2bsr_65_inf_kernelILj32EdliEEv20rocsparse_direction_T2_S2_S2_S2_S2_S2_21rocsparse_index_base_PKT0_PKT1_PKS2_S3_PS4_PS7_PS2_SD_SE_SC_.has_indirect_call, 0
	.section	.AMDGPU.csdata,"",@progbits
; Kernel info:
; codeLenInByte = 2140
; TotalNumSgprs: 38
; NumVgprs: 41
; ScratchSize: 0
; MemoryBound: 0
; FloatMode: 240
; IeeeMode: 1
; LDSByteSize: 0 bytes/workgroup (compile time only)
; SGPRBlocks: 0
; VGPRBlocks: 2
; NumSGPRsForWavesPerEU: 38
; NumVGPRsForWavesPerEU: 41
; NamedBarCnt: 0
; Occupancy: 16
; WaveLimiterHint : 0
; COMPUTE_PGM_RSRC2:SCRATCH_EN: 0
; COMPUTE_PGM_RSRC2:USER_SGPR: 2
; COMPUTE_PGM_RSRC2:TRAP_HANDLER: 0
; COMPUTE_PGM_RSRC2:TGID_X_EN: 1
; COMPUTE_PGM_RSRC2:TGID_Y_EN: 0
; COMPUTE_PGM_RSRC2:TGID_Z_EN: 0
; COMPUTE_PGM_RSRC2:TIDIG_COMP_CNT: 0
	.section	.text._ZN9rocsparseL35csr2bsr_block_dim_equals_one_kernelILj256EdilEEvT2_S1_S1_S1_21rocsparse_index_base_PKT0_PKT1_PKS1_S2_PS3_PS6_PS1_,"axG",@progbits,_ZN9rocsparseL35csr2bsr_block_dim_equals_one_kernelILj256EdilEEvT2_S1_S1_S1_21rocsparse_index_base_PKT0_PKT1_PKS1_S2_PS3_PS6_PS1_,comdat
	.globl	_ZN9rocsparseL35csr2bsr_block_dim_equals_one_kernelILj256EdilEEvT2_S1_S1_S1_21rocsparse_index_base_PKT0_PKT1_PKS1_S2_PS3_PS6_PS1_ ; -- Begin function _ZN9rocsparseL35csr2bsr_block_dim_equals_one_kernelILj256EdilEEvT2_S1_S1_S1_21rocsparse_index_base_PKT0_PKT1_PKS1_S2_PS3_PS6_PS1_
	.p2align	8
	.type	_ZN9rocsparseL35csr2bsr_block_dim_equals_one_kernelILj256EdilEEvT2_S1_S1_S1_21rocsparse_index_base_PKT0_PKT1_PKS1_S2_PS3_PS6_PS1_,@function
_ZN9rocsparseL35csr2bsr_block_dim_equals_one_kernelILj256EdilEEvT2_S1_S1_S1_21rocsparse_index_base_PKT0_PKT1_PKS1_S2_PS3_PS6_PS1_: ; @_ZN9rocsparseL35csr2bsr_block_dim_equals_one_kernelILj256EdilEEvT2_S1_S1_S1_21rocsparse_index_base_PKT0_PKT1_PKS1_S2_PS3_PS6_PS1_
; %bb.0:
	s_clause 0x1
	s_load_b64 s[2:3], s[0:1], 0x0
	s_load_b128 s[4:7], s[0:1], 0x28
	s_bfe_u32 s8, ttmp6, 0x4000c
	s_and_b32 s9, ttmp6, 15
	s_add_co_i32 s8, s8, 1
	s_getreg_b32 s10, hwreg(HW_REG_IB_STS2, 6, 4)
	s_mul_i32 s8, ttmp9, s8
	s_delay_alu instid0(SALU_CYCLE_1) | instskip(SKIP_2) | instid1(SALU_CYCLE_1)
	s_add_co_i32 s9, s9, s8
	s_cmp_eq_u32 s10, 0
	s_cselect_b32 s8, ttmp9, s9
	v_lshl_or_b32 v0, s8, 8, v0
	s_wait_kmcnt 0x0
	s_lshl_b64 s[2:3], s[2:3], 2
	s_delay_alu instid0(SALU_CYCLE_1)
	s_add_nc_u64 s[2:3], s[6:7], s[2:3]
	s_clause 0x1
	s_load_b32 s9, s[2:3], 0x0
	s_load_b32 s10, s[6:7], 0x0
	s_wait_xcnt 0x0
	s_mov_b32 s3, 0
	s_mov_b32 s2, exec_lo
	s_wait_kmcnt 0x0
	s_sub_co_i32 s11, s9, s10
	s_delay_alu instid0(SALU_CYCLE_1)
	v_cmpx_gt_i32_e64 s11, v0
	s_cbranch_execz .LBB126_3
; %bb.1:
	s_clause 0x3
	s_load_b96 s[8:10], s[0:1], 0x38
	s_load_b64 s[6:7], s[0:1], 0x48
	s_load_b32 s2, s[0:1], 0x20
	s_load_b96 s[12:14], s[0:1], 0x58
	s_wait_xcnt 0x0
	s_mov_b32 s1, s3
	s_wait_kmcnt 0x0
	s_mov_b32 s0, s10
	s_delay_alu instid0(SALU_CYCLE_1)
	s_sub_nc_u64 s[0:1], s[0:1], s[2:3]
	s_lshl_b32 s2, s14, 8
.LBB126_2:                              ; =>This Inner Loop Header: Depth=1
	s_clause 0x1
	global_load_b64 v[2:3], v0, s[8:9] scale_offset
	global_load_b64 v[4:5], v0, s[4:5] scale_offset
	s_wait_loadcnt 0x1
	v_add_nc_u64_e32 v[2:3], s[0:1], v[2:3]
	global_store_b64 v0, v[2:3], s[12:13] scale_offset
	s_wait_loadcnt 0x0
	global_store_b64 v0, v[4:5], s[6:7] scale_offset
	s_wait_xcnt 0x0
	v_add_nc_u32_e32 v0, s2, v0
	s_delay_alu instid0(VALU_DEP_1) | instskip(SKIP_1) | instid1(SALU_CYCLE_1)
	v_cmp_le_i32_e32 vcc_lo, s11, v0
	s_or_b32 s3, vcc_lo, s3
	s_and_not1_b32 exec_lo, exec_lo, s3
	s_cbranch_execnz .LBB126_2
.LBB126_3:
	s_endpgm
	.section	.rodata,"a",@progbits
	.p2align	6, 0x0
	.amdhsa_kernel _ZN9rocsparseL35csr2bsr_block_dim_equals_one_kernelILj256EdilEEvT2_S1_S1_S1_21rocsparse_index_base_PKT0_PKT1_PKS1_S2_PS3_PS6_PS1_
		.amdhsa_group_segment_fixed_size 0
		.amdhsa_private_segment_fixed_size 0
		.amdhsa_kernarg_size 352
		.amdhsa_user_sgpr_count 2
		.amdhsa_user_sgpr_dispatch_ptr 0
		.amdhsa_user_sgpr_queue_ptr 0
		.amdhsa_user_sgpr_kernarg_segment_ptr 1
		.amdhsa_user_sgpr_dispatch_id 0
		.amdhsa_user_sgpr_kernarg_preload_length 0
		.amdhsa_user_sgpr_kernarg_preload_offset 0
		.amdhsa_user_sgpr_private_segment_size 0
		.amdhsa_wavefront_size32 1
		.amdhsa_uses_dynamic_stack 0
		.amdhsa_enable_private_segment 0
		.amdhsa_system_sgpr_workgroup_id_x 1
		.amdhsa_system_sgpr_workgroup_id_y 0
		.amdhsa_system_sgpr_workgroup_id_z 0
		.amdhsa_system_sgpr_workgroup_info 0
		.amdhsa_system_vgpr_workitem_id 0
		.amdhsa_next_free_vgpr 6
		.amdhsa_next_free_sgpr 15
		.amdhsa_named_barrier_count 0
		.amdhsa_reserve_vcc 1
		.amdhsa_float_round_mode_32 0
		.amdhsa_float_round_mode_16_64 0
		.amdhsa_float_denorm_mode_32 3
		.amdhsa_float_denorm_mode_16_64 3
		.amdhsa_fp16_overflow 0
		.amdhsa_memory_ordered 1
		.amdhsa_forward_progress 1
		.amdhsa_inst_pref_size 3
		.amdhsa_round_robin_scheduling 0
		.amdhsa_exception_fp_ieee_invalid_op 0
		.amdhsa_exception_fp_denorm_src 0
		.amdhsa_exception_fp_ieee_div_zero 0
		.amdhsa_exception_fp_ieee_overflow 0
		.amdhsa_exception_fp_ieee_underflow 0
		.amdhsa_exception_fp_ieee_inexact 0
		.amdhsa_exception_int_div_zero 0
	.end_amdhsa_kernel
	.section	.text._ZN9rocsparseL35csr2bsr_block_dim_equals_one_kernelILj256EdilEEvT2_S1_S1_S1_21rocsparse_index_base_PKT0_PKT1_PKS1_S2_PS3_PS6_PS1_,"axG",@progbits,_ZN9rocsparseL35csr2bsr_block_dim_equals_one_kernelILj256EdilEEvT2_S1_S1_S1_21rocsparse_index_base_PKT0_PKT1_PKS1_S2_PS3_PS6_PS1_,comdat
.Lfunc_end126:
	.size	_ZN9rocsparseL35csr2bsr_block_dim_equals_one_kernelILj256EdilEEvT2_S1_S1_S1_21rocsparse_index_base_PKT0_PKT1_PKS1_S2_PS3_PS6_PS1_, .Lfunc_end126-_ZN9rocsparseL35csr2bsr_block_dim_equals_one_kernelILj256EdilEEvT2_S1_S1_S1_21rocsparse_index_base_PKT0_PKT1_PKS1_S2_PS3_PS6_PS1_
                                        ; -- End function
	.set _ZN9rocsparseL35csr2bsr_block_dim_equals_one_kernelILj256EdilEEvT2_S1_S1_S1_21rocsparse_index_base_PKT0_PKT1_PKS1_S2_PS3_PS6_PS1_.num_vgpr, 6
	.set _ZN9rocsparseL35csr2bsr_block_dim_equals_one_kernelILj256EdilEEvT2_S1_S1_S1_21rocsparse_index_base_PKT0_PKT1_PKS1_S2_PS3_PS6_PS1_.num_agpr, 0
	.set _ZN9rocsparseL35csr2bsr_block_dim_equals_one_kernelILj256EdilEEvT2_S1_S1_S1_21rocsparse_index_base_PKT0_PKT1_PKS1_S2_PS3_PS6_PS1_.numbered_sgpr, 15
	.set _ZN9rocsparseL35csr2bsr_block_dim_equals_one_kernelILj256EdilEEvT2_S1_S1_S1_21rocsparse_index_base_PKT0_PKT1_PKS1_S2_PS3_PS6_PS1_.num_named_barrier, 0
	.set _ZN9rocsparseL35csr2bsr_block_dim_equals_one_kernelILj256EdilEEvT2_S1_S1_S1_21rocsparse_index_base_PKT0_PKT1_PKS1_S2_PS3_PS6_PS1_.private_seg_size, 0
	.set _ZN9rocsparseL35csr2bsr_block_dim_equals_one_kernelILj256EdilEEvT2_S1_S1_S1_21rocsparse_index_base_PKT0_PKT1_PKS1_S2_PS3_PS6_PS1_.uses_vcc, 1
	.set _ZN9rocsparseL35csr2bsr_block_dim_equals_one_kernelILj256EdilEEvT2_S1_S1_S1_21rocsparse_index_base_PKT0_PKT1_PKS1_S2_PS3_PS6_PS1_.uses_flat_scratch, 0
	.set _ZN9rocsparseL35csr2bsr_block_dim_equals_one_kernelILj256EdilEEvT2_S1_S1_S1_21rocsparse_index_base_PKT0_PKT1_PKS1_S2_PS3_PS6_PS1_.has_dyn_sized_stack, 0
	.set _ZN9rocsparseL35csr2bsr_block_dim_equals_one_kernelILj256EdilEEvT2_S1_S1_S1_21rocsparse_index_base_PKT0_PKT1_PKS1_S2_PS3_PS6_PS1_.has_recursion, 0
	.set _ZN9rocsparseL35csr2bsr_block_dim_equals_one_kernelILj256EdilEEvT2_S1_S1_S1_21rocsparse_index_base_PKT0_PKT1_PKS1_S2_PS3_PS6_PS1_.has_indirect_call, 0
	.section	.AMDGPU.csdata,"",@progbits
; Kernel info:
; codeLenInByte = 300
; TotalNumSgprs: 17
; NumVgprs: 6
; ScratchSize: 0
; MemoryBound: 0
; FloatMode: 240
; IeeeMode: 1
; LDSByteSize: 0 bytes/workgroup (compile time only)
; SGPRBlocks: 0
; VGPRBlocks: 0
; NumSGPRsForWavesPerEU: 17
; NumVGPRsForWavesPerEU: 6
; NamedBarCnt: 0
; Occupancy: 16
; WaveLimiterHint : 0
; COMPUTE_PGM_RSRC2:SCRATCH_EN: 0
; COMPUTE_PGM_RSRC2:USER_SGPR: 2
; COMPUTE_PGM_RSRC2:TRAP_HANDLER: 0
; COMPUTE_PGM_RSRC2:TGID_X_EN: 1
; COMPUTE_PGM_RSRC2:TGID_Y_EN: 0
; COMPUTE_PGM_RSRC2:TGID_Z_EN: 0
; COMPUTE_PGM_RSRC2:TIDIG_COMP_CNT: 0
	.section	.text._ZN9rocsparseL42csr2bsr_wavefront_per_row_multipass_kernelILj256ELj16ELj4EdilEEv20rocsparse_direction_T4_S2_S2_S2_S2_21rocsparse_index_base_PKT2_PKT3_PKS2_S3_PS4_PS7_PS2_,"axG",@progbits,_ZN9rocsparseL42csr2bsr_wavefront_per_row_multipass_kernelILj256ELj16ELj4EdilEEv20rocsparse_direction_T4_S2_S2_S2_S2_21rocsparse_index_base_PKT2_PKT3_PKS2_S3_PS4_PS7_PS2_,comdat
	.globl	_ZN9rocsparseL42csr2bsr_wavefront_per_row_multipass_kernelILj256ELj16ELj4EdilEEv20rocsparse_direction_T4_S2_S2_S2_S2_21rocsparse_index_base_PKT2_PKT3_PKS2_S3_PS4_PS7_PS2_ ; -- Begin function _ZN9rocsparseL42csr2bsr_wavefront_per_row_multipass_kernelILj256ELj16ELj4EdilEEv20rocsparse_direction_T4_S2_S2_S2_S2_21rocsparse_index_base_PKT2_PKT3_PKS2_S3_PS4_PS7_PS2_
	.p2align	8
	.type	_ZN9rocsparseL42csr2bsr_wavefront_per_row_multipass_kernelILj256ELj16ELj4EdilEEv20rocsparse_direction_T4_S2_S2_S2_S2_21rocsparse_index_base_PKT2_PKT3_PKS2_S3_PS4_PS7_PS2_,@function
_ZN9rocsparseL42csr2bsr_wavefront_per_row_multipass_kernelILj256ELj16ELj4EdilEEv20rocsparse_direction_T4_S2_S2_S2_S2_21rocsparse_index_base_PKT2_PKT3_PKS2_S3_PS4_PS7_PS2_: ; @_ZN9rocsparseL42csr2bsr_wavefront_per_row_multipass_kernelILj256ELj16ELj4EdilEEv20rocsparse_direction_T4_S2_S2_S2_S2_21rocsparse_index_base_PKT2_PKT3_PKS2_S3_PS4_PS7_PS2_
; %bb.0:
	s_bfe_u32 s2, ttmp6, 0x4000c
	s_clause 0x1
	s_load_b96 s[8:10], s[0:1], 0x28
	s_load_b64 s[14:15], s[0:1], 0x40
	s_add_co_i32 s2, s2, 1
	s_and_b32 s3, ttmp6, 15
	s_mul_i32 s2, ttmp9, s2
	s_getreg_b32 s4, hwreg(HW_REG_IB_STS2, 6, 4)
	s_add_co_i32 s3, s3, s2
	s_cmp_eq_u32 s4, 0
	v_dual_mov_b32 v25, 0 :: v_dual_lshrrev_b32 v24, 4, v0
	s_cselect_b32 s12, ttmp9, s3
	v_bfe_u32 v8, v0, 2, 2
	s_ashr_i32 s13, s12, 31
	v_mov_b32_e32 v18, 0
	s_lshl_b64 s[2:3], s[12:13], 4
	s_delay_alu instid0(SALU_CYCLE_1) | instskip(SKIP_2) | instid1(VALU_DEP_1)
	v_dual_mov_b32 v9, v25 :: v_dual_bitop2_b32 v1, s2, v24 bitop3:0x54
	s_load_b128 s[4:7], s[0:1], 0x18
	s_wait_kmcnt 0x0
	v_mad_nc_u64_u32 v[2:3], v1, s8, v[8:9]
	s_delay_alu instid0(VALU_DEP_1) | instskip(SKIP_1) | instid1(VALU_DEP_1)
	v_mad_u32 v3, s3, s8, v3
	s_load_b64 s[2:3], s[0:1], 0x8
	v_mad_u32 v3, v1, s9, v3
	s_wait_kmcnt 0x0
	s_delay_alu instid0(VALU_DEP_1) | instskip(SKIP_2) | instid1(SALU_CYCLE_1)
	v_cmp_gt_i64_e32 vcc_lo, s[2:3], v[2:3]
	v_cmp_gt_i64_e64 s2, s[8:9], v[8:9]
	s_and_b32 s3, s2, vcc_lo
	s_and_saveexec_b32 s11, s3
	s_cbranch_execz .LBB127_2
; %bb.1:
	v_lshl_add_u64 v[4:5], v[2:3], 2, s[14:15]
	global_load_b32 v1, v[4:5], off
	s_wait_loadcnt 0x0
	v_subrev_nc_u32_e32 v18, s10, v1
.LBB127_2:
	s_or_b32 exec_lo, exec_lo, s11
	s_and_saveexec_b32 s11, s3
	s_cbranch_execz .LBB127_4
; %bb.3:
	v_lshl_add_u64 v[2:3], v[2:3], 2, s[14:15]
	global_load_b32 v1, v[2:3], off offset:4
	s_wait_loadcnt 0x0
	v_subrev_nc_u32_e32 v25, s10, v1
.LBB127_4:
	s_or_b32 exec_lo, exec_lo, s11
	s_load_b32 s22, s[0:1], 0x50
	v_mov_b32_e32 v5, 0
	v_lshl_or_b32 v4, s12, 4, v24
	s_mov_b32 s3, exec_lo
	s_delay_alu instid0(VALU_DEP_2) | instskip(NEXT) | instid1(VALU_DEP_2)
	v_mov_b32_e32 v2, v5
	v_cmpx_gt_i64_e64 s[4:5], v[4:5]
	s_cbranch_execz .LBB127_6
; %bb.5:
	s_load_b64 s[4:5], s[0:1], 0x60
	s_wait_kmcnt 0x0
	v_lshl_add_u64 v[2:3], v[4:5], 2, s[4:5]
	global_load_b32 v1, v[2:3], off
	s_wait_loadcnt 0x0
	v_subrev_nc_u32_e32 v2, s22, v1
.LBB127_6:
	s_or_b32 exec_lo, exec_lo, s3
	v_cmp_lt_i64_e64 s3, s[6:7], 1
	s_and_b32 vcc_lo, exec_lo, s3
	s_cbranch_vccnz .LBB127_28
; %bb.7:
	v_dual_mov_b32 v4, 0 :: v_dual_bitop2_b32 v6, 3, v0 bitop3:0x40
	v_mul_u64_e32 v[10:11], s[8:9], v[8:9]
	v_mbcnt_lo_u32_b32 v3, -1, 0
	s_clause 0x3
	s_load_b64 s[14:15], s[0:1], 0x48
	s_load_b64 s[18:19], s[0:1], 0x58
	;; [unrolled: 1-line block ×3, first 2 shown]
	s_load_b32 s3, s[0:1], 0x0
	v_dual_mov_b32 v7, v4 :: v_dual_lshlrev_b32 v1, 5, v8
	v_and_b32_e32 v0, 0x3f0, v0
	v_dual_lshlrev_b32 v15, 2, v3 :: v_dual_bitop2_b32 v5, 2, v3 bitop3:0x14
	s_delay_alu instid0(VALU_DEP_3) | instskip(SKIP_1) | instid1(VALU_DEP_4)
	v_mul_u64_e32 v[12:13], s[8:9], v[6:7]
	v_xor_b32_e32 v16, 8, v3
	v_lshl_or_b32 v26, v0, 3, v1
	v_dual_mov_b32 v1, v4 :: v_dual_bitop2_b32 v14, 1, v3 bitop3:0x14
	v_mov_b32_e32 v9, v4
	v_cmp_gt_i32_e32 vcc_lo, 32, v5
	s_load_b64 s[4:5], s[0:1], 0x68
	v_xor_b32_e32 v17, 4, v3
	s_wait_xcnt 0x0
	v_cmp_gt_i32_e64 s0, 32, v16
	v_dual_lshlrev_b32 v8, 3, v8 :: v_dual_lshlrev_b32 v0, 3, v6
	v_cndmask_b32_e32 v5, v3, v5, vcc_lo
	v_cmp_gt_i32_e32 vcc_lo, 32, v14
	s_delay_alu instid0(VALU_DEP_4) | instskip(SKIP_3) | instid1(VALU_DEP_3)
	v_dual_cndmask_b32 v16, v3, v16, s0 :: v_dual_bitop2_b32 v28, 12, v15 bitop3:0x54
	v_cmp_gt_i32_e64 s0, 32, v17
	v_dual_cndmask_b32 v14, v3, v14, vcc_lo :: v_dual_bitop2_b32 v27, v26, v0 bitop3:0x54
	v_cmp_gt_u64_e32 vcc_lo, s[8:9], v[6:7]
	v_dual_cndmask_b32 v3, v3, v17, s0 :: v_dual_bitop2_b32 v32, 60, v15 bitop3:0x54
	v_dual_lshlrev_b32 v7, 2, v5 :: v_dual_lshlrev_b32 v30, 2, v16
	s_wait_kmcnt 0x0
	v_lshl_add_u64 v[10:11], v[10:11], 3, s[18:19]
	v_lshlrev_b32_e32 v29, 2, v14
	v_mov_b64_e32 v[14:15], 0
	v_dual_lshlrev_b32 v31, 2, v3 :: v_dual_mov_b32 v33, 1
	s_delay_alu instid0(VALU_DEP_4)
	v_add_nc_u64_e32 v[0:1], v[10:11], v[0:1]
	v_mov_b64_e32 v[10:11], 0
	v_mov_b32_e32 v3, 0
	v_lshl_add_u64 v[12:13], v[12:13], 3, s[18:19]
	s_mov_b32 s1, 0
	s_cmp_lg_u32 s3, 0
	s_mul_u64 s[12:13], s[8:9], s[8:9]
	s_mov_b32 s11, s1
	v_add_nc_u64_e32 v[8:9], v[12:13], v[8:9]
	s_cselect_b32 s23, -1, 0
	s_and_b32 s24, s2, vcc_lo
	s_mov_b64 s[2:3], 0xffffffff
	s_ashr_i32 s18, s9, 31
	s_sub_co_i32 s25, 0, s8
	s_mov_b32 s26, 0
	s_branch .LBB127_10
.LBB127_8:                              ;   in Loop: Header=BB127_10 Depth=1
	s_wait_xcnt 0x0
	s_or_b32 exec_lo, exec_lo, s19
	v_mov_b32_e32 v5, 1
.LBB127_9:                              ;   in Loop: Header=BB127_10 Depth=1
	s_or_b32 exec_lo, exec_lo, s0
	ds_bpermute_b32 v14, v30, v12
	ds_bpermute_b32 v15, v30, v13
	v_add_nc_u32_e32 v2, v5, v2
	s_wait_storecnt_dscnt 0x0
	v_min_i64 v[12:13], v[14:15], v[12:13]
	ds_bpermute_b32 v14, v31, v12
	ds_bpermute_b32 v15, v31, v13
	s_wait_dscnt 0x0
	v_min_i64 v[12:13], v[14:15], v[12:13]
	ds_bpermute_b32 v14, v7, v12
	ds_bpermute_b32 v15, v7, v13
	s_wait_dscnt 0x0
	v_min_i64 v[12:13], v[14:15], v[12:13]
	ds_bpermute_b32 v14, v29, v12
	ds_bpermute_b32 v15, v29, v13
	s_wait_dscnt 0x0
	v_min_i64 v[12:13], v[14:15], v[12:13]
	ds_bpermute_b32 v14, v32, v12
	s_wait_dscnt 0x0
	v_dual_ashrrev_i32 v15, 31, v14 :: v_dual_mov_b32 v3, v14
	s_delay_alu instid0(VALU_DEP_1) | instskip(SKIP_1) | instid1(SALU_CYCLE_1)
	v_cmp_le_i64_e32 vcc_lo, s[6:7], v[14:15]
	s_or_b32 s26, vcc_lo, s26
	s_and_not1_b32 exec_lo, exec_lo, s26
	s_cbranch_execz .LBB127_28
.LBB127_10:                             ; =>This Loop Header: Depth=1
                                        ;     Child Loop BB127_13 Depth 2
	v_mov_b64_e32 v[12:13], s[6:7]
	v_dual_mov_b32 v5, v25 :: v_dual_add_nc_u32 v16, v18, v6
	s_mov_b32 s27, exec_lo
	ds_store_b8 v24, v4 offset:2048
	ds_store_b64 v27, v[10:11]
	s_wait_dscnt 0x0
	v_cmpx_lt_i32_e64 v16, v25
	s_cbranch_execz .LBB127_22
; %bb.11:                               ;   in Loop: Header=BB127_10 Depth=1
	v_mul_u64_e32 v[18:19], s[8:9], v[14:15]
	v_mov_b64_e32 v[12:13], s[6:7]
	v_mov_b32_e32 v19, v25
	s_mov_b32 s28, 0
	s_branch .LBB127_13
.LBB127_12:                             ;   in Loop: Header=BB127_13 Depth=2
	s_wait_xcnt 0x0
	s_or_b32 exec_lo, exec_lo, s0
	v_dual_mov_b32 v19, v5 :: v_dual_add_nc_u32 v16, 4, v16
	s_xor_b32 s19, vcc_lo, -1
	s_delay_alu instid0(VALU_DEP_1) | instskip(SKIP_1) | instid1(SALU_CYCLE_1)
	v_cmp_ge_i32_e64 s0, v16, v25
	s_or_b32 s0, s19, s0
	s_and_b32 s0, exec_lo, s0
	s_delay_alu instid0(SALU_CYCLE_1) | instskip(NEXT) | instid1(SALU_CYCLE_1)
	s_or_b32 s28, s0, s28
	s_and_not1_b32 exec_lo, exec_lo, s28
	s_cbranch_execz .LBB127_21
.LBB127_13:                             ;   Parent Loop BB127_10 Depth=1
                                        ; =>  This Inner Loop Header: Depth=2
	global_load_b64 v[20:21], v16, s[14:15] scale_offset
                                        ; implicit-def: $vgpr22_vgpr23
	s_mov_b32 s0, exec_lo
	s_wait_loadcnt 0x0
	v_sub_nc_u64_e64 v[20:21], v[20:21], s[10:11]
	s_delay_alu instid0(VALU_DEP_1) | instskip(SKIP_1) | instid1(VALU_DEP_1)
	v_or_b32_e32 v5, s9, v21
	s_wait_xcnt 0x0
	v_cmpx_ne_u64_e32 0, v[4:5]
	s_xor_b32 s29, exec_lo, s0
	s_cbranch_execz .LBB127_15
; %bb.14:                               ;   in Loop: Header=BB127_13 Depth=2
	s_mov_b32 s19, s18
	v_dual_mov_b32 v37, v4 :: v_dual_ashrrev_i32 v22, 31, v21
	s_add_nc_u64 s[20:21], s[8:9], s[18:19]
	v_mov_b32_e32 v41, v4
	s_xor_b64 s[20:21], s[20:21], s[18:19]
	s_delay_alu instid0(VALU_DEP_2)
	v_mov_b32_e32 v23, v22
	s_cvt_f32_u32 s0, s20
	s_cvt_f32_u32 s19, s21
	s_sub_nc_u64 s[34:35], 0, s[20:21]
	v_mov_b32_e32 v45, v4
	v_add_nc_u64_e32 v[34:35], v[20:21], v[22:23]
	s_fmamk_f32 s0, s19, 0x4f800000, s0
	s_delay_alu instid0(SALU_CYCLE_3) | instskip(NEXT) | instid1(VALU_DEP_1)
	v_s_rcp_f32 s0, s0
	v_xor_b32_e32 v36, v34, v22
	s_delay_alu instid0(VALU_DEP_2) | instskip(NEXT) | instid1(TRANS32_DEP_1)
	v_xor_b32_e32 v40, v35, v22
	s_mul_f32 s0, s0, 0x5f7ffffc
	s_delay_alu instid0(SALU_CYCLE_3) | instskip(NEXT) | instid1(SALU_CYCLE_3)
	s_mul_f32 s19, s0, 0x2f800000
	s_trunc_f32 s19, s19
	s_delay_alu instid0(SALU_CYCLE_3) | instskip(SKIP_1) | instid1(SALU_CYCLE_2)
	s_fmamk_f32 s0, s19, 0xcf800000, s0
	s_cvt_u32_f32 s31, s19
	s_cvt_u32_f32 s30, s0
	s_delay_alu instid0(SALU_CYCLE_3) | instskip(NEXT) | instid1(SALU_CYCLE_1)
	s_mul_u64 s[36:37], s[34:35], s[30:31]
	s_mul_hi_u32 s39, s30, s37
	s_mul_i32 s38, s30, s37
	s_mul_hi_u32 s0, s30, s36
	s_mul_i32 s33, s31, s36
	s_add_nc_u64 s[38:39], s[0:1], s[38:39]
	s_mul_hi_u32 s19, s31, s36
	s_mul_hi_u32 s40, s31, s37
	s_add_co_u32 s0, s38, s33
	s_add_co_ci_u32 s0, s39, s19
	s_mul_i32 s36, s31, s37
	s_add_co_ci_u32 s37, s40, 0
	s_delay_alu instid0(SALU_CYCLE_1) | instskip(NEXT) | instid1(SALU_CYCLE_1)
	s_add_nc_u64 s[36:37], s[0:1], s[36:37]
	s_add_co_u32 s30, s30, s36
	s_cselect_b32 s0, -1, 0
	s_delay_alu instid0(SALU_CYCLE_1) | instskip(SKIP_1) | instid1(SALU_CYCLE_1)
	s_cmp_lg_u32 s0, 0
	s_add_co_ci_u32 s31, s31, s37
	s_mul_u64 s[34:35], s[34:35], s[30:31]
	s_delay_alu instid0(SALU_CYCLE_1)
	s_mul_hi_u32 s37, s30, s35
	s_mul_i32 s36, s30, s35
	s_mul_hi_u32 s0, s30, s34
	s_mul_i32 s33, s31, s34
	s_add_nc_u64 s[36:37], s[0:1], s[36:37]
	s_mul_hi_u32 s19, s31, s34
	s_mul_hi_u32 s38, s31, s35
	s_add_co_u32 s0, s36, s33
	s_add_co_ci_u32 s0, s37, s19
	s_mul_i32 s34, s31, s35
	s_add_co_ci_u32 s35, s38, 0
	s_delay_alu instid0(SALU_CYCLE_1) | instskip(NEXT) | instid1(SALU_CYCLE_1)
	s_add_nc_u64 s[34:35], s[0:1], s[34:35]
	s_add_co_u32 s30, s30, s34
	s_cselect_b32 s0, -1, 0
	v_mul_hi_u32 v44, v36, s30
	s_cmp_lg_u32 s0, 0
	s_add_co_ci_u32 s0, s31, s35
	s_and_b64 s[34:35], s[30:31], s[2:3]
	v_mul_u64_e32 v[38:39], s[0:1], v[36:37]
	v_mul_u64_e32 v[34:35], s[34:35], v[40:41]
	;; [unrolled: 1-line block ×3, first 2 shown]
	s_delay_alu instid0(VALU_DEP_3) | instskip(NEXT) | instid1(VALU_DEP_1)
	v_add_nc_u64_e32 v[38:39], v[44:45], v[38:39]
	v_add_co_u32 v5, vcc_lo, v38, v34
	s_delay_alu instid0(VALU_DEP_2) | instskip(NEXT) | instid1(VALU_DEP_4)
	v_add_co_ci_u32_e32 v44, vcc_lo, v39, v35, vcc_lo
	v_add_co_ci_u32_e32 v43, vcc_lo, 0, v43, vcc_lo
	s_delay_alu instid0(VALU_DEP_1) | instskip(NEXT) | instid1(VALU_DEP_1)
	v_add_nc_u64_e32 v[34:35], v[44:45], v[42:43]
	v_mul_u64_e32 v[38:39], s[20:21], v[34:35]
	s_delay_alu instid0(VALU_DEP_1) | instskip(NEXT) | instid1(VALU_DEP_2)
	v_sub_nc_u32_e32 v5, v40, v39
	v_sub_co_u32 v17, vcc_lo, v36, v38
	s_delay_alu instid0(VALU_DEP_1) | instskip(NEXT) | instid1(VALU_DEP_3)
	v_sub_co_ci_u32_e64 v23, null, v40, v39, vcc_lo
	v_subrev_co_ci_u32_e64 v5, null, s21, v5, vcc_lo
	s_delay_alu instid0(VALU_DEP_3) | instskip(SKIP_1) | instid1(VALU_DEP_3)
	v_sub_co_u32 v21, s0, v17, s20
	v_add_nc_u64_e32 v[38:39], 1, v[34:35]
	v_subrev_co_ci_u32_e64 v5, null, 0, v5, s0
	s_delay_alu instid0(VALU_DEP_3) | instskip(SKIP_1) | instid1(VALU_DEP_3)
	v_cmp_le_u32_e32 vcc_lo, s20, v21
	v_cndmask_b32_e64 v21, 0, -1, vcc_lo
	v_cmp_le_u32_e32 vcc_lo, s21, v5
	v_cndmask_b32_e64 v36, 0, -1, vcc_lo
	;; [unrolled: 2-line block ×4, first 2 shown]
	v_cmp_eq_u32_e32 vcc_lo, s21, v5
	v_cndmask_b32_e32 v5, v36, v21, vcc_lo
	v_cmp_eq_u32_e32 vcc_lo, s21, v23
	v_add_nc_u64_e32 v[36:37], 2, v[34:35]
	v_cndmask_b32_e32 v17, v40, v17, vcc_lo
	s_delay_alu instid0(VALU_DEP_4) | instskip(NEXT) | instid1(VALU_DEP_2)
	v_cmp_ne_u32_e32 vcc_lo, 0, v5
	v_cmp_ne_u32_e64 s0, 0, v17
	s_delay_alu instid0(VALU_DEP_4) | instskip(NEXT) | instid1(VALU_DEP_1)
	v_dual_cndmask_b32 v5, v39, v37, vcc_lo :: v_dual_cndmask_b32 v17, v38, v36, vcc_lo
	v_dual_cndmask_b32 v5, v35, v5, s0 :: v_dual_bitop2_b32 v22, s18, v22 bitop3:0x14
	s_delay_alu instid0(VALU_DEP_1) | instskip(NEXT) | instid1(VALU_DEP_1)
	v_dual_cndmask_b32 v17, v34, v17, s0 :: v_dual_bitop2_b32 v35, v5, v22 bitop3:0x14
	v_dual_mov_b32 v23, v22 :: v_dual_bitop2_b32 v34, v17, v22 bitop3:0x14
	s_delay_alu instid0(VALU_DEP_1)
	v_sub_nc_u64_e32 v[22:23], v[34:35], v[22:23]
.LBB127_15:                             ;   in Loop: Header=BB127_13 Depth=2
	s_and_not1_saveexec_b32 s0, s29
	s_cbranch_execz .LBB127_17
; %bb.16:                               ;   in Loop: Header=BB127_13 Depth=2
	v_cvt_f32_u32_e32 v5, s8
	v_mov_b32_e32 v23, v4
	s_delay_alu instid0(VALU_DEP_2) | instskip(SKIP_1) | instid1(TRANS32_DEP_1)
	v_rcp_iflag_f32_e32 v5, v5
	v_nop
	v_mul_f32_e32 v5, 0x4f7ffffe, v5
	s_delay_alu instid0(VALU_DEP_1) | instskip(NEXT) | instid1(VALU_DEP_1)
	v_cvt_u32_f32_e32 v5, v5
	v_mul_lo_u32 v17, s25, v5
	s_delay_alu instid0(VALU_DEP_1) | instskip(NEXT) | instid1(VALU_DEP_1)
	v_mul_hi_u32 v17, v5, v17
	v_add_nc_u32_e32 v5, v5, v17
	s_delay_alu instid0(VALU_DEP_1) | instskip(NEXT) | instid1(VALU_DEP_1)
	v_mul_hi_u32 v5, v20, v5
	v_mul_lo_u32 v17, v5, s8
	s_delay_alu instid0(VALU_DEP_1) | instskip(NEXT) | instid1(VALU_DEP_1)
	v_sub_nc_u32_e32 v17, v20, v17
	v_subrev_nc_u32_e32 v22, s8, v17
	v_cmp_le_u32_e32 vcc_lo, s8, v17
	s_delay_alu instid0(VALU_DEP_2) | instskip(NEXT) | instid1(VALU_DEP_1)
	v_dual_add_nc_u32 v21, 1, v5 :: v_dual_cndmask_b32 v17, v17, v22, vcc_lo
	v_cndmask_b32_e32 v5, v5, v21, vcc_lo
	s_delay_alu instid0(VALU_DEP_2) | instskip(NEXT) | instid1(VALU_DEP_2)
	v_cmp_le_u32_e32 vcc_lo, s8, v17
	v_add_nc_u32_e32 v21, 1, v5
	s_delay_alu instid0(VALU_DEP_1)
	v_cndmask_b32_e32 v22, v5, v21, vcc_lo
.LBB127_17:                             ;   in Loop: Header=BB127_13 Depth=2
	s_or_b32 exec_lo, exec_lo, s0
	s_delay_alu instid0(VALU_DEP_1) | instskip(SKIP_2) | instid1(SALU_CYCLE_1)
	v_cmp_ne_u64_e64 s0, v[22:23], v[14:15]
	v_cmp_eq_u64_e32 vcc_lo, v[22:23], v[14:15]
	s_and_saveexec_b32 s19, s0
	s_xor_b32 s0, exec_lo, s19
; %bb.18:                               ;   in Loop: Header=BB127_13 Depth=2
	v_min_i64 v[12:13], v[22:23], v[12:13]
                                        ; implicit-def: $vgpr20_vgpr21
                                        ; implicit-def: $vgpr19
; %bb.19:                               ;   in Loop: Header=BB127_13 Depth=2
	s_or_saveexec_b32 s0, s0
	v_mov_b32_e32 v5, v16
	s_xor_b32 exec_lo, exec_lo, s0
	s_cbranch_execz .LBB127_12
; %bb.20:                               ;   in Loop: Header=BB127_13 Depth=2
	v_dual_ashrrev_i32 v17, 31, v16 :: v_dual_sub_nc_u32 v5, v20, v18
	s_delay_alu instid0(VALU_DEP_1) | instskip(NEXT) | instid1(VALU_DEP_2)
	v_lshl_add_u64 v[22:23], v[16:17], 3, s[16:17]
	v_lshl_add_u32 v17, v5, 3, v26
	v_mov_b32_e32 v5, v19
	global_load_b64 v[22:23], v[22:23], off
	ds_store_b8 v24, v33 offset:2048
	s_wait_loadcnt 0x0
	ds_store_b64 v17, v[22:23]
	s_branch .LBB127_12
.LBB127_21:                             ;   in Loop: Header=BB127_10 Depth=1
	s_or_b32 exec_lo, exec_lo, s28
.LBB127_22:                             ;   in Loop: Header=BB127_10 Depth=1
	s_delay_alu instid0(SALU_CYCLE_1)
	s_or_b32 exec_lo, exec_lo, s27
	ds_bpermute_b32 v14, v7, v5
	s_wait_dscnt 0x0
	ds_load_u8 v15, v24 offset:2048
	v_min_i32_e32 v5, v14, v5
	ds_bpermute_b32 v14, v29, v5
	s_wait_dscnt 0x0
	v_min_i32_e32 v5, v14, v5
	ds_bpermute_b32 v18, v28, v5
	v_and_b32_e32 v5, 1, v15
	s_delay_alu instid0(VALU_DEP_1)
	v_cmp_eq_u32_e32 vcc_lo, 1, v5
	v_mov_b32_e32 v5, 0
	s_and_saveexec_b32 s0, vcc_lo
	s_cbranch_execz .LBB127_9
; %bb.23:                               ;   in Loop: Header=BB127_10 Depth=1
	v_add_nc_u32_e32 v14, s22, v3
	s_delay_alu instid0(VALU_DEP_1)
	v_ashrrev_i32_e32 v15, 31, v14
	global_store_b64 v2, v[14:15], s[4:5] scale_offset
	s_wait_xcnt 0x0
	s_and_saveexec_b32 s19, s24
	s_cbranch_execz .LBB127_8
; %bb.24:                               ;   in Loop: Header=BB127_10 Depth=1
	v_ashrrev_i32_e32 v3, 31, v2
	ds_load_b64 v[16:17], v27
	s_and_b32 vcc_lo, exec_lo, s23
	v_mul_u64_e32 v[14:15], s[12:13], v[2:3]
	s_cbranch_vccz .LBB127_26
; %bb.25:                               ;   in Loop: Header=BB127_10 Depth=1
	s_delay_alu instid0(VALU_DEP_1)
	v_lshl_add_u64 v[20:21], v[14:15], 3, v[8:9]
	s_wait_dscnt 0x0
	global_store_b64 v[20:21], v[16:17], off
	s_cbranch_execnz .LBB127_8
	s_branch .LBB127_27
.LBB127_26:                             ;   in Loop: Header=BB127_10 Depth=1
.LBB127_27:                             ;   in Loop: Header=BB127_10 Depth=1
	s_delay_alu instid0(VALU_DEP_1)
	v_lshl_add_u64 v[14:15], v[14:15], 3, v[0:1]
	s_wait_dscnt 0x0
	global_store_b64 v[14:15], v[16:17], off
	s_branch .LBB127_8
.LBB127_28:
	s_endpgm
	.section	.rodata,"a",@progbits
	.p2align	6, 0x0
	.amdhsa_kernel _ZN9rocsparseL42csr2bsr_wavefront_per_row_multipass_kernelILj256ELj16ELj4EdilEEv20rocsparse_direction_T4_S2_S2_S2_S2_21rocsparse_index_base_PKT2_PKT3_PKS2_S3_PS4_PS7_PS2_
		.amdhsa_group_segment_fixed_size 2064
		.amdhsa_private_segment_fixed_size 0
		.amdhsa_kernarg_size 112
		.amdhsa_user_sgpr_count 2
		.amdhsa_user_sgpr_dispatch_ptr 0
		.amdhsa_user_sgpr_queue_ptr 0
		.amdhsa_user_sgpr_kernarg_segment_ptr 1
		.amdhsa_user_sgpr_dispatch_id 0
		.amdhsa_user_sgpr_kernarg_preload_length 0
		.amdhsa_user_sgpr_kernarg_preload_offset 0
		.amdhsa_user_sgpr_private_segment_size 0
		.amdhsa_wavefront_size32 1
		.amdhsa_uses_dynamic_stack 0
		.amdhsa_enable_private_segment 0
		.amdhsa_system_sgpr_workgroup_id_x 1
		.amdhsa_system_sgpr_workgroup_id_y 0
		.amdhsa_system_sgpr_workgroup_id_z 0
		.amdhsa_system_sgpr_workgroup_info 0
		.amdhsa_system_vgpr_workitem_id 0
		.amdhsa_next_free_vgpr 46
		.amdhsa_next_free_sgpr 41
		.amdhsa_named_barrier_count 0
		.amdhsa_reserve_vcc 1
		.amdhsa_float_round_mode_32 0
		.amdhsa_float_round_mode_16_64 0
		.amdhsa_float_denorm_mode_32 3
		.amdhsa_float_denorm_mode_16_64 3
		.amdhsa_fp16_overflow 0
		.amdhsa_memory_ordered 1
		.amdhsa_forward_progress 1
		.amdhsa_inst_pref_size 17
		.amdhsa_round_robin_scheduling 0
		.amdhsa_exception_fp_ieee_invalid_op 0
		.amdhsa_exception_fp_denorm_src 0
		.amdhsa_exception_fp_ieee_div_zero 0
		.amdhsa_exception_fp_ieee_overflow 0
		.amdhsa_exception_fp_ieee_underflow 0
		.amdhsa_exception_fp_ieee_inexact 0
		.amdhsa_exception_int_div_zero 0
	.end_amdhsa_kernel
	.section	.text._ZN9rocsparseL42csr2bsr_wavefront_per_row_multipass_kernelILj256ELj16ELj4EdilEEv20rocsparse_direction_T4_S2_S2_S2_S2_21rocsparse_index_base_PKT2_PKT3_PKS2_S3_PS4_PS7_PS2_,"axG",@progbits,_ZN9rocsparseL42csr2bsr_wavefront_per_row_multipass_kernelILj256ELj16ELj4EdilEEv20rocsparse_direction_T4_S2_S2_S2_S2_21rocsparse_index_base_PKT2_PKT3_PKS2_S3_PS4_PS7_PS2_,comdat
.Lfunc_end127:
	.size	_ZN9rocsparseL42csr2bsr_wavefront_per_row_multipass_kernelILj256ELj16ELj4EdilEEv20rocsparse_direction_T4_S2_S2_S2_S2_21rocsparse_index_base_PKT2_PKT3_PKS2_S3_PS4_PS7_PS2_, .Lfunc_end127-_ZN9rocsparseL42csr2bsr_wavefront_per_row_multipass_kernelILj256ELj16ELj4EdilEEv20rocsparse_direction_T4_S2_S2_S2_S2_21rocsparse_index_base_PKT2_PKT3_PKS2_S3_PS4_PS7_PS2_
                                        ; -- End function
	.set _ZN9rocsparseL42csr2bsr_wavefront_per_row_multipass_kernelILj256ELj16ELj4EdilEEv20rocsparse_direction_T4_S2_S2_S2_S2_21rocsparse_index_base_PKT2_PKT3_PKS2_S3_PS4_PS7_PS2_.num_vgpr, 46
	.set _ZN9rocsparseL42csr2bsr_wavefront_per_row_multipass_kernelILj256ELj16ELj4EdilEEv20rocsparse_direction_T4_S2_S2_S2_S2_21rocsparse_index_base_PKT2_PKT3_PKS2_S3_PS4_PS7_PS2_.num_agpr, 0
	.set _ZN9rocsparseL42csr2bsr_wavefront_per_row_multipass_kernelILj256ELj16ELj4EdilEEv20rocsparse_direction_T4_S2_S2_S2_S2_21rocsparse_index_base_PKT2_PKT3_PKS2_S3_PS4_PS7_PS2_.numbered_sgpr, 41
	.set _ZN9rocsparseL42csr2bsr_wavefront_per_row_multipass_kernelILj256ELj16ELj4EdilEEv20rocsparse_direction_T4_S2_S2_S2_S2_21rocsparse_index_base_PKT2_PKT3_PKS2_S3_PS4_PS7_PS2_.num_named_barrier, 0
	.set _ZN9rocsparseL42csr2bsr_wavefront_per_row_multipass_kernelILj256ELj16ELj4EdilEEv20rocsparse_direction_T4_S2_S2_S2_S2_21rocsparse_index_base_PKT2_PKT3_PKS2_S3_PS4_PS7_PS2_.private_seg_size, 0
	.set _ZN9rocsparseL42csr2bsr_wavefront_per_row_multipass_kernelILj256ELj16ELj4EdilEEv20rocsparse_direction_T4_S2_S2_S2_S2_21rocsparse_index_base_PKT2_PKT3_PKS2_S3_PS4_PS7_PS2_.uses_vcc, 1
	.set _ZN9rocsparseL42csr2bsr_wavefront_per_row_multipass_kernelILj256ELj16ELj4EdilEEv20rocsparse_direction_T4_S2_S2_S2_S2_21rocsparse_index_base_PKT2_PKT3_PKS2_S3_PS4_PS7_PS2_.uses_flat_scratch, 0
	.set _ZN9rocsparseL42csr2bsr_wavefront_per_row_multipass_kernelILj256ELj16ELj4EdilEEv20rocsparse_direction_T4_S2_S2_S2_S2_21rocsparse_index_base_PKT2_PKT3_PKS2_S3_PS4_PS7_PS2_.has_dyn_sized_stack, 0
	.set _ZN9rocsparseL42csr2bsr_wavefront_per_row_multipass_kernelILj256ELj16ELj4EdilEEv20rocsparse_direction_T4_S2_S2_S2_S2_21rocsparse_index_base_PKT2_PKT3_PKS2_S3_PS4_PS7_PS2_.has_recursion, 0
	.set _ZN9rocsparseL42csr2bsr_wavefront_per_row_multipass_kernelILj256ELj16ELj4EdilEEv20rocsparse_direction_T4_S2_S2_S2_S2_21rocsparse_index_base_PKT2_PKT3_PKS2_S3_PS4_PS7_PS2_.has_indirect_call, 0
	.section	.AMDGPU.csdata,"",@progbits
; Kernel info:
; codeLenInByte = 2100
; TotalNumSgprs: 43
; NumVgprs: 46
; ScratchSize: 0
; MemoryBound: 0
; FloatMode: 240
; IeeeMode: 1
; LDSByteSize: 2064 bytes/workgroup (compile time only)
; SGPRBlocks: 0
; VGPRBlocks: 2
; NumSGPRsForWavesPerEU: 43
; NumVGPRsForWavesPerEU: 46
; NamedBarCnt: 0
; Occupancy: 16
; WaveLimiterHint : 0
; COMPUTE_PGM_RSRC2:SCRATCH_EN: 0
; COMPUTE_PGM_RSRC2:USER_SGPR: 2
; COMPUTE_PGM_RSRC2:TRAP_HANDLER: 0
; COMPUTE_PGM_RSRC2:TGID_X_EN: 1
; COMPUTE_PGM_RSRC2:TGID_Y_EN: 0
; COMPUTE_PGM_RSRC2:TGID_Z_EN: 0
; COMPUTE_PGM_RSRC2:TIDIG_COMP_CNT: 0
	.section	.text._ZN9rocsparseL42csr2bsr_wavefront_per_row_multipass_kernelILj256ELj64ELj8EdilEEv20rocsparse_direction_T4_S2_S2_S2_S2_21rocsparse_index_base_PKT2_PKT3_PKS2_S3_PS4_PS7_PS2_,"axG",@progbits,_ZN9rocsparseL42csr2bsr_wavefront_per_row_multipass_kernelILj256ELj64ELj8EdilEEv20rocsparse_direction_T4_S2_S2_S2_S2_21rocsparse_index_base_PKT2_PKT3_PKS2_S3_PS4_PS7_PS2_,comdat
	.globl	_ZN9rocsparseL42csr2bsr_wavefront_per_row_multipass_kernelILj256ELj64ELj8EdilEEv20rocsparse_direction_T4_S2_S2_S2_S2_21rocsparse_index_base_PKT2_PKT3_PKS2_S3_PS4_PS7_PS2_ ; -- Begin function _ZN9rocsparseL42csr2bsr_wavefront_per_row_multipass_kernelILj256ELj64ELj8EdilEEv20rocsparse_direction_T4_S2_S2_S2_S2_21rocsparse_index_base_PKT2_PKT3_PKS2_S3_PS4_PS7_PS2_
	.p2align	8
	.type	_ZN9rocsparseL42csr2bsr_wavefront_per_row_multipass_kernelILj256ELj64ELj8EdilEEv20rocsparse_direction_T4_S2_S2_S2_S2_21rocsparse_index_base_PKT2_PKT3_PKS2_S3_PS4_PS7_PS2_,@function
_ZN9rocsparseL42csr2bsr_wavefront_per_row_multipass_kernelILj256ELj64ELj8EdilEEv20rocsparse_direction_T4_S2_S2_S2_S2_21rocsparse_index_base_PKT2_PKT3_PKS2_S3_PS4_PS7_PS2_: ; @_ZN9rocsparseL42csr2bsr_wavefront_per_row_multipass_kernelILj256ELj64ELj8EdilEEv20rocsparse_direction_T4_S2_S2_S2_S2_21rocsparse_index_base_PKT2_PKT3_PKS2_S3_PS4_PS7_PS2_
; %bb.0:
	s_bfe_u32 s2, ttmp6, 0x4000c
	s_clause 0x1
	s_load_b96 s[8:10], s[0:1], 0x28
	s_load_b64 s[14:15], s[0:1], 0x40
	s_add_co_i32 s2, s2, 1
	s_and_b32 s3, ttmp6, 15
	s_mul_i32 s2, ttmp9, s2
	s_getreg_b32 s4, hwreg(HW_REG_IB_STS2, 6, 4)
	s_add_co_i32 s3, s3, s2
	s_cmp_eq_u32 s4, 0
	v_dual_mov_b32 v25, 0 :: v_dual_lshrrev_b32 v24, 6, v0
	s_cselect_b32 s12, ttmp9, s3
	v_bfe_u32 v8, v0, 3, 3
	s_ashr_i32 s13, s12, 31
	v_mov_b32_e32 v18, 0
	s_lshl_b64 s[2:3], s[12:13], 2
	s_delay_alu instid0(SALU_CYCLE_1) | instskip(SKIP_2) | instid1(VALU_DEP_1)
	v_dual_mov_b32 v9, v25 :: v_dual_bitop2_b32 v1, s2, v24 bitop3:0x54
	s_load_b128 s[4:7], s[0:1], 0x18
	s_wait_kmcnt 0x0
	v_mad_nc_u64_u32 v[2:3], v1, s8, v[8:9]
	s_delay_alu instid0(VALU_DEP_1) | instskip(SKIP_1) | instid1(VALU_DEP_1)
	v_mad_u32 v3, s3, s8, v3
	s_load_b64 s[2:3], s[0:1], 0x8
	v_mad_u32 v3, v1, s9, v3
	s_wait_kmcnt 0x0
	s_delay_alu instid0(VALU_DEP_1) | instskip(SKIP_2) | instid1(SALU_CYCLE_1)
	v_cmp_gt_i64_e32 vcc_lo, s[2:3], v[2:3]
	v_cmp_gt_i64_e64 s2, s[8:9], v[8:9]
	s_and_b32 s3, s2, vcc_lo
	s_and_saveexec_b32 s11, s3
	s_cbranch_execz .LBB128_2
; %bb.1:
	v_lshl_add_u64 v[4:5], v[2:3], 2, s[14:15]
	global_load_b32 v1, v[4:5], off
	s_wait_loadcnt 0x0
	v_subrev_nc_u32_e32 v18, s10, v1
.LBB128_2:
	s_or_b32 exec_lo, exec_lo, s11
	s_and_saveexec_b32 s11, s3
	s_cbranch_execz .LBB128_4
; %bb.3:
	v_lshl_add_u64 v[2:3], v[2:3], 2, s[14:15]
	global_load_b32 v1, v[2:3], off offset:4
	s_wait_loadcnt 0x0
	v_subrev_nc_u32_e32 v25, s10, v1
.LBB128_4:
	s_or_b32 exec_lo, exec_lo, s11
	s_load_b32 s22, s[0:1], 0x50
	v_mov_b32_e32 v5, 0
	v_lshl_or_b32 v4, s12, 2, v24
	s_mov_b32 s3, exec_lo
	s_delay_alu instid0(VALU_DEP_2) | instskip(NEXT) | instid1(VALU_DEP_2)
	v_mov_b32_e32 v2, v5
	v_cmpx_gt_i64_e64 s[4:5], v[4:5]
	s_cbranch_execz .LBB128_6
; %bb.5:
	s_load_b64 s[4:5], s[0:1], 0x60
	s_wait_kmcnt 0x0
	v_lshl_add_u64 v[2:3], v[4:5], 2, s[4:5]
	global_load_b32 v1, v[2:3], off
	s_wait_loadcnt 0x0
	v_subrev_nc_u32_e32 v2, s22, v1
.LBB128_6:
	s_or_b32 exec_lo, exec_lo, s3
	v_cmp_lt_i64_e64 s3, s[6:7], 1
	s_and_b32 vcc_lo, exec_lo, s3
	s_cbranch_vccnz .LBB128_28
; %bb.7:
	v_dual_mov_b32 v4, 0 :: v_dual_bitop2_b32 v6, 7, v0 bitop3:0x40
	v_and_b32_e32 v1, 0x3c0, v0
	v_mbcnt_lo_u32_b32 v5, -1, 0
	v_mul_u64_e32 v[10:11], s[8:9], v[8:9]
	s_delay_alu instid0(VALU_DEP_4)
	v_dual_mov_b32 v7, v4 :: v_dual_lshlrev_b32 v3, 6, v8
	s_clause 0x3
	s_load_b64 s[14:15], s[0:1], 0x48
	s_load_b64 s[18:19], s[0:1], 0x58
	;; [unrolled: 1-line block ×3, first 2 shown]
	s_load_b32 s3, s[0:1], 0x0
	v_dual_mov_b32 v9, v4 :: v_dual_bitop2_b32 v14, 2, v5 bitop3:0x14
	v_mul_u64_e32 v[12:13], s[8:9], v[6:7]
	v_lshl_or_b32 v26, v1, 3, v3
	v_dual_mov_b32 v1, v4 :: v_dual_bitop2_b32 v3, 4, v5 bitop3:0x14
	s_load_b64 s[4:5], s[0:1], 0x68
	v_dual_lshlrev_b32 v0, 3, v8 :: v_dual_lshlrev_b32 v8, 3, v6
	s_delay_alu instid0(VALU_DEP_2)
	v_cmp_gt_i32_e32 vcc_lo, 32, v3
	v_xor_b32_e32 v15, 1, v5
	v_lshl_or_b32 v27, v5, 2, 28
	v_bfrev_b32_e32 v34, 0.5
	s_wait_xcnt 0x0
	s_mov_b32 s1, 0
	v_cndmask_b32_e32 v3, v5, v3, vcc_lo
	v_cmp_gt_i32_e32 vcc_lo, 32, v14
	v_or_b32_e32 v16, 32, v5
	v_or_b32_e32 v28, v26, v8
	s_mul_u64 s[12:13], s[8:9], s[8:9]
	s_wait_kmcnt 0x0
	s_cmp_lg_u32 s3, 0
	v_cndmask_b32_e32 v14, v5, v14, vcc_lo
	v_cmp_gt_i32_e32 vcc_lo, 32, v15
	v_xor_b32_e32 v17, 16, v5
	v_cmp_gt_i32_e64 s0, 32, v16
	s_mov_b32 s11, s1
	s_cselect_b32 s23, -1, 0
	v_cndmask_b32_e32 v15, v5, v15, vcc_lo
	v_cmp_gt_u64_e32 vcc_lo, s[8:9], v[6:7]
	v_dual_lshlrev_b32 v7, 2, v3 :: v_dual_lshlrev_b32 v29, 2, v14
	v_dual_cndmask_b32 v14, v5, v16, s0 :: v_dual_bitop2_b32 v3, 8, v5 bitop3:0x14
	v_cmp_gt_i32_e64 s0, 32, v17
	v_lshlrev_b32_e32 v30, 2, v15
	v_lshl_add_u64 v[10:11], v[10:11], 3, s[18:19]
	v_lshl_add_u64 v[12:13], v[12:13], 3, s[18:19]
	s_and_b32 s24, s2, vcc_lo
	v_cndmask_b32_e64 v15, v5, v17, s0
	v_cmp_gt_i32_e64 s0, 32, v3
	v_add_nc_u64_e32 v[8:9], v[10:11], v[8:9]
	v_add_nc_u64_e32 v[0:1], v[12:13], v[0:1]
	v_mov_b64_e32 v[10:11], 0
	s_delay_alu instid0(VALU_DEP_4) | instskip(SKIP_3) | instid1(VALU_DEP_3)
	v_dual_mov_b32 v35, 1 :: v_dual_cndmask_b32 v3, v5, v3, s0
	v_dual_lshlrev_b32 v31, 2, v14 :: v_dual_lshlrev_b32 v32, 2, v15
	v_mov_b64_e32 v[14:15], 0
	s_mov_b64 s[2:3], 0xffffffff
	v_dual_lshlrev_b32 v33, 2, v3 :: v_dual_mov_b32 v3, 0
	s_ashr_i32 s18, s9, 31
	s_sub_co_i32 s25, 0, s8
	s_mov_b32 s26, 0
	s_branch .LBB128_10
.LBB128_8:                              ;   in Loop: Header=BB128_10 Depth=1
	s_wait_xcnt 0x0
	s_or_b32 exec_lo, exec_lo, s19
	v_mov_b32_e32 v5, 1
.LBB128_9:                              ;   in Loop: Header=BB128_10 Depth=1
	s_or_b32 exec_lo, exec_lo, s0
	ds_bpermute_b32 v14, v31, v12
	ds_bpermute_b32 v15, v31, v13
	v_add_nc_u32_e32 v2, v5, v2
	s_wait_storecnt_dscnt 0x0
	v_min_i64 v[12:13], v[14:15], v[12:13]
	ds_bpermute_b32 v14, v32, v12
	ds_bpermute_b32 v15, v32, v13
	s_wait_dscnt 0x0
	v_min_i64 v[12:13], v[14:15], v[12:13]
	ds_bpermute_b32 v14, v33, v12
	ds_bpermute_b32 v15, v33, v13
	s_wait_dscnt 0x0
	;; [unrolled: 4-line block ×5, first 2 shown]
	v_min_i64 v[12:13], v[14:15], v[12:13]
	ds_bpermute_b32 v14, v34, v12
	s_wait_dscnt 0x0
	v_dual_ashrrev_i32 v15, 31, v14 :: v_dual_mov_b32 v3, v14
	s_delay_alu instid0(VALU_DEP_1) | instskip(SKIP_1) | instid1(SALU_CYCLE_1)
	v_cmp_le_i64_e32 vcc_lo, s[6:7], v[14:15]
	s_or_b32 s26, vcc_lo, s26
	s_and_not1_b32 exec_lo, exec_lo, s26
	s_cbranch_execz .LBB128_28
.LBB128_10:                             ; =>This Loop Header: Depth=1
                                        ;     Child Loop BB128_13 Depth 2
	v_mov_b64_e32 v[12:13], s[6:7]
	v_dual_mov_b32 v5, v25 :: v_dual_add_nc_u32 v16, v18, v6
	s_mov_b32 s27, exec_lo
	ds_store_b8 v24, v4 offset:2048
	ds_store_b64 v28, v[10:11]
	s_wait_dscnt 0x0
	v_cmpx_lt_i32_e64 v16, v25
	s_cbranch_execz .LBB128_22
; %bb.11:                               ;   in Loop: Header=BB128_10 Depth=1
	v_mul_u64_e32 v[18:19], s[8:9], v[14:15]
	v_mov_b64_e32 v[12:13], s[6:7]
	v_mov_b32_e32 v19, v25
	s_mov_b32 s28, 0
	s_branch .LBB128_13
.LBB128_12:                             ;   in Loop: Header=BB128_13 Depth=2
	s_wait_xcnt 0x0
	s_or_b32 exec_lo, exec_lo, s0
	v_dual_mov_b32 v19, v5 :: v_dual_add_nc_u32 v16, 8, v16
	s_xor_b32 s19, vcc_lo, -1
	s_delay_alu instid0(VALU_DEP_1) | instskip(SKIP_1) | instid1(SALU_CYCLE_1)
	v_cmp_ge_i32_e64 s0, v16, v25
	s_or_b32 s0, s19, s0
	s_and_b32 s0, exec_lo, s0
	s_delay_alu instid0(SALU_CYCLE_1) | instskip(NEXT) | instid1(SALU_CYCLE_1)
	s_or_b32 s28, s0, s28
	s_and_not1_b32 exec_lo, exec_lo, s28
	s_cbranch_execz .LBB128_21
.LBB128_13:                             ;   Parent Loop BB128_10 Depth=1
                                        ; =>  This Inner Loop Header: Depth=2
	global_load_b64 v[20:21], v16, s[14:15] scale_offset
                                        ; implicit-def: $vgpr22_vgpr23
	s_mov_b32 s0, exec_lo
	s_wait_loadcnt 0x0
	v_sub_nc_u64_e64 v[20:21], v[20:21], s[10:11]
	s_delay_alu instid0(VALU_DEP_1) | instskip(SKIP_1) | instid1(VALU_DEP_1)
	v_or_b32_e32 v5, s9, v21
	s_wait_xcnt 0x0
	v_cmpx_ne_u64_e32 0, v[4:5]
	s_xor_b32 s29, exec_lo, s0
	s_cbranch_execz .LBB128_15
; %bb.14:                               ;   in Loop: Header=BB128_13 Depth=2
	s_mov_b32 s19, s18
	v_dual_mov_b32 v39, v4 :: v_dual_ashrrev_i32 v22, 31, v21
	s_add_nc_u64 s[20:21], s[8:9], s[18:19]
	s_delay_alu instid0(SALU_CYCLE_1) | instskip(NEXT) | instid1(VALU_DEP_1)
	s_xor_b64 s[20:21], s[20:21], s[18:19]
	v_mov_b32_e32 v23, v22
	s_cvt_f32_u32 s0, s20
	s_cvt_f32_u32 s19, s21
	s_sub_nc_u64 s[34:35], 0, s[20:21]
	s_delay_alu instid0(VALU_DEP_1) | instskip(NEXT) | instid1(SALU_CYCLE_1)
	v_add_nc_u64_e32 v[36:37], v[20:21], v[22:23]
	s_fmamk_f32 s0, s19, 0x4f800000, s0
	v_mov_b32_e32 v43, v4
	s_delay_alu instid0(SALU_CYCLE_2) | instskip(NEXT) | instid1(VALU_DEP_2)
	v_s_rcp_f32 s0, s0
	v_xor_b32_e32 v38, v36, v22
	s_delay_alu instid0(VALU_DEP_3) | instskip(NEXT) | instid1(TRANS32_DEP_1)
	v_dual_mov_b32 v47, v4 :: v_dual_bitop2_b32 v42, v37, v22 bitop3:0x14
	s_mul_f32 s0, s0, 0x5f7ffffc
	s_delay_alu instid0(SALU_CYCLE_3) | instskip(NEXT) | instid1(SALU_CYCLE_3)
	s_mul_f32 s19, s0, 0x2f800000
	s_trunc_f32 s19, s19
	s_delay_alu instid0(SALU_CYCLE_3) | instskip(SKIP_1) | instid1(SALU_CYCLE_2)
	s_fmamk_f32 s0, s19, 0xcf800000, s0
	s_cvt_u32_f32 s31, s19
	s_cvt_u32_f32 s30, s0
	s_delay_alu instid0(SALU_CYCLE_3) | instskip(NEXT) | instid1(SALU_CYCLE_1)
	s_mul_u64 s[36:37], s[34:35], s[30:31]
	s_mul_hi_u32 s39, s30, s37
	s_mul_i32 s38, s30, s37
	s_mul_hi_u32 s0, s30, s36
	s_mul_i32 s33, s31, s36
	s_add_nc_u64 s[38:39], s[0:1], s[38:39]
	s_mul_hi_u32 s19, s31, s36
	s_mul_hi_u32 s40, s31, s37
	s_add_co_u32 s0, s38, s33
	s_add_co_ci_u32 s0, s39, s19
	s_mul_i32 s36, s31, s37
	s_add_co_ci_u32 s37, s40, 0
	s_delay_alu instid0(SALU_CYCLE_1) | instskip(NEXT) | instid1(SALU_CYCLE_1)
	s_add_nc_u64 s[36:37], s[0:1], s[36:37]
	s_add_co_u32 s30, s30, s36
	s_cselect_b32 s0, -1, 0
	s_delay_alu instid0(SALU_CYCLE_1) | instskip(SKIP_1) | instid1(SALU_CYCLE_1)
	s_cmp_lg_u32 s0, 0
	s_add_co_ci_u32 s31, s31, s37
	s_mul_u64 s[34:35], s[34:35], s[30:31]
	s_delay_alu instid0(SALU_CYCLE_1)
	s_mul_hi_u32 s37, s30, s35
	s_mul_i32 s36, s30, s35
	s_mul_hi_u32 s0, s30, s34
	s_mul_i32 s33, s31, s34
	s_add_nc_u64 s[36:37], s[0:1], s[36:37]
	s_mul_hi_u32 s19, s31, s34
	s_mul_hi_u32 s38, s31, s35
	s_add_co_u32 s0, s36, s33
	s_add_co_ci_u32 s0, s37, s19
	s_mul_i32 s34, s31, s35
	s_add_co_ci_u32 s35, s38, 0
	s_delay_alu instid0(SALU_CYCLE_1) | instskip(NEXT) | instid1(SALU_CYCLE_1)
	s_add_nc_u64 s[34:35], s[0:1], s[34:35]
	s_add_co_u32 s30, s30, s34
	s_cselect_b32 s0, -1, 0
	v_mul_hi_u32 v46, v38, s30
	s_cmp_lg_u32 s0, 0
	s_add_co_ci_u32 s0, s31, s35
	s_and_b64 s[34:35], s[30:31], s[2:3]
	v_mul_u64_e32 v[40:41], s[0:1], v[38:39]
	v_mul_u64_e32 v[36:37], s[34:35], v[42:43]
	;; [unrolled: 1-line block ×3, first 2 shown]
	s_delay_alu instid0(VALU_DEP_3) | instskip(NEXT) | instid1(VALU_DEP_1)
	v_add_nc_u64_e32 v[40:41], v[46:47], v[40:41]
	v_add_co_u32 v5, vcc_lo, v40, v36
	s_delay_alu instid0(VALU_DEP_2) | instskip(NEXT) | instid1(VALU_DEP_4)
	v_add_co_ci_u32_e32 v46, vcc_lo, v41, v37, vcc_lo
	v_add_co_ci_u32_e32 v45, vcc_lo, 0, v45, vcc_lo
	s_delay_alu instid0(VALU_DEP_1) | instskip(NEXT) | instid1(VALU_DEP_1)
	v_add_nc_u64_e32 v[36:37], v[46:47], v[44:45]
	v_mul_u64_e32 v[40:41], s[20:21], v[36:37]
	s_delay_alu instid0(VALU_DEP_1) | instskip(NEXT) | instid1(VALU_DEP_2)
	v_sub_nc_u32_e32 v5, v42, v41
	v_sub_co_u32 v17, vcc_lo, v38, v40
	s_delay_alu instid0(VALU_DEP_1) | instskip(NEXT) | instid1(VALU_DEP_3)
	v_sub_co_ci_u32_e64 v23, null, v42, v41, vcc_lo
	v_subrev_co_ci_u32_e64 v5, null, s21, v5, vcc_lo
	s_delay_alu instid0(VALU_DEP_3) | instskip(SKIP_1) | instid1(VALU_DEP_3)
	v_sub_co_u32 v21, s0, v17, s20
	v_add_nc_u64_e32 v[40:41], 1, v[36:37]
	v_subrev_co_ci_u32_e64 v5, null, 0, v5, s0
	s_delay_alu instid0(VALU_DEP_3) | instskip(SKIP_1) | instid1(VALU_DEP_3)
	v_cmp_le_u32_e32 vcc_lo, s20, v21
	v_cndmask_b32_e64 v21, 0, -1, vcc_lo
	v_cmp_le_u32_e32 vcc_lo, s21, v5
	v_cndmask_b32_e64 v38, 0, -1, vcc_lo
	;; [unrolled: 2-line block ×4, first 2 shown]
	v_cmp_eq_u32_e32 vcc_lo, s21, v5
	v_cndmask_b32_e32 v5, v38, v21, vcc_lo
	v_cmp_eq_u32_e32 vcc_lo, s21, v23
	v_add_nc_u64_e32 v[38:39], 2, v[36:37]
	v_cndmask_b32_e32 v17, v42, v17, vcc_lo
	s_delay_alu instid0(VALU_DEP_4) | instskip(NEXT) | instid1(VALU_DEP_3)
	v_cmp_ne_u32_e32 vcc_lo, 0, v5
	v_cndmask_b32_e32 v5, v41, v39, vcc_lo
	s_delay_alu instid0(VALU_DEP_3) | instskip(SKIP_1) | instid1(VALU_DEP_2)
	v_cmp_ne_u32_e64 s0, 0, v17
	v_cndmask_b32_e32 v17, v40, v38, vcc_lo
	v_dual_cndmask_b32 v5, v37, v5, s0 :: v_dual_bitop2_b32 v22, s18, v22 bitop3:0x14
	s_delay_alu instid0(VALU_DEP_1) | instskip(NEXT) | instid1(VALU_DEP_2)
	v_dual_cndmask_b32 v17, v36, v17, s0 :: v_dual_mov_b32 v23, v22
	v_xor_b32_e32 v37, v5, v22
	s_delay_alu instid0(VALU_DEP_2) | instskip(NEXT) | instid1(VALU_DEP_1)
	v_xor_b32_e32 v36, v17, v22
	v_sub_nc_u64_e32 v[22:23], v[36:37], v[22:23]
.LBB128_15:                             ;   in Loop: Header=BB128_13 Depth=2
	s_and_not1_saveexec_b32 s0, s29
	s_cbranch_execz .LBB128_17
; %bb.16:                               ;   in Loop: Header=BB128_13 Depth=2
	v_cvt_f32_u32_e32 v5, s8
	v_mov_b32_e32 v23, v4
	s_delay_alu instid0(VALU_DEP_2) | instskip(SKIP_1) | instid1(TRANS32_DEP_1)
	v_rcp_iflag_f32_e32 v5, v5
	v_nop
	v_mul_f32_e32 v5, 0x4f7ffffe, v5
	s_delay_alu instid0(VALU_DEP_1) | instskip(NEXT) | instid1(VALU_DEP_1)
	v_cvt_u32_f32_e32 v5, v5
	v_mul_lo_u32 v17, s25, v5
	s_delay_alu instid0(VALU_DEP_1) | instskip(NEXT) | instid1(VALU_DEP_1)
	v_mul_hi_u32 v17, v5, v17
	v_add_nc_u32_e32 v5, v5, v17
	s_delay_alu instid0(VALU_DEP_1) | instskip(NEXT) | instid1(VALU_DEP_1)
	v_mul_hi_u32 v5, v20, v5
	v_mul_lo_u32 v17, v5, s8
	s_delay_alu instid0(VALU_DEP_1) | instskip(NEXT) | instid1(VALU_DEP_1)
	v_sub_nc_u32_e32 v17, v20, v17
	v_subrev_nc_u32_e32 v22, s8, v17
	v_cmp_le_u32_e32 vcc_lo, s8, v17
	s_delay_alu instid0(VALU_DEP_2) | instskip(NEXT) | instid1(VALU_DEP_1)
	v_dual_add_nc_u32 v21, 1, v5 :: v_dual_cndmask_b32 v17, v17, v22, vcc_lo
	v_cndmask_b32_e32 v5, v5, v21, vcc_lo
	s_delay_alu instid0(VALU_DEP_2) | instskip(NEXT) | instid1(VALU_DEP_2)
	v_cmp_le_u32_e32 vcc_lo, s8, v17
	v_add_nc_u32_e32 v21, 1, v5
	s_delay_alu instid0(VALU_DEP_1)
	v_cndmask_b32_e32 v22, v5, v21, vcc_lo
.LBB128_17:                             ;   in Loop: Header=BB128_13 Depth=2
	s_or_b32 exec_lo, exec_lo, s0
	s_delay_alu instid0(VALU_DEP_1) | instskip(SKIP_2) | instid1(SALU_CYCLE_1)
	v_cmp_ne_u64_e64 s0, v[22:23], v[14:15]
	v_cmp_eq_u64_e32 vcc_lo, v[22:23], v[14:15]
	s_and_saveexec_b32 s19, s0
	s_xor_b32 s0, exec_lo, s19
; %bb.18:                               ;   in Loop: Header=BB128_13 Depth=2
	v_min_i64 v[12:13], v[22:23], v[12:13]
                                        ; implicit-def: $vgpr20_vgpr21
                                        ; implicit-def: $vgpr19
; %bb.19:                               ;   in Loop: Header=BB128_13 Depth=2
	s_or_saveexec_b32 s0, s0
	v_mov_b32_e32 v5, v16
	s_xor_b32 exec_lo, exec_lo, s0
	s_cbranch_execz .LBB128_12
; %bb.20:                               ;   in Loop: Header=BB128_13 Depth=2
	v_dual_ashrrev_i32 v17, 31, v16 :: v_dual_sub_nc_u32 v5, v20, v18
	s_delay_alu instid0(VALU_DEP_1) | instskip(NEXT) | instid1(VALU_DEP_2)
	v_lshl_add_u64 v[22:23], v[16:17], 3, s[16:17]
	v_lshl_add_u32 v17, v5, 3, v26
	v_mov_b32_e32 v5, v19
	global_load_b64 v[22:23], v[22:23], off
	ds_store_b8 v24, v35 offset:2048
	s_wait_loadcnt 0x0
	ds_store_b64 v17, v[22:23]
	s_branch .LBB128_12
.LBB128_21:                             ;   in Loop: Header=BB128_10 Depth=1
	s_or_b32 exec_lo, exec_lo, s28
.LBB128_22:                             ;   in Loop: Header=BB128_10 Depth=1
	s_delay_alu instid0(SALU_CYCLE_1)
	s_or_b32 exec_lo, exec_lo, s27
	ds_bpermute_b32 v14, v7, v5
	s_wait_dscnt 0x0
	ds_load_u8 v15, v24 offset:2048
	v_min_i32_e32 v5, v14, v5
	ds_bpermute_b32 v14, v29, v5
	s_wait_dscnt 0x0
	v_min_i32_e32 v5, v14, v5
	ds_bpermute_b32 v14, v30, v5
	s_wait_dscnt 0x0
	v_min_i32_e32 v5, v14, v5
	ds_bpermute_b32 v18, v27, v5
	v_and_b32_e32 v5, 1, v15
	s_delay_alu instid0(VALU_DEP_1)
	v_cmp_eq_u32_e32 vcc_lo, 1, v5
	v_mov_b32_e32 v5, 0
	s_and_saveexec_b32 s0, vcc_lo
	s_cbranch_execz .LBB128_9
; %bb.23:                               ;   in Loop: Header=BB128_10 Depth=1
	v_add_nc_u32_e32 v14, s22, v3
	s_delay_alu instid0(VALU_DEP_1)
	v_ashrrev_i32_e32 v15, 31, v14
	global_store_b64 v2, v[14:15], s[4:5] scale_offset
	s_wait_xcnt 0x0
	s_and_saveexec_b32 s19, s24
	s_cbranch_execz .LBB128_8
; %bb.24:                               ;   in Loop: Header=BB128_10 Depth=1
	v_ashrrev_i32_e32 v3, 31, v2
	ds_load_b64 v[16:17], v28
	s_and_b32 vcc_lo, exec_lo, s23
	v_mul_u64_e32 v[14:15], s[12:13], v[2:3]
	s_cbranch_vccz .LBB128_26
; %bb.25:                               ;   in Loop: Header=BB128_10 Depth=1
	s_delay_alu instid0(VALU_DEP_1)
	v_lshl_add_u64 v[20:21], v[14:15], 3, v[0:1]
	s_wait_dscnt 0x0
	global_store_b64 v[20:21], v[16:17], off
	s_cbranch_execnz .LBB128_8
	s_branch .LBB128_27
.LBB128_26:                             ;   in Loop: Header=BB128_10 Depth=1
.LBB128_27:                             ;   in Loop: Header=BB128_10 Depth=1
	s_delay_alu instid0(VALU_DEP_1)
	v_lshl_add_u64 v[14:15], v[14:15], 3, v[8:9]
	s_wait_dscnt 0x0
	global_store_b64 v[14:15], v[16:17], off
	s_branch .LBB128_8
.LBB128_28:
	s_endpgm
	.section	.rodata,"a",@progbits
	.p2align	6, 0x0
	.amdhsa_kernel _ZN9rocsparseL42csr2bsr_wavefront_per_row_multipass_kernelILj256ELj64ELj8EdilEEv20rocsparse_direction_T4_S2_S2_S2_S2_21rocsparse_index_base_PKT2_PKT3_PKS2_S3_PS4_PS7_PS2_
		.amdhsa_group_segment_fixed_size 2056
		.amdhsa_private_segment_fixed_size 0
		.amdhsa_kernarg_size 112
		.amdhsa_user_sgpr_count 2
		.amdhsa_user_sgpr_dispatch_ptr 0
		.amdhsa_user_sgpr_queue_ptr 0
		.amdhsa_user_sgpr_kernarg_segment_ptr 1
		.amdhsa_user_sgpr_dispatch_id 0
		.amdhsa_user_sgpr_kernarg_preload_length 0
		.amdhsa_user_sgpr_kernarg_preload_offset 0
		.amdhsa_user_sgpr_private_segment_size 0
		.amdhsa_wavefront_size32 1
		.amdhsa_uses_dynamic_stack 0
		.amdhsa_enable_private_segment 0
		.amdhsa_system_sgpr_workgroup_id_x 1
		.amdhsa_system_sgpr_workgroup_id_y 0
		.amdhsa_system_sgpr_workgroup_id_z 0
		.amdhsa_system_sgpr_workgroup_info 0
		.amdhsa_system_vgpr_workitem_id 0
		.amdhsa_next_free_vgpr 48
		.amdhsa_next_free_sgpr 41
		.amdhsa_named_barrier_count 0
		.amdhsa_reserve_vcc 1
		.amdhsa_float_round_mode_32 0
		.amdhsa_float_round_mode_16_64 0
		.amdhsa_float_denorm_mode_32 3
		.amdhsa_float_denorm_mode_16_64 3
		.amdhsa_fp16_overflow 0
		.amdhsa_memory_ordered 1
		.amdhsa_forward_progress 1
		.amdhsa_inst_pref_size 18
		.amdhsa_round_robin_scheduling 0
		.amdhsa_exception_fp_ieee_invalid_op 0
		.amdhsa_exception_fp_denorm_src 0
		.amdhsa_exception_fp_ieee_div_zero 0
		.amdhsa_exception_fp_ieee_overflow 0
		.amdhsa_exception_fp_ieee_underflow 0
		.amdhsa_exception_fp_ieee_inexact 0
		.amdhsa_exception_int_div_zero 0
	.end_amdhsa_kernel
	.section	.text._ZN9rocsparseL42csr2bsr_wavefront_per_row_multipass_kernelILj256ELj64ELj8EdilEEv20rocsparse_direction_T4_S2_S2_S2_S2_21rocsparse_index_base_PKT2_PKT3_PKS2_S3_PS4_PS7_PS2_,"axG",@progbits,_ZN9rocsparseL42csr2bsr_wavefront_per_row_multipass_kernelILj256ELj64ELj8EdilEEv20rocsparse_direction_T4_S2_S2_S2_S2_21rocsparse_index_base_PKT2_PKT3_PKS2_S3_PS4_PS7_PS2_,comdat
.Lfunc_end128:
	.size	_ZN9rocsparseL42csr2bsr_wavefront_per_row_multipass_kernelILj256ELj64ELj8EdilEEv20rocsparse_direction_T4_S2_S2_S2_S2_21rocsparse_index_base_PKT2_PKT3_PKS2_S3_PS4_PS7_PS2_, .Lfunc_end128-_ZN9rocsparseL42csr2bsr_wavefront_per_row_multipass_kernelILj256ELj64ELj8EdilEEv20rocsparse_direction_T4_S2_S2_S2_S2_21rocsparse_index_base_PKT2_PKT3_PKS2_S3_PS4_PS7_PS2_
                                        ; -- End function
	.set _ZN9rocsparseL42csr2bsr_wavefront_per_row_multipass_kernelILj256ELj64ELj8EdilEEv20rocsparse_direction_T4_S2_S2_S2_S2_21rocsparse_index_base_PKT2_PKT3_PKS2_S3_PS4_PS7_PS2_.num_vgpr, 48
	.set _ZN9rocsparseL42csr2bsr_wavefront_per_row_multipass_kernelILj256ELj64ELj8EdilEEv20rocsparse_direction_T4_S2_S2_S2_S2_21rocsparse_index_base_PKT2_PKT3_PKS2_S3_PS4_PS7_PS2_.num_agpr, 0
	.set _ZN9rocsparseL42csr2bsr_wavefront_per_row_multipass_kernelILj256ELj64ELj8EdilEEv20rocsparse_direction_T4_S2_S2_S2_S2_21rocsparse_index_base_PKT2_PKT3_PKS2_S3_PS4_PS7_PS2_.numbered_sgpr, 41
	.set _ZN9rocsparseL42csr2bsr_wavefront_per_row_multipass_kernelILj256ELj64ELj8EdilEEv20rocsparse_direction_T4_S2_S2_S2_S2_21rocsparse_index_base_PKT2_PKT3_PKS2_S3_PS4_PS7_PS2_.num_named_barrier, 0
	.set _ZN9rocsparseL42csr2bsr_wavefront_per_row_multipass_kernelILj256ELj64ELj8EdilEEv20rocsparse_direction_T4_S2_S2_S2_S2_21rocsparse_index_base_PKT2_PKT3_PKS2_S3_PS4_PS7_PS2_.private_seg_size, 0
	.set _ZN9rocsparseL42csr2bsr_wavefront_per_row_multipass_kernelILj256ELj64ELj8EdilEEv20rocsparse_direction_T4_S2_S2_S2_S2_21rocsparse_index_base_PKT2_PKT3_PKS2_S3_PS4_PS7_PS2_.uses_vcc, 1
	.set _ZN9rocsparseL42csr2bsr_wavefront_per_row_multipass_kernelILj256ELj64ELj8EdilEEv20rocsparse_direction_T4_S2_S2_S2_S2_21rocsparse_index_base_PKT2_PKT3_PKS2_S3_PS4_PS7_PS2_.uses_flat_scratch, 0
	.set _ZN9rocsparseL42csr2bsr_wavefront_per_row_multipass_kernelILj256ELj64ELj8EdilEEv20rocsparse_direction_T4_S2_S2_S2_S2_21rocsparse_index_base_PKT2_PKT3_PKS2_S3_PS4_PS7_PS2_.has_dyn_sized_stack, 0
	.set _ZN9rocsparseL42csr2bsr_wavefront_per_row_multipass_kernelILj256ELj64ELj8EdilEEv20rocsparse_direction_T4_S2_S2_S2_S2_21rocsparse_index_base_PKT2_PKT3_PKS2_S3_PS4_PS7_PS2_.has_recursion, 0
	.set _ZN9rocsparseL42csr2bsr_wavefront_per_row_multipass_kernelILj256ELj64ELj8EdilEEv20rocsparse_direction_T4_S2_S2_S2_S2_21rocsparse_index_base_PKT2_PKT3_PKS2_S3_PS4_PS7_PS2_.has_indirect_call, 0
	.section	.AMDGPU.csdata,"",@progbits
; Kernel info:
; codeLenInByte = 2212
; TotalNumSgprs: 43
; NumVgprs: 48
; ScratchSize: 0
; MemoryBound: 0
; FloatMode: 240
; IeeeMode: 1
; LDSByteSize: 2056 bytes/workgroup (compile time only)
; SGPRBlocks: 0
; VGPRBlocks: 2
; NumSGPRsForWavesPerEU: 43
; NumVGPRsForWavesPerEU: 48
; NamedBarCnt: 0
; Occupancy: 16
; WaveLimiterHint : 0
; COMPUTE_PGM_RSRC2:SCRATCH_EN: 0
; COMPUTE_PGM_RSRC2:USER_SGPR: 2
; COMPUTE_PGM_RSRC2:TRAP_HANDLER: 0
; COMPUTE_PGM_RSRC2:TGID_X_EN: 1
; COMPUTE_PGM_RSRC2:TGID_Y_EN: 0
; COMPUTE_PGM_RSRC2:TGID_Z_EN: 0
; COMPUTE_PGM_RSRC2:TIDIG_COMP_CNT: 0
	.section	.text._ZN9rocsparseL42csr2bsr_wavefront_per_row_multipass_kernelILj256ELj32ELj8EdilEEv20rocsparse_direction_T4_S2_S2_S2_S2_21rocsparse_index_base_PKT2_PKT3_PKS2_S3_PS4_PS7_PS2_,"axG",@progbits,_ZN9rocsparseL42csr2bsr_wavefront_per_row_multipass_kernelILj256ELj32ELj8EdilEEv20rocsparse_direction_T4_S2_S2_S2_S2_21rocsparse_index_base_PKT2_PKT3_PKS2_S3_PS4_PS7_PS2_,comdat
	.globl	_ZN9rocsparseL42csr2bsr_wavefront_per_row_multipass_kernelILj256ELj32ELj8EdilEEv20rocsparse_direction_T4_S2_S2_S2_S2_21rocsparse_index_base_PKT2_PKT3_PKS2_S3_PS4_PS7_PS2_ ; -- Begin function _ZN9rocsparseL42csr2bsr_wavefront_per_row_multipass_kernelILj256ELj32ELj8EdilEEv20rocsparse_direction_T4_S2_S2_S2_S2_21rocsparse_index_base_PKT2_PKT3_PKS2_S3_PS4_PS7_PS2_
	.p2align	8
	.type	_ZN9rocsparseL42csr2bsr_wavefront_per_row_multipass_kernelILj256ELj32ELj8EdilEEv20rocsparse_direction_T4_S2_S2_S2_S2_21rocsparse_index_base_PKT2_PKT3_PKS2_S3_PS4_PS7_PS2_,@function
_ZN9rocsparseL42csr2bsr_wavefront_per_row_multipass_kernelILj256ELj32ELj8EdilEEv20rocsparse_direction_T4_S2_S2_S2_S2_21rocsparse_index_base_PKT2_PKT3_PKS2_S3_PS4_PS7_PS2_: ; @_ZN9rocsparseL42csr2bsr_wavefront_per_row_multipass_kernelILj256ELj32ELj8EdilEEv20rocsparse_direction_T4_S2_S2_S2_S2_21rocsparse_index_base_PKT2_PKT3_PKS2_S3_PS4_PS7_PS2_
; %bb.0:
	s_bfe_u32 s2, ttmp6, 0x4000c
	s_clause 0x1
	s_load_b96 s[8:10], s[0:1], 0x28
	s_load_b64 s[14:15], s[0:1], 0x40
	s_add_co_i32 s2, s2, 1
	s_and_b32 s3, ttmp6, 15
	s_mul_i32 s2, ttmp9, s2
	s_getreg_b32 s4, hwreg(HW_REG_IB_STS2, 6, 4)
	s_add_co_i32 s3, s3, s2
	s_cmp_eq_u32 s4, 0
	v_dual_mov_b32 v29, 0 :: v_dual_lshrrev_b32 v28, 5, v0
	s_cselect_b32 s12, ttmp9, s3
	v_bfe_u32 v6, v0, 2, 3
	s_ashr_i32 s13, s12, 31
	v_mov_b32_e32 v24, 0
	s_lshl_b64 s[2:3], s[12:13], 3
	s_delay_alu instid0(SALU_CYCLE_1) | instskip(SKIP_2) | instid1(VALU_DEP_1)
	v_dual_mov_b32 v7, v29 :: v_dual_bitop2_b32 v1, s2, v28 bitop3:0x54
	s_load_b128 s[4:7], s[0:1], 0x18
	s_wait_kmcnt 0x0
	v_mad_nc_u64_u32 v[2:3], v1, s8, v[6:7]
	s_delay_alu instid0(VALU_DEP_1) | instskip(SKIP_1) | instid1(VALU_DEP_1)
	v_mad_u32 v3, s3, s8, v3
	s_load_b64 s[2:3], s[0:1], 0x8
	v_mad_u32 v3, v1, s9, v3
	s_wait_kmcnt 0x0
	s_delay_alu instid0(VALU_DEP_1) | instskip(SKIP_2) | instid1(SALU_CYCLE_1)
	v_cmp_gt_i64_e32 vcc_lo, s[2:3], v[2:3]
	v_cmp_gt_i64_e64 s2, s[8:9], v[6:7]
	s_and_b32 s3, s2, vcc_lo
	s_and_saveexec_b32 s11, s3
	s_cbranch_execz .LBB129_2
; %bb.1:
	v_lshl_add_u64 v[4:5], v[2:3], 2, s[14:15]
	global_load_b32 v1, v[4:5], off
	s_wait_loadcnt 0x0
	v_subrev_nc_u32_e32 v24, s10, v1
.LBB129_2:
	s_or_b32 exec_lo, exec_lo, s11
	s_and_saveexec_b32 s11, s3
	s_cbranch_execz .LBB129_4
; %bb.3:
	v_lshl_add_u64 v[2:3], v[2:3], 2, s[14:15]
	global_load_b32 v1, v[2:3], off offset:4
	s_wait_loadcnt 0x0
	v_subrev_nc_u32_e32 v29, s10, v1
.LBB129_4:
	s_or_b32 exec_lo, exec_lo, s11
	s_load_b32 s24, s[0:1], 0x50
	v_mov_b32_e32 v5, 0
	v_lshl_or_b32 v4, s12, 3, v28
	s_mov_b32 s3, exec_lo
	s_delay_alu instid0(VALU_DEP_2) | instskip(NEXT) | instid1(VALU_DEP_2)
	v_mov_b32_e32 v2, v5
	v_cmpx_gt_i64_e64 s[4:5], v[4:5]
	s_cbranch_execz .LBB129_6
; %bb.5:
	s_load_b64 s[4:5], s[0:1], 0x60
	s_wait_kmcnt 0x0
	v_lshl_add_u64 v[2:3], v[4:5], 2, s[4:5]
	global_load_b32 v1, v[2:3], off
	s_wait_loadcnt 0x0
	v_subrev_nc_u32_e32 v2, s24, v1
.LBB129_6:
	s_or_b32 exec_lo, exec_lo, s3
	v_cmp_lt_i64_e64 s3, s[6:7], 1
	s_and_b32 vcc_lo, exec_lo, s3
	s_cbranch_vccnz .LBB129_33
; %bb.7:
	s_clause 0x1
	s_load_b64 s[18:19], s[0:1], 0x58
	s_load_b64 s[4:5], s[0:1], 0x68
	v_dual_lshlrev_b32 v8, 3, v6 :: v_dual_mov_b32 v4, 0
	v_dual_lshlrev_b32 v1, 6, v6 :: v_dual_bitop2_b32 v0, 3, v0 bitop3:0x40
	v_mbcnt_lo_u32_b32 v3, -1, 0
	v_mul_u64_e32 v[12:13], s[8:9], v[6:7]
	s_delay_alu instid0(VALU_DEP_4) | instskip(NEXT) | instid1(VALU_DEP_4)
	v_mov_b32_e32 v9, v4
	v_lshl_or_b32 v30, v28, 9, v1
	v_dual_mov_b32 v15, v4 :: v_dual_bitop2_b32 v14, 4, v0 bitop3:0x54
	v_xor_b32_e32 v1, 2, v3
	v_xor_b32_e32 v16, 8, v3
	s_clause 0x2
	s_load_b64 s[14:15], s[0:1], 0x48
	s_load_b64 s[16:17], s[0:1], 0x38
	s_load_b32 s20, s[0:1], 0x0
	v_lshl_or_b32 v34, v3, 2, 12
	v_mul_u64_e32 v[10:11], s[8:9], v[14:15]
	v_cmp_gt_i32_e32 vcc_lo, 32, v1
	v_xor_b32_e32 v5, 1, v3
	s_wait_xcnt 0x0
	v_cmp_gt_u64_e64 s0, s[8:9], v[14:15]
	s_wait_kmcnt 0x0
	v_add_nc_u64_e32 v[6:7], s[18:19], v[8:9]
	v_mov_b64_e32 v[18:19], 0
	v_cndmask_b32_e32 v8, v3, v1, vcc_lo
	v_cmp_gt_i32_e32 vcc_lo, 32, v5
	v_mov_b64_e32 v[14:15], 0
	v_mov_b32_e32 v1, v4
	v_lshl_or_b32 v31, v0, 3, v30
	v_dual_mov_b32 v38, 1 :: v_dual_mov_b32 v39, 0
	v_dual_cndmask_b32 v5, v3, v5 :: v_dual_lshlrev_b32 v32, 2, v8
	s_delay_alu instid0(VALU_DEP_4) | instskip(SKIP_2) | instid1(VALU_DEP_2)
	v_mul_u64_e32 v[8:9], s[8:9], v[0:1]
	s_mov_b32 s3, 0
	s_mul_u64 s[12:13], s[8:9], s[8:9]
	v_dual_lshlrev_b32 v33, 2, v5 :: v_dual_bitop2_b32 v5, 16, v3 bitop3:0x14
	s_cmp_lg_u32 s20, 0
	s_mov_b32 s11, s3
	s_cselect_b32 s1, -1, 0
	v_lshl_add_u64 v[12:13], v[12:13], 3, s[18:19]
	v_cmp_gt_i32_e32 vcc_lo, 32, v5
	s_and_b32 s26, s2, s0
	s_mov_b64 s[18:19], 0xffffffff
	s_ashr_i32 s20, s9, 31
	s_sub_co_i32 s27, 0, s8
	v_dual_cndmask_b32 v5, v3, v5, vcc_lo :: v_dual_bitop2_b32 v17, 4, v3 bitop3:0x14
	v_cmp_gt_i32_e32 vcc_lo, 32, v16
	s_mov_b32 s28, 0
	v_dual_mov_b32 v37, 0x7c :: v_dual_cndmask_b32 v16, v3, v16
	s_delay_alu instid0(VALU_DEP_3) | instskip(NEXT) | instid1(VALU_DEP_2)
	v_cmp_gt_i32_e32 vcc_lo, 32, v17
	v_dual_lshlrev_b32 v35, 2, v16 :: v_dual_cndmask_b32 v3, v3, v17, vcc_lo
	v_cmp_gt_u64_e32 vcc_lo, s[8:9], v[0:1]
	s_delay_alu instid0(VALU_DEP_2)
	v_dual_lshlrev_b32 v1, 2, v5 :: v_dual_lshlrev_b32 v36, 2, v3
	s_and_b32 s25, s2, vcc_lo
	s_branch .LBB129_10
.LBB129_8:                              ;   in Loop: Header=BB129_10 Depth=1
	s_wait_xcnt 0x0
	s_or_b32 exec_lo, exec_lo, s2
	v_mov_b32_e32 v3, 1
.LBB129_9:                              ;   in Loop: Header=BB129_10 Depth=1
	s_or_b32 exec_lo, exec_lo, s0
	ds_bpermute_b32 v18, v1, v16
	ds_bpermute_b32 v19, v1, v17
	v_add_nc_u32_e32 v2, v3, v2
	s_wait_storecnt_dscnt 0x0
	v_min_i64 v[16:17], v[18:19], v[16:17]
	ds_bpermute_b32 v18, v35, v16
	ds_bpermute_b32 v19, v35, v17
	s_wait_dscnt 0x0
	v_min_i64 v[16:17], v[18:19], v[16:17]
	ds_bpermute_b32 v18, v36, v16
	ds_bpermute_b32 v19, v36, v17
	s_wait_dscnt 0x0
	;; [unrolled: 4-line block ×4, first 2 shown]
	v_min_i64 v[16:17], v[18:19], v[16:17]
	ds_bpermute_b32 v18, v37, v16
	s_wait_dscnt 0x0
	v_dual_ashrrev_i32 v19, 31, v18 :: v_dual_mov_b32 v39, v18
	s_delay_alu instid0(VALU_DEP_1) | instskip(SKIP_1) | instid1(SALU_CYCLE_1)
	v_cmp_le_i64_e32 vcc_lo, s[6:7], v[18:19]
	s_or_b32 s28, vcc_lo, s28
	s_and_not1_b32 exec_lo, exec_lo, s28
	s_cbranch_execz .LBB129_33
.LBB129_10:                             ; =>This Loop Header: Depth=1
                                        ;     Child Loop BB129_13 Depth 2
	v_mov_b64_e32 v[16:17], s[6:7]
	v_dual_mov_b32 v5, v29 :: v_dual_add_nc_u32 v20, v24, v0
	s_mov_b32 s29, exec_lo
	ds_store_b8 v28, v4 offset:4096
	ds_store_2addr_b64 v31, v[14:15], v[14:15] offset1:4
	s_wait_dscnt 0x0
	v_cmpx_lt_i32_e64 v20, v29
	s_cbranch_execz .LBB129_22
; %bb.11:                               ;   in Loop: Header=BB129_10 Depth=1
	v_mul_u64_e32 v[22:23], s[8:9], v[18:19]
	v_mov_b64_e32 v[16:17], s[6:7]
	v_mov_b32_e32 v3, v29
	s_mov_b32 s30, 0
	s_branch .LBB129_13
.LBB129_12:                             ;   in Loop: Header=BB129_13 Depth=2
	s_wait_xcnt 0x0
	s_or_b32 exec_lo, exec_lo, s0
	v_dual_mov_b32 v3, v5 :: v_dual_add_nc_u32 v20, 4, v20
	s_xor_b32 s2, vcc_lo, -1
	s_delay_alu instid0(VALU_DEP_1) | instskip(SKIP_1) | instid1(SALU_CYCLE_1)
	v_cmp_ge_i32_e64 s0, v20, v29
	s_or_b32 s0, s2, s0
	s_and_b32 s0, exec_lo, s0
	s_delay_alu instid0(SALU_CYCLE_1) | instskip(NEXT) | instid1(SALU_CYCLE_1)
	s_or_b32 s30, s0, s30
	s_and_not1_b32 exec_lo, exec_lo, s30
	s_cbranch_execz .LBB129_21
.LBB129_13:                             ;   Parent Loop BB129_10 Depth=1
                                        ; =>  This Inner Loop Header: Depth=2
	global_load_b64 v[24:25], v20, s[14:15] scale_offset
                                        ; implicit-def: $vgpr26_vgpr27
	s_mov_b32 s0, exec_lo
	s_wait_loadcnt 0x0
	v_sub_nc_u64_e64 v[24:25], v[24:25], s[10:11]
	s_delay_alu instid0(VALU_DEP_1) | instskip(SKIP_1) | instid1(VALU_DEP_1)
	v_or_b32_e32 v5, s9, v25
	s_wait_xcnt 0x0
	v_cmpx_ne_u64_e32 0, v[4:5]
	s_xor_b32 s31, exec_lo, s0
	s_cbranch_execz .LBB129_15
; %bb.14:                               ;   in Loop: Header=BB129_13 Depth=2
	s_mov_b32 s21, s20
	v_dual_mov_b32 v43, v4 :: v_dual_ashrrev_i32 v26, 31, v25
	s_add_nc_u64 s[22:23], s[8:9], s[20:21]
	s_delay_alu instid0(SALU_CYCLE_1) | instskip(NEXT) | instid1(VALU_DEP_1)
	s_xor_b64 s[22:23], s[22:23], s[20:21]
	v_mov_b32_e32 v27, v26
	s_cvt_f32_u32 s0, s22
	s_cvt_f32_u32 s2, s23
	s_sub_nc_u64 s[36:37], 0, s[22:23]
	s_delay_alu instid0(VALU_DEP_1) | instskip(NEXT) | instid1(SALU_CYCLE_1)
	v_add_nc_u64_e32 v[40:41], v[24:25], v[26:27]
	s_fmamk_f32 s0, s2, 0x4f800000, s0
	v_mov_b32_e32 v47, v4
	s_delay_alu instid0(SALU_CYCLE_2) | instskip(NEXT) | instid1(VALU_DEP_2)
	v_s_rcp_f32 s0, s0
	v_xor_b32_e32 v42, v40, v26
	s_delay_alu instid0(VALU_DEP_3) | instskip(NEXT) | instid1(TRANS32_DEP_1)
	v_dual_mov_b32 v51, v4 :: v_dual_bitop2_b32 v46, v41, v26 bitop3:0x14
	s_mul_f32 s0, s0, 0x5f7ffffc
	s_delay_alu instid0(SALU_CYCLE_3) | instskip(NEXT) | instid1(SALU_CYCLE_3)
	s_mul_f32 s2, s0, 0x2f800000
	s_trunc_f32 s2, s2
	s_delay_alu instid0(SALU_CYCLE_3) | instskip(SKIP_1) | instid1(SALU_CYCLE_2)
	s_fmamk_f32 s0, s2, 0xcf800000, s0
	s_cvt_u32_f32 s35, s2
	s_cvt_u32_f32 s34, s0
	s_delay_alu instid0(SALU_CYCLE_3) | instskip(NEXT) | instid1(SALU_CYCLE_1)
	s_mul_u64 s[38:39], s[36:37], s[34:35]
	s_mul_hi_u32 s41, s34, s39
	s_mul_i32 s40, s34, s39
	s_mul_hi_u32 s2, s34, s38
	s_mul_i32 s21, s35, s38
	s_add_nc_u64 s[40:41], s[2:3], s[40:41]
	s_mul_hi_u32 s0, s35, s38
	s_mul_hi_u32 s33, s35, s39
	s_add_co_u32 s2, s40, s21
	s_add_co_ci_u32 s2, s41, s0
	s_mul_i32 s38, s35, s39
	s_add_co_ci_u32 s39, s33, 0
	s_delay_alu instid0(SALU_CYCLE_1) | instskip(NEXT) | instid1(SALU_CYCLE_1)
	s_add_nc_u64 s[38:39], s[2:3], s[38:39]
	s_add_co_u32 s34, s34, s38
	s_cselect_b32 s0, -1, 0
	s_delay_alu instid0(SALU_CYCLE_1) | instskip(SKIP_1) | instid1(SALU_CYCLE_1)
	s_cmp_lg_u32 s0, 0
	s_add_co_ci_u32 s35, s35, s39
	s_mul_u64 s[36:37], s[36:37], s[34:35]
	s_delay_alu instid0(SALU_CYCLE_1)
	s_mul_hi_u32 s39, s34, s37
	s_mul_i32 s38, s34, s37
	s_mul_hi_u32 s2, s34, s36
	s_mul_i32 s21, s35, s36
	s_add_nc_u64 s[38:39], s[2:3], s[38:39]
	s_mul_hi_u32 s0, s35, s36
	s_mul_hi_u32 s33, s35, s37
	s_add_co_u32 s2, s38, s21
	s_add_co_ci_u32 s2, s39, s0
	s_mul_i32 s36, s35, s37
	s_add_co_ci_u32 s37, s33, 0
	s_delay_alu instid0(SALU_CYCLE_1) | instskip(NEXT) | instid1(SALU_CYCLE_1)
	s_add_nc_u64 s[36:37], s[2:3], s[36:37]
	s_add_co_u32 s0, s34, s36
	s_cselect_b32 s2, -1, 0
	v_mul_hi_u32 v50, v42, s0
	s_cmp_lg_u32 s2, 0
	s_add_co_ci_u32 s2, s35, s37
	s_and_b64 s[34:35], s[0:1], s[18:19]
	v_mul_u64_e32 v[44:45], s[2:3], v[42:43]
	v_mul_u64_e32 v[40:41], s[34:35], v[46:47]
	;; [unrolled: 1-line block ×3, first 2 shown]
	s_delay_alu instid0(VALU_DEP_3) | instskip(NEXT) | instid1(VALU_DEP_1)
	v_add_nc_u64_e32 v[44:45], v[50:51], v[44:45]
	v_add_co_u32 v5, vcc_lo, v44, v40
	s_delay_alu instid0(VALU_DEP_2) | instskip(NEXT) | instid1(VALU_DEP_4)
	v_add_co_ci_u32_e32 v50, vcc_lo, v45, v41, vcc_lo
	v_add_co_ci_u32_e32 v49, vcc_lo, 0, v49, vcc_lo
	s_delay_alu instid0(VALU_DEP_1) | instskip(NEXT) | instid1(VALU_DEP_1)
	v_add_nc_u64_e32 v[40:41], v[50:51], v[48:49]
	v_mul_u64_e32 v[44:45], s[22:23], v[40:41]
	s_delay_alu instid0(VALU_DEP_1) | instskip(NEXT) | instid1(VALU_DEP_2)
	v_sub_nc_u32_e32 v5, v46, v45
	v_sub_co_u32 v21, vcc_lo, v42, v44
	s_delay_alu instid0(VALU_DEP_1) | instskip(NEXT) | instid1(VALU_DEP_3)
	v_sub_co_ci_u32_e64 v25, null, v46, v45, vcc_lo
	v_subrev_co_ci_u32_e64 v5, null, s23, v5, vcc_lo
	s_delay_alu instid0(VALU_DEP_3) | instskip(SKIP_1) | instid1(VALU_DEP_3)
	v_sub_co_u32 v23, s0, v21, s22
	v_add_nc_u64_e32 v[42:43], 2, v[40:41]
	v_subrev_co_ci_u32_e64 v5, null, 0, v5, s0
	s_delay_alu instid0(VALU_DEP_3) | instskip(SKIP_2) | instid1(VALU_DEP_4)
	v_cmp_le_u32_e32 vcc_lo, s22, v23
	v_add_nc_u64_e32 v[44:45], 1, v[40:41]
	v_cndmask_b32_e64 v23, 0, -1, vcc_lo
	v_cmp_le_u32_e32 vcc_lo, s23, v5
	v_cndmask_b32_e64 v27, 0, -1, vcc_lo
	v_cmp_le_u32_e32 vcc_lo, s22, v21
	;; [unrolled: 2-line block ×3, first 2 shown]
	v_cndmask_b32_e64 v46, 0, -1, vcc_lo
	v_cmp_eq_u32_e32 vcc_lo, s23, v5
	v_cndmask_b32_e32 v5, v27, v23, vcc_lo
	v_cmp_eq_u32_e32 vcc_lo, s23, v25
	s_delay_alu instid0(VALU_DEP_4) | instskip(NEXT) | instid1(VALU_DEP_3)
	v_cndmask_b32_e32 v21, v46, v21, vcc_lo
	v_cmp_ne_u32_e32 vcc_lo, 0, v5
	s_delay_alu instid0(VALU_DEP_2) | instskip(SKIP_1) | instid1(VALU_DEP_1)
	v_cmp_ne_u32_e64 s0, 0, v21
	v_dual_cndmask_b32 v5, v45, v43, vcc_lo :: v_dual_cndmask_b32 v21, v44, v42, vcc_lo
	v_dual_cndmask_b32 v5, v41, v5, s0 :: v_dual_bitop2_b32 v26, s20, v26 bitop3:0x14
	s_delay_alu instid0(VALU_DEP_1) | instskip(NEXT) | instid1(VALU_DEP_2)
	v_dual_cndmask_b32 v21, v40, v21, s0 :: v_dual_mov_b32 v27, v26
	v_xor_b32_e32 v41, v5, v26
	s_delay_alu instid0(VALU_DEP_2) | instskip(NEXT) | instid1(VALU_DEP_1)
	v_xor_b32_e32 v40, v21, v26
	v_sub_nc_u64_e32 v[26:27], v[40:41], v[26:27]
.LBB129_15:                             ;   in Loop: Header=BB129_13 Depth=2
	s_and_not1_saveexec_b32 s0, s31
	s_cbranch_execz .LBB129_17
; %bb.16:                               ;   in Loop: Header=BB129_13 Depth=2
	v_cvt_f32_u32_e32 v5, s8
	v_mov_b32_e32 v27, v4
	s_delay_alu instid0(VALU_DEP_2) | instskip(SKIP_1) | instid1(TRANS32_DEP_1)
	v_rcp_iflag_f32_e32 v5, v5
	v_nop
	v_mul_f32_e32 v5, 0x4f7ffffe, v5
	s_delay_alu instid0(VALU_DEP_1) | instskip(NEXT) | instid1(VALU_DEP_1)
	v_cvt_u32_f32_e32 v5, v5
	v_mul_lo_u32 v21, s27, v5
	s_delay_alu instid0(VALU_DEP_1) | instskip(NEXT) | instid1(VALU_DEP_1)
	v_mul_hi_u32 v21, v5, v21
	v_add_nc_u32_e32 v5, v5, v21
	s_delay_alu instid0(VALU_DEP_1) | instskip(NEXT) | instid1(VALU_DEP_1)
	v_mul_hi_u32 v5, v24, v5
	v_mul_lo_u32 v21, v5, s8
	v_add_nc_u32_e32 v23, 1, v5
	s_delay_alu instid0(VALU_DEP_2) | instskip(NEXT) | instid1(VALU_DEP_1)
	v_sub_nc_u32_e32 v21, v24, v21
	v_subrev_nc_u32_e32 v25, s8, v21
	v_cmp_le_u32_e32 vcc_lo, s8, v21
	s_delay_alu instid0(VALU_DEP_2) | instskip(SKIP_1) | instid1(VALU_DEP_2)
	v_cndmask_b32_e32 v21, v21, v25, vcc_lo
	v_cndmask_b32_e32 v5, v5, v23, vcc_lo
	v_cmp_le_u32_e32 vcc_lo, s8, v21
	s_delay_alu instid0(VALU_DEP_2) | instskip(NEXT) | instid1(VALU_DEP_1)
	v_add_nc_u32_e32 v23, 1, v5
	v_cndmask_b32_e32 v26, v5, v23, vcc_lo
.LBB129_17:                             ;   in Loop: Header=BB129_13 Depth=2
	s_or_b32 exec_lo, exec_lo, s0
	s_delay_alu instid0(VALU_DEP_1) | instskip(SKIP_2) | instid1(SALU_CYCLE_1)
	v_cmp_ne_u64_e64 s0, v[26:27], v[18:19]
	v_cmp_eq_u64_e32 vcc_lo, v[26:27], v[18:19]
	s_and_saveexec_b32 s2, s0
	s_xor_b32 s0, exec_lo, s2
; %bb.18:                               ;   in Loop: Header=BB129_13 Depth=2
	v_min_i64 v[16:17], v[26:27], v[16:17]
                                        ; implicit-def: $vgpr24_vgpr25
                                        ; implicit-def: $vgpr3
; %bb.19:                               ;   in Loop: Header=BB129_13 Depth=2
	s_or_saveexec_b32 s0, s0
	v_mov_b32_e32 v5, v20
	s_xor_b32 exec_lo, exec_lo, s0
	s_cbranch_execz .LBB129_12
; %bb.20:                               ;   in Loop: Header=BB129_13 Depth=2
	v_dual_ashrrev_i32 v21, 31, v20 :: v_dual_sub_nc_u32 v5, v24, v22
	s_delay_alu instid0(VALU_DEP_1) | instskip(NEXT) | instid1(VALU_DEP_2)
	v_lshl_add_u64 v[26:27], v[20:21], 3, s[16:17]
	v_lshl_add_u32 v21, v5, 3, v30
	v_mov_b32_e32 v5, v3
	global_load_b64 v[26:27], v[26:27], off
	ds_store_b8 v28, v38 offset:4096
	s_wait_loadcnt 0x0
	ds_store_b64 v21, v[26:27]
	s_branch .LBB129_12
.LBB129_21:                             ;   in Loop: Header=BB129_10 Depth=1
	s_or_b32 exec_lo, exec_lo, s30
.LBB129_22:                             ;   in Loop: Header=BB129_10 Depth=1
	s_delay_alu instid0(SALU_CYCLE_1)
	s_or_b32 exec_lo, exec_lo, s29
	ds_bpermute_b32 v3, v32, v5
	s_wait_dscnt 0x0
	ds_load_u8 v18, v28 offset:4096
	v_min_i32_e32 v3, v3, v5
	ds_bpermute_b32 v5, v33, v3
	s_wait_dscnt 0x0
	v_min_i32_e32 v3, v5, v3
	ds_bpermute_b32 v24, v34, v3
	v_and_b32_e32 v3, 1, v18
	s_delay_alu instid0(VALU_DEP_1)
	v_cmp_eq_u32_e32 vcc_lo, 1, v3
	v_mov_b32_e32 v3, 0
	s_and_saveexec_b32 s0, vcc_lo
	s_cbranch_execz .LBB129_9
; %bb.23:                               ;   in Loop: Header=BB129_10 Depth=1
	v_dual_ashrrev_i32 v3, 31, v2 :: v_dual_add_nc_u32 v22, s24, v39
	s_delay_alu instid0(VALU_DEP_1) | instskip(NEXT) | instid1(VALU_DEP_2)
	v_mul_u64_e32 v[18:19], s[12:13], v[2:3]
	v_ashrrev_i32_e32 v23, 31, v22
	global_store_b64 v2, v[22:23], s[4:5] scale_offset
	v_lshlrev_b64_e32 v[18:19], 3, v[18:19]
	s_delay_alu instid0(VALU_DEP_1)
	v_add_nc_u64_e32 v[20:21], v[6:7], v[18:19]
	v_add_nc_u64_e32 v[18:19], v[12:13], v[18:19]
	s_wait_xcnt 0x0
	s_and_saveexec_b32 s2, s25
	s_cbranch_execz .LBB129_27
; %bb.24:                               ;   in Loop: Header=BB129_10 Depth=1
	ds_load_b64 v[22:23], v31
	s_and_b32 vcc_lo, exec_lo, s1
	s_cbranch_vccz .LBB129_30
; %bb.25:                               ;   in Loop: Header=BB129_10 Depth=1
	v_lshl_add_u64 v[26:27], v[8:9], 3, v[20:21]
	s_wait_dscnt 0x0
	global_store_b64 v[26:27], v[22:23], off
	s_cbranch_execnz .LBB129_27
.LBB129_26:                             ;   in Loop: Header=BB129_10 Depth=1
	s_wait_xcnt 0x0
	v_dual_mov_b32 v27, v4 :: v_dual_lshlrev_b32 v26, 3, v0
	s_delay_alu instid0(VALU_DEP_1)
	v_add_nc_u64_e32 v[26:27], v[18:19], v[26:27]
	s_wait_dscnt 0x0
	global_store_b64 v[26:27], v[22:23], off
.LBB129_27:                             ;   in Loop: Header=BB129_10 Depth=1
	s_wait_xcnt 0x0
	s_or_b32 exec_lo, exec_lo, s2
	s_and_saveexec_b32 s2, s26
	s_cbranch_execz .LBB129_8
; %bb.28:                               ;   in Loop: Header=BB129_10 Depth=1
	s_and_not1_b32 vcc_lo, exec_lo, s1
	s_cbranch_vccnz .LBB129_31
; %bb.29:                               ;   in Loop: Header=BB129_10 Depth=1
	s_wait_dscnt 0x0
	ds_load_b64 v[22:23], v31 offset:32
	v_lshl_add_u64 v[20:21], v[10:11], 3, v[20:21]
	s_wait_dscnt 0x0
	global_store_b64 v[20:21], v[22:23], off
	s_cbranch_execnz .LBB129_8
	s_branch .LBB129_32
.LBB129_30:                             ;   in Loop: Header=BB129_10 Depth=1
	s_branch .LBB129_26
.LBB129_31:                             ;   in Loop: Header=BB129_10 Depth=1
.LBB129_32:                             ;   in Loop: Header=BB129_10 Depth=1
	s_wait_xcnt 0x0
	ds_load_b64 v[20:21], v31 offset:32
	s_wait_dscnt 0x1
	v_dual_mov_b32 v23, v4 :: v_dual_lshlrev_b32 v22, 3, v0
	s_delay_alu instid0(VALU_DEP_1)
	v_add_nc_u64_e32 v[18:19], v[18:19], v[22:23]
	s_wait_dscnt 0x0
	global_store_b64 v[18:19], v[20:21], off offset:32
	s_branch .LBB129_8
.LBB129_33:
	s_endpgm
	.section	.rodata,"a",@progbits
	.p2align	6, 0x0
	.amdhsa_kernel _ZN9rocsparseL42csr2bsr_wavefront_per_row_multipass_kernelILj256ELj32ELj8EdilEEv20rocsparse_direction_T4_S2_S2_S2_S2_21rocsparse_index_base_PKT2_PKT3_PKS2_S3_PS4_PS7_PS2_
		.amdhsa_group_segment_fixed_size 4104
		.amdhsa_private_segment_fixed_size 0
		.amdhsa_kernarg_size 112
		.amdhsa_user_sgpr_count 2
		.amdhsa_user_sgpr_dispatch_ptr 0
		.amdhsa_user_sgpr_queue_ptr 0
		.amdhsa_user_sgpr_kernarg_segment_ptr 1
		.amdhsa_user_sgpr_dispatch_id 0
		.amdhsa_user_sgpr_kernarg_preload_length 0
		.amdhsa_user_sgpr_kernarg_preload_offset 0
		.amdhsa_user_sgpr_private_segment_size 0
		.amdhsa_wavefront_size32 1
		.amdhsa_uses_dynamic_stack 0
		.amdhsa_enable_private_segment 0
		.amdhsa_system_sgpr_workgroup_id_x 1
		.amdhsa_system_sgpr_workgroup_id_y 0
		.amdhsa_system_sgpr_workgroup_id_z 0
		.amdhsa_system_sgpr_workgroup_info 0
		.amdhsa_system_vgpr_workitem_id 0
		.amdhsa_next_free_vgpr 52
		.amdhsa_next_free_sgpr 42
		.amdhsa_named_barrier_count 0
		.amdhsa_reserve_vcc 1
		.amdhsa_float_round_mode_32 0
		.amdhsa_float_round_mode_16_64 0
		.amdhsa_float_denorm_mode_32 3
		.amdhsa_float_denorm_mode_16_64 3
		.amdhsa_fp16_overflow 0
		.amdhsa_memory_ordered 1
		.amdhsa_forward_progress 1
		.amdhsa_inst_pref_size 18
		.amdhsa_round_robin_scheduling 0
		.amdhsa_exception_fp_ieee_invalid_op 0
		.amdhsa_exception_fp_denorm_src 0
		.amdhsa_exception_fp_ieee_div_zero 0
		.amdhsa_exception_fp_ieee_overflow 0
		.amdhsa_exception_fp_ieee_underflow 0
		.amdhsa_exception_fp_ieee_inexact 0
		.amdhsa_exception_int_div_zero 0
	.end_amdhsa_kernel
	.section	.text._ZN9rocsparseL42csr2bsr_wavefront_per_row_multipass_kernelILj256ELj32ELj8EdilEEv20rocsparse_direction_T4_S2_S2_S2_S2_21rocsparse_index_base_PKT2_PKT3_PKS2_S3_PS4_PS7_PS2_,"axG",@progbits,_ZN9rocsparseL42csr2bsr_wavefront_per_row_multipass_kernelILj256ELj32ELj8EdilEEv20rocsparse_direction_T4_S2_S2_S2_S2_21rocsparse_index_base_PKT2_PKT3_PKS2_S3_PS4_PS7_PS2_,comdat
.Lfunc_end129:
	.size	_ZN9rocsparseL42csr2bsr_wavefront_per_row_multipass_kernelILj256ELj32ELj8EdilEEv20rocsparse_direction_T4_S2_S2_S2_S2_21rocsparse_index_base_PKT2_PKT3_PKS2_S3_PS4_PS7_PS2_, .Lfunc_end129-_ZN9rocsparseL42csr2bsr_wavefront_per_row_multipass_kernelILj256ELj32ELj8EdilEEv20rocsparse_direction_T4_S2_S2_S2_S2_21rocsparse_index_base_PKT2_PKT3_PKS2_S3_PS4_PS7_PS2_
                                        ; -- End function
	.set _ZN9rocsparseL42csr2bsr_wavefront_per_row_multipass_kernelILj256ELj32ELj8EdilEEv20rocsparse_direction_T4_S2_S2_S2_S2_21rocsparse_index_base_PKT2_PKT3_PKS2_S3_PS4_PS7_PS2_.num_vgpr, 52
	.set _ZN9rocsparseL42csr2bsr_wavefront_per_row_multipass_kernelILj256ELj32ELj8EdilEEv20rocsparse_direction_T4_S2_S2_S2_S2_21rocsparse_index_base_PKT2_PKT3_PKS2_S3_PS4_PS7_PS2_.num_agpr, 0
	.set _ZN9rocsparseL42csr2bsr_wavefront_per_row_multipass_kernelILj256ELj32ELj8EdilEEv20rocsparse_direction_T4_S2_S2_S2_S2_21rocsparse_index_base_PKT2_PKT3_PKS2_S3_PS4_PS7_PS2_.numbered_sgpr, 42
	.set _ZN9rocsparseL42csr2bsr_wavefront_per_row_multipass_kernelILj256ELj32ELj8EdilEEv20rocsparse_direction_T4_S2_S2_S2_S2_21rocsparse_index_base_PKT2_PKT3_PKS2_S3_PS4_PS7_PS2_.num_named_barrier, 0
	.set _ZN9rocsparseL42csr2bsr_wavefront_per_row_multipass_kernelILj256ELj32ELj8EdilEEv20rocsparse_direction_T4_S2_S2_S2_S2_21rocsparse_index_base_PKT2_PKT3_PKS2_S3_PS4_PS7_PS2_.private_seg_size, 0
	.set _ZN9rocsparseL42csr2bsr_wavefront_per_row_multipass_kernelILj256ELj32ELj8EdilEEv20rocsparse_direction_T4_S2_S2_S2_S2_21rocsparse_index_base_PKT2_PKT3_PKS2_S3_PS4_PS7_PS2_.uses_vcc, 1
	.set _ZN9rocsparseL42csr2bsr_wavefront_per_row_multipass_kernelILj256ELj32ELj8EdilEEv20rocsparse_direction_T4_S2_S2_S2_S2_21rocsparse_index_base_PKT2_PKT3_PKS2_S3_PS4_PS7_PS2_.uses_flat_scratch, 0
	.set _ZN9rocsparseL42csr2bsr_wavefront_per_row_multipass_kernelILj256ELj32ELj8EdilEEv20rocsparse_direction_T4_S2_S2_S2_S2_21rocsparse_index_base_PKT2_PKT3_PKS2_S3_PS4_PS7_PS2_.has_dyn_sized_stack, 0
	.set _ZN9rocsparseL42csr2bsr_wavefront_per_row_multipass_kernelILj256ELj32ELj8EdilEEv20rocsparse_direction_T4_S2_S2_S2_S2_21rocsparse_index_base_PKT2_PKT3_PKS2_S3_PS4_PS7_PS2_.has_recursion, 0
	.set _ZN9rocsparseL42csr2bsr_wavefront_per_row_multipass_kernelILj256ELj32ELj8EdilEEv20rocsparse_direction_T4_S2_S2_S2_S2_21rocsparse_index_base_PKT2_PKT3_PKS2_S3_PS4_PS7_PS2_.has_indirect_call, 0
	.section	.AMDGPU.csdata,"",@progbits
; Kernel info:
; codeLenInByte = 2272
; TotalNumSgprs: 44
; NumVgprs: 52
; ScratchSize: 0
; MemoryBound: 0
; FloatMode: 240
; IeeeMode: 1
; LDSByteSize: 4104 bytes/workgroup (compile time only)
; SGPRBlocks: 0
; VGPRBlocks: 3
; NumSGPRsForWavesPerEU: 44
; NumVGPRsForWavesPerEU: 52
; NamedBarCnt: 0
; Occupancy: 16
; WaveLimiterHint : 0
; COMPUTE_PGM_RSRC2:SCRATCH_EN: 0
; COMPUTE_PGM_RSRC2:USER_SGPR: 2
; COMPUTE_PGM_RSRC2:TRAP_HANDLER: 0
; COMPUTE_PGM_RSRC2:TGID_X_EN: 1
; COMPUTE_PGM_RSRC2:TGID_Y_EN: 0
; COMPUTE_PGM_RSRC2:TGID_Z_EN: 0
; COMPUTE_PGM_RSRC2:TIDIG_COMP_CNT: 0
	.section	.text._ZN9rocsparseL42csr2bsr_wavefront_per_row_multipass_kernelILj256ELj64ELj16EdilEEv20rocsparse_direction_T4_S2_S2_S2_S2_21rocsparse_index_base_PKT2_PKT3_PKS2_S3_PS4_PS7_PS2_,"axG",@progbits,_ZN9rocsparseL42csr2bsr_wavefront_per_row_multipass_kernelILj256ELj64ELj16EdilEEv20rocsparse_direction_T4_S2_S2_S2_S2_21rocsparse_index_base_PKT2_PKT3_PKS2_S3_PS4_PS7_PS2_,comdat
	.globl	_ZN9rocsparseL42csr2bsr_wavefront_per_row_multipass_kernelILj256ELj64ELj16EdilEEv20rocsparse_direction_T4_S2_S2_S2_S2_21rocsparse_index_base_PKT2_PKT3_PKS2_S3_PS4_PS7_PS2_ ; -- Begin function _ZN9rocsparseL42csr2bsr_wavefront_per_row_multipass_kernelILj256ELj64ELj16EdilEEv20rocsparse_direction_T4_S2_S2_S2_S2_21rocsparse_index_base_PKT2_PKT3_PKS2_S3_PS4_PS7_PS2_
	.p2align	8
	.type	_ZN9rocsparseL42csr2bsr_wavefront_per_row_multipass_kernelILj256ELj64ELj16EdilEEv20rocsparse_direction_T4_S2_S2_S2_S2_21rocsparse_index_base_PKT2_PKT3_PKS2_S3_PS4_PS7_PS2_,@function
_ZN9rocsparseL42csr2bsr_wavefront_per_row_multipass_kernelILj256ELj64ELj16EdilEEv20rocsparse_direction_T4_S2_S2_S2_S2_21rocsparse_index_base_PKT2_PKT3_PKS2_S3_PS4_PS7_PS2_: ; @_ZN9rocsparseL42csr2bsr_wavefront_per_row_multipass_kernelILj256ELj64ELj16EdilEEv20rocsparse_direction_T4_S2_S2_S2_S2_21rocsparse_index_base_PKT2_PKT3_PKS2_S3_PS4_PS7_PS2_
; %bb.0:
	s_bfe_u32 s2, ttmp6, 0x4000c
	s_clause 0x1
	s_load_b96 s[8:10], s[0:1], 0x28
	s_load_b64 s[14:15], s[0:1], 0x40
	s_add_co_i32 s2, s2, 1
	s_and_b32 s3, ttmp6, 15
	s_mul_i32 s2, ttmp9, s2
	s_getreg_b32 s4, hwreg(HW_REG_IB_STS2, 6, 4)
	s_add_co_i32 s3, s3, s2
	s_cmp_eq_u32 s4, 0
	v_dual_mov_b32 v33, 0 :: v_dual_lshrrev_b32 v32, 6, v0
	s_cselect_b32 s12, ttmp9, s3
	v_bfe_u32 v6, v0, 2, 4
	s_ashr_i32 s13, s12, 31
	v_mov_b32_e32 v28, 0
	s_lshl_b64 s[2:3], s[12:13], 2
	s_delay_alu instid0(SALU_CYCLE_1) | instskip(SKIP_2) | instid1(VALU_DEP_1)
	v_dual_mov_b32 v7, v33 :: v_dual_bitop2_b32 v1, s2, v32 bitop3:0x54
	s_load_b128 s[4:7], s[0:1], 0x18
	s_wait_kmcnt 0x0
	v_mad_nc_u64_u32 v[2:3], v1, s8, v[6:7]
	s_delay_alu instid0(VALU_DEP_1) | instskip(SKIP_1) | instid1(VALU_DEP_1)
	v_mad_u32 v3, s3, s8, v3
	s_load_b64 s[2:3], s[0:1], 0x8
	v_mad_u32 v3, v1, s9, v3
	s_wait_kmcnt 0x0
	s_delay_alu instid0(VALU_DEP_1) | instskip(SKIP_2) | instid1(SALU_CYCLE_1)
	v_cmp_gt_i64_e32 vcc_lo, s[2:3], v[2:3]
	v_cmp_gt_i64_e64 s2, s[8:9], v[6:7]
	s_and_b32 s3, s2, vcc_lo
	s_and_saveexec_b32 s11, s3
	s_cbranch_execz .LBB130_2
; %bb.1:
	v_lshl_add_u64 v[4:5], v[2:3], 2, s[14:15]
	global_load_b32 v1, v[4:5], off
	s_wait_loadcnt 0x0
	v_subrev_nc_u32_e32 v28, s10, v1
.LBB130_2:
	s_or_b32 exec_lo, exec_lo, s11
	s_and_saveexec_b32 s11, s3
	s_cbranch_execz .LBB130_4
; %bb.3:
	v_lshl_add_u64 v[2:3], v[2:3], 2, s[14:15]
	global_load_b32 v1, v[2:3], off offset:4
	s_wait_loadcnt 0x0
	v_subrev_nc_u32_e32 v33, s10, v1
.LBB130_4:
	s_or_b32 exec_lo, exec_lo, s11
	s_load_b32 s24, s[0:1], 0x50
	v_mov_b32_e32 v5, 0
	v_lshl_or_b32 v4, s12, 2, v32
	s_mov_b32 s3, exec_lo
	s_delay_alu instid0(VALU_DEP_2) | instskip(NEXT) | instid1(VALU_DEP_2)
	v_mov_b32_e32 v2, v5
	v_cmpx_gt_i64_e64 s[4:5], v[4:5]
	s_cbranch_execz .LBB130_6
; %bb.5:
	s_load_b64 s[4:5], s[0:1], 0x60
	s_wait_kmcnt 0x0
	v_lshl_add_u64 v[2:3], v[4:5], 2, s[4:5]
	global_load_b32 v1, v[2:3], off
	s_wait_loadcnt 0x0
	v_subrev_nc_u32_e32 v2, s24, v1
.LBB130_6:
	s_or_b32 exec_lo, exec_lo, s3
	v_cmp_lt_i64_e64 s3, s[6:7], 1
	s_and_b32 vcc_lo, exec_lo, s3
	s_cbranch_vccnz .LBB130_43
; %bb.7:
	v_mbcnt_lo_u32_b32 v3, -1, 0
	v_dual_lshlrev_b32 v10, 3, v6 :: v_dual_mov_b32 v4, 0
	s_clause 0x3
	s_load_b64 s[14:15], s[0:1], 0x48
	s_load_b64 s[20:21], s[0:1], 0x58
	s_load_b64 s[16:17], s[0:1], 0x38
	s_load_b32 s3, s[0:1], 0x0
	v_mul_u64_e32 v[8:9], s[8:9], v[6:7]
	v_xor_b32_e32 v5, 2, v3
	v_dual_lshlrev_b32 v1, 7, v6 :: v_dual_bitop2_b32 v0, 3, v0 bitop3:0x40
	v_dual_mov_b32 v11, v4 :: v_dual_mov_b32 v19, v4
	s_delay_alu instid0(VALU_DEP_3) | instskip(SKIP_1) | instid1(VALU_DEP_4)
	v_cmp_gt_i32_e32 vcc_lo, 32, v5
	v_xor_b32_e32 v6, 1, v3
	v_lshl_or_b32 v34, v32, 11, v1
	v_or_b32_e32 v20, 8, v0
	v_dual_mov_b32 v23, v4 :: v_dual_bitop2_b32 v22, 12, v0 bitop3:0x54
	v_cndmask_b32_e32 v1, v3, v5, vcc_lo
	v_cmp_gt_i32_e32 vcc_lo, 32, v6
	v_xor_b32_e32 v13, 16, v3
	s_load_b64 s[4:5], s[0:1], 0x68
	s_delay_alu instid0(VALU_DEP_3)
	v_dual_lshlrev_b32 v37, 2, v1 :: v_dual_bitop2_b32 v12, 32, v3 bitop3:0x54
	v_cndmask_b32_e32 v5, v3, v6, vcc_lo
	v_cvt_f32_u32_e32 v1, s8
	s_wait_kmcnt 0x0
	v_add_nc_u64_e32 v[6:7], s[20:21], v[10:11]
	v_cmp_gt_i32_e32 vcc_lo, 32, v12
	v_dual_lshlrev_b32 v38, 2, v5 :: v_dual_bitop2_b32 v18, 4, v0 bitop3:0x54
	v_rcp_iflag_f32_e32 v10, v1
	v_dual_mov_b32 v1, v4 :: v_dual_cndmask_b32 v5, v3, v12, vcc_lo
	v_cmp_gt_i32_e32 vcc_lo, 32, v13
	v_mov_b32_e32 v21, v4
	v_mul_u64_e32 v[16:17], s[8:9], v[22:23]
	s_cmp_lg_u32 s3, 0
	s_delay_alu instid0(TRANS32_DEP_1) | instskip(SKIP_3) | instid1(VALU_DEP_4)
	v_mul_f32_e32 v14, 0x4f7ffffe, v10
	v_dual_cndmask_b32 v24, v3, v13, vcc_lo :: v_dual_bitop2_b32 v25, 8, v3 bitop3:0x14
	v_mul_u64_e32 v[10:11], s[8:9], v[0:1]
	v_mul_u64_e32 v[12:13], s[8:9], v[18:19]
	v_cvt_u32_f32_e32 v26, v14
	v_mul_u64_e32 v[14:15], s[8:9], v[20:21]
	v_cmp_gt_i32_e32 vcc_lo, 32, v25
	v_xor_b32_e32 v27, 4, v3
	s_cselect_b32 s25, -1, 0
	s_sub_co_i32 s0, 0, s8
	v_lshl_or_b32 v35, v3, 2, 12
	v_mul_lo_u32 v29, s0, v26
	v_cndmask_b32_e32 v25, v3, v25, vcc_lo
	v_cmp_gt_i32_e32 vcc_lo, 32, v27
	v_cmp_gt_u64_e64 s0, s[8:9], v[18:19]
	v_cmp_gt_u64_e64 s1, s[8:9], v[20:21]
	;; [unrolled: 1-line block ×3, first 2 shown]
	v_dual_lshlrev_b32 v41, 2, v25 :: v_dual_cndmask_b32 v3, v3, v27, vcc_lo
	v_cmp_gt_u64_e32 vcc_lo, s[8:9], v[0:1]
	v_mov_b64_e32 v[22:23], 0
	v_mov_b64_e32 v[18:19], 0
	v_lshl_or_b32 v36, v0, 3, v34
	v_dual_lshlrev_b32 v1, 2, v3 :: v_dual_mov_b32 v43, 1
	v_mul_hi_u32 v3, v26, v29
	v_lshl_add_u64 v[8:9], v[8:9], 3, s[20:21]
	v_dual_lshlrev_b32 v39, 2, v5 :: v_dual_lshlrev_b32 v40, 2, v24
	v_bfrev_b32_e32 v42, 0.5
	v_mov_b32_e32 v45, 0
	s_mov_b32 s11, 0
	s_mul_u64 s[12:13], s[8:9], s[8:9]
	s_mov_b32 s18, s10
	s_mov_b32 s19, s11
	s_and_b32 s26, s2, vcc_lo
	v_add_nc_u32_e32 v44, v26, v3
	s_and_b32 s27, s2, s0
	s_and_b32 s1, s2, s1
	s_mov_b64 s[20:21], 0xffffffff
	s_and_b32 s28, s2, s3
	s_ashr_i32 s2, s9, 31
	s_mov_b32 s29, 0
	s_branch .LBB130_10
.LBB130_8:                              ;   in Loop: Header=BB130_10 Depth=1
	s_wait_xcnt 0x0
	s_or_b32 exec_lo, exec_lo, s3
	v_mov_b32_e32 v3, 1
.LBB130_9:                              ;   in Loop: Header=BB130_10 Depth=1
	s_or_b32 exec_lo, exec_lo, s0
	ds_bpermute_b32 v22, v39, v20
	ds_bpermute_b32 v23, v39, v21
	v_add_nc_u32_e32 v2, v3, v2
	s_wait_storecnt_dscnt 0x0
	v_min_i64 v[20:21], v[22:23], v[20:21]
	ds_bpermute_b32 v22, v40, v20
	ds_bpermute_b32 v23, v40, v21
	s_wait_dscnt 0x0
	v_min_i64 v[20:21], v[22:23], v[20:21]
	ds_bpermute_b32 v22, v41, v20
	ds_bpermute_b32 v23, v41, v21
	s_wait_dscnt 0x0
	;; [unrolled: 4-line block ×5, first 2 shown]
	v_min_i64 v[20:21], v[22:23], v[20:21]
	ds_bpermute_b32 v22, v42, v20
	s_wait_dscnt 0x0
	v_dual_ashrrev_i32 v23, 31, v22 :: v_dual_mov_b32 v45, v22
	s_delay_alu instid0(VALU_DEP_1) | instskip(SKIP_1) | instid1(SALU_CYCLE_1)
	v_cmp_le_i64_e32 vcc_lo, s[6:7], v[22:23]
	s_or_b32 s29, vcc_lo, s29
	s_and_not1_b32 exec_lo, exec_lo, s29
	s_cbranch_execz .LBB130_43
.LBB130_10:                             ; =>This Loop Header: Depth=1
                                        ;     Child Loop BB130_13 Depth 2
	v_mov_b64_e32 v[20:21], s[6:7]
	v_dual_mov_b32 v5, v33 :: v_dual_add_nc_u32 v24, v28, v0
	s_mov_b32 s30, exec_lo
	ds_store_b8 v32, v4 offset:8192
	ds_store_2addr_b64 v36, v[18:19], v[18:19] offset1:4
	ds_store_2addr_b64 v36, v[18:19], v[18:19] offset0:8 offset1:12
	s_wait_dscnt 0x0
	v_cmpx_lt_i32_e64 v24, v33
	s_cbranch_execz .LBB130_22
; %bb.11:                               ;   in Loop: Header=BB130_10 Depth=1
	v_mul_u64_e32 v[26:27], s[8:9], v[22:23]
	v_mov_b64_e32 v[20:21], s[6:7]
	v_mov_b32_e32 v3, v33
	s_mov_b32 s31, 0
	s_branch .LBB130_13
.LBB130_12:                             ;   in Loop: Header=BB130_13 Depth=2
	s_wait_xcnt 0x0
	s_or_b32 exec_lo, exec_lo, s0
	v_dual_mov_b32 v3, v5 :: v_dual_add_nc_u32 v24, 4, v24
	s_xor_b32 s3, vcc_lo, -1
	s_delay_alu instid0(VALU_DEP_1) | instskip(SKIP_1) | instid1(SALU_CYCLE_1)
	v_cmp_ge_i32_e64 s0, v24, v33
	s_or_b32 s0, s3, s0
	s_and_b32 s0, exec_lo, s0
	s_delay_alu instid0(SALU_CYCLE_1) | instskip(NEXT) | instid1(SALU_CYCLE_1)
	s_or_b32 s31, s0, s31
	s_and_not1_b32 exec_lo, exec_lo, s31
	s_cbranch_execz .LBB130_21
.LBB130_13:                             ;   Parent Loop BB130_10 Depth=1
                                        ; =>  This Inner Loop Header: Depth=2
	global_load_b64 v[28:29], v24, s[14:15] scale_offset
                                        ; implicit-def: $vgpr30_vgpr31
	s_mov_b32 s0, exec_lo
	s_wait_loadcnt 0x0
	v_sub_nc_u64_e64 v[28:29], v[28:29], s[18:19]
	s_delay_alu instid0(VALU_DEP_1) | instskip(SKIP_1) | instid1(VALU_DEP_1)
	v_or_b32_e32 v5, s9, v29
	s_wait_xcnt 0x0
	v_cmpx_ne_u64_e32 0, v[4:5]
	s_xor_b32 s33, exec_lo, s0
	s_cbranch_execz .LBB130_15
; %bb.14:                               ;   in Loop: Header=BB130_13 Depth=2
	s_mov_b32 s3, s2
	v_dual_mov_b32 v49, v4 :: v_dual_ashrrev_i32 v30, 31, v29
	s_add_nc_u64 s[22:23], s[8:9], s[2:3]
	v_mov_b32_e32 v53, v4
	s_xor_b64 s[22:23], s[22:23], s[2:3]
	s_delay_alu instid0(VALU_DEP_2)
	v_mov_b32_e32 v31, v30
	s_cvt_f32_u32 s0, s22
	s_cvt_f32_u32 s3, s23
	s_sub_nc_u64 s[36:37], 0, s[22:23]
	v_mov_b32_e32 v57, v4
	v_add_nc_u64_e32 v[46:47], v[28:29], v[30:31]
	s_fmamk_f32 s0, s3, 0x4f800000, s0
	s_delay_alu instid0(SALU_CYCLE_3) | instskip(NEXT) | instid1(VALU_DEP_1)
	v_s_rcp_f32 s0, s0
	v_xor_b32_e32 v48, v46, v30
	s_delay_alu instid0(VALU_DEP_2) | instskip(SKIP_1) | instid1(TRANS32_DEP_1)
	v_xor_b32_e32 v52, v47, v30
	v_xor_b32_e32 v30, s2, v30
	s_mul_f32 s0, s0, 0x5f7ffffc
	s_delay_alu instid0(SALU_CYCLE_3) | instskip(NEXT) | instid1(SALU_CYCLE_3)
	s_mul_f32 s3, s0, 0x2f800000
	s_trunc_f32 s3, s3
	s_delay_alu instid0(SALU_CYCLE_3) | instskip(SKIP_1) | instid1(SALU_CYCLE_2)
	s_fmamk_f32 s0, s3, 0xcf800000, s0
	s_cvt_u32_f32 s35, s3
	s_cvt_u32_f32 s34, s0
	s_delay_alu instid0(SALU_CYCLE_3) | instskip(NEXT) | instid1(SALU_CYCLE_1)
	s_mul_u64 s[38:39], s[36:37], s[34:35]
	s_mul_hi_u32 s41, s34, s39
	s_mul_i32 s40, s34, s39
	s_mul_hi_u32 s10, s34, s38
	s_mul_i32 s3, s35, s38
	s_add_nc_u64 s[40:41], s[10:11], s[40:41]
	s_mul_hi_u32 s0, s35, s38
	s_mul_hi_u32 s42, s35, s39
	s_add_co_u32 s3, s40, s3
	s_add_co_ci_u32 s10, s41, s0
	s_mul_i32 s38, s35, s39
	s_add_co_ci_u32 s39, s42, 0
	s_delay_alu instid0(SALU_CYCLE_1) | instskip(NEXT) | instid1(SALU_CYCLE_1)
	s_add_nc_u64 s[38:39], s[10:11], s[38:39]
	s_add_co_u32 s34, s34, s38
	s_cselect_b32 s0, -1, 0
	s_delay_alu instid0(SALU_CYCLE_1) | instskip(SKIP_1) | instid1(SALU_CYCLE_1)
	s_cmp_lg_u32 s0, 0
	s_add_co_ci_u32 s35, s35, s39
	s_mul_u64 s[36:37], s[36:37], s[34:35]
	s_delay_alu instid0(SALU_CYCLE_1)
	s_mul_hi_u32 s39, s34, s37
	s_mul_i32 s38, s34, s37
	s_mul_hi_u32 s10, s34, s36
	s_mul_i32 s3, s35, s36
	s_add_nc_u64 s[38:39], s[10:11], s[38:39]
	s_mul_hi_u32 s0, s35, s36
	s_mul_hi_u32 s40, s35, s37
	s_add_co_u32 s3, s38, s3
	s_add_co_ci_u32 s10, s39, s0
	s_mul_i32 s36, s35, s37
	s_add_co_ci_u32 s37, s40, 0
	s_delay_alu instid0(SALU_CYCLE_1) | instskip(NEXT) | instid1(SALU_CYCLE_1)
	s_add_nc_u64 s[36:37], s[10:11], s[36:37]
	s_add_co_u32 s0, s34, s36
	s_cselect_b32 s3, -1, 0
	v_mul_hi_u32 v56, v48, s0
	s_cmp_lg_u32 s3, 0
	s_add_co_ci_u32 s10, s35, s37
	s_and_b64 s[34:35], s[0:1], s[20:21]
	v_mul_u64_e32 v[50:51], s[10:11], v[48:49]
	v_mul_u64_e32 v[46:47], s[34:35], v[52:53]
	;; [unrolled: 1-line block ×3, first 2 shown]
	s_delay_alu instid0(VALU_DEP_3) | instskip(NEXT) | instid1(VALU_DEP_1)
	v_add_nc_u64_e32 v[50:51], v[56:57], v[50:51]
	v_add_co_u32 v5, vcc_lo, v50, v46
	s_delay_alu instid0(VALU_DEP_2) | instskip(NEXT) | instid1(VALU_DEP_4)
	v_add_co_ci_u32_e32 v56, vcc_lo, v51, v47, vcc_lo
	v_add_co_ci_u32_e32 v55, vcc_lo, 0, v55, vcc_lo
	s_delay_alu instid0(VALU_DEP_1) | instskip(NEXT) | instid1(VALU_DEP_1)
	v_add_nc_u64_e32 v[46:47], v[56:57], v[54:55]
	v_mul_u64_e32 v[50:51], s[22:23], v[46:47]
	s_delay_alu instid0(VALU_DEP_1) | instskip(NEXT) | instid1(VALU_DEP_2)
	v_sub_nc_u32_e32 v5, v52, v51
	v_sub_co_u32 v25, vcc_lo, v48, v50
	s_delay_alu instid0(VALU_DEP_1) | instskip(NEXT) | instid1(VALU_DEP_3)
	v_sub_co_ci_u32_e64 v29, null, v52, v51, vcc_lo
	v_subrev_co_ci_u32_e64 v5, null, s23, v5, vcc_lo
	s_delay_alu instid0(VALU_DEP_3) | instskip(SKIP_1) | instid1(VALU_DEP_3)
	v_sub_co_u32 v27, s0, v25, s22
	v_add_nc_u64_e32 v[48:49], 2, v[46:47]
	v_subrev_co_ci_u32_e64 v5, null, 0, v5, s0
	s_delay_alu instid0(VALU_DEP_3) | instskip(SKIP_2) | instid1(VALU_DEP_4)
	v_cmp_le_u32_e32 vcc_lo, s22, v27
	v_add_nc_u64_e32 v[50:51], 1, v[46:47]
	v_cndmask_b32_e64 v27, 0, -1, vcc_lo
	v_cmp_le_u32_e32 vcc_lo, s23, v5
	v_cndmask_b32_e64 v31, 0, -1, vcc_lo
	v_cmp_le_u32_e32 vcc_lo, s22, v25
	;; [unrolled: 2-line block ×3, first 2 shown]
	v_cndmask_b32_e64 v52, 0, -1, vcc_lo
	v_cmp_eq_u32_e32 vcc_lo, s23, v5
	v_cndmask_b32_e32 v5, v31, v27, vcc_lo
	v_cmp_eq_u32_e32 vcc_lo, s23, v29
	s_delay_alu instid0(VALU_DEP_4) | instskip(NEXT) | instid1(VALU_DEP_3)
	v_dual_mov_b32 v31, v30 :: v_dual_cndmask_b32 v25, v52, v25, vcc_lo
	v_cmp_ne_u32_e32 vcc_lo, 0, v5
	s_delay_alu instid0(VALU_DEP_2) | instskip(SKIP_1) | instid1(VALU_DEP_1)
	v_cmp_ne_u32_e64 s0, 0, v25
	v_dual_cndmask_b32 v5, v51, v49, vcc_lo :: v_dual_cndmask_b32 v25, v50, v48, vcc_lo
	v_cndmask_b32_e64 v25, v46, v25, s0
	s_delay_alu instid0(VALU_DEP_1) | instskip(NEXT) | instid1(VALU_DEP_1)
	v_dual_cndmask_b32 v5, v47, v5, s0 :: v_dual_bitop2_b32 v46, v25, v30 bitop3:0x14
	v_xor_b32_e32 v47, v5, v30
	s_delay_alu instid0(VALU_DEP_1)
	v_sub_nc_u64_e32 v[30:31], v[46:47], v[30:31]
.LBB130_15:                             ;   in Loop: Header=BB130_13 Depth=2
	s_and_not1_saveexec_b32 s0, s33
	s_cbranch_execz .LBB130_17
; %bb.16:                               ;   in Loop: Header=BB130_13 Depth=2
	v_mul_hi_u32 v5, v28, v44
	s_delay_alu instid0(VALU_DEP_1) | instskip(SKIP_1) | instid1(VALU_DEP_1)
	v_dual_mov_b32 v31, v4 :: v_dual_add_nc_u32 v27, 1, v5
	v_mul_lo_u32 v25, v5, s8
	v_sub_nc_u32_e32 v25, v28, v25
	s_delay_alu instid0(VALU_DEP_1) | instskip(NEXT) | instid1(VALU_DEP_4)
	v_cmp_le_u32_e32 vcc_lo, s8, v25
	v_cndmask_b32_e32 v5, v5, v27, vcc_lo
	v_subrev_nc_u32_e32 v29, s8, v25
	s_delay_alu instid0(VALU_DEP_2) | instskip(NEXT) | instid1(VALU_DEP_2)
	v_add_nc_u32_e32 v27, 1, v5
	v_cndmask_b32_e32 v25, v25, v29, vcc_lo
	s_delay_alu instid0(VALU_DEP_1) | instskip(NEXT) | instid1(VALU_DEP_3)
	v_cmp_le_u32_e32 vcc_lo, s8, v25
	v_cndmask_b32_e32 v30, v5, v27, vcc_lo
.LBB130_17:                             ;   in Loop: Header=BB130_13 Depth=2
	s_or_b32 exec_lo, exec_lo, s0
	s_delay_alu instid0(VALU_DEP_1) | instskip(SKIP_2) | instid1(SALU_CYCLE_1)
	v_cmp_ne_u64_e64 s0, v[30:31], v[22:23]
	v_cmp_eq_u64_e32 vcc_lo, v[30:31], v[22:23]
	s_and_saveexec_b32 s3, s0
	s_xor_b32 s0, exec_lo, s3
; %bb.18:                               ;   in Loop: Header=BB130_13 Depth=2
	v_min_i64 v[20:21], v[30:31], v[20:21]
                                        ; implicit-def: $vgpr28_vgpr29
                                        ; implicit-def: $vgpr3
; %bb.19:                               ;   in Loop: Header=BB130_13 Depth=2
	s_or_saveexec_b32 s0, s0
	v_mov_b32_e32 v5, v24
	s_xor_b32 exec_lo, exec_lo, s0
	s_cbranch_execz .LBB130_12
; %bb.20:                               ;   in Loop: Header=BB130_13 Depth=2
	v_dual_ashrrev_i32 v25, 31, v24 :: v_dual_sub_nc_u32 v5, v28, v26
	s_delay_alu instid0(VALU_DEP_1) | instskip(NEXT) | instid1(VALU_DEP_2)
	v_lshl_add_u64 v[30:31], v[24:25], 3, s[16:17]
	v_lshl_add_u32 v25, v5, 3, v34
	v_mov_b32_e32 v5, v3
	global_load_b64 v[30:31], v[30:31], off
	ds_store_b8 v32, v43 offset:8192
	s_wait_loadcnt 0x0
	ds_store_b64 v25, v[30:31]
	s_branch .LBB130_12
.LBB130_21:                             ;   in Loop: Header=BB130_10 Depth=1
	s_or_b32 exec_lo, exec_lo, s31
.LBB130_22:                             ;   in Loop: Header=BB130_10 Depth=1
	s_delay_alu instid0(SALU_CYCLE_1)
	s_or_b32 exec_lo, exec_lo, s30
	ds_bpermute_b32 v3, v37, v5
	s_wait_dscnt 0x0
	ds_load_u8 v22, v32 offset:8192
	v_min_i32_e32 v3, v3, v5
	ds_bpermute_b32 v5, v38, v3
	s_wait_dscnt 0x0
	v_min_i32_e32 v3, v5, v3
	ds_bpermute_b32 v28, v35, v3
	v_and_b32_e32 v3, 1, v22
	s_delay_alu instid0(VALU_DEP_1)
	v_cmp_eq_u32_e32 vcc_lo, 1, v3
	v_mov_b32_e32 v3, 0
	s_and_saveexec_b32 s0, vcc_lo
	s_cbranch_execz .LBB130_9
; %bb.23:                               ;   in Loop: Header=BB130_10 Depth=1
	v_dual_ashrrev_i32 v3, 31, v2 :: v_dual_add_nc_u32 v26, s24, v45
	s_delay_alu instid0(VALU_DEP_1) | instskip(NEXT) | instid1(VALU_DEP_2)
	v_mul_u64_e32 v[22:23], s[12:13], v[2:3]
	v_ashrrev_i32_e32 v27, 31, v26
	global_store_b64 v2, v[26:27], s[4:5] scale_offset
	v_lshlrev_b64_e32 v[22:23], 3, v[22:23]
	s_delay_alu instid0(VALU_DEP_1)
	v_add_nc_u64_e32 v[24:25], v[6:7], v[22:23]
	v_add_nc_u64_e32 v[22:23], v[8:9], v[22:23]
	s_wait_xcnt 0x0
	s_and_saveexec_b32 s3, s26
	s_cbranch_execz .LBB130_27
; %bb.24:                               ;   in Loop: Header=BB130_10 Depth=1
	ds_load_b64 v[26:27], v36
	s_and_b32 vcc_lo, exec_lo, s25
	s_cbranch_vccz .LBB130_38
; %bb.25:                               ;   in Loop: Header=BB130_10 Depth=1
	v_lshl_add_u64 v[30:31], v[10:11], 3, v[24:25]
	s_wait_dscnt 0x0
	global_store_b64 v[30:31], v[26:27], off
	s_cbranch_execnz .LBB130_27
.LBB130_26:                             ;   in Loop: Header=BB130_10 Depth=1
	s_wait_xcnt 0x0
	v_dual_mov_b32 v31, v4 :: v_dual_lshlrev_b32 v30, 3, v0
	s_delay_alu instid0(VALU_DEP_1)
	v_add_nc_u64_e32 v[30:31], v[22:23], v[30:31]
	s_wait_dscnt 0x0
	global_store_b64 v[30:31], v[26:27], off
.LBB130_27:                             ;   in Loop: Header=BB130_10 Depth=1
	s_wait_xcnt 0x0
	s_or_b32 exec_lo, exec_lo, s3
	s_and_saveexec_b32 s3, s27
	s_cbranch_execz .LBB130_31
; %bb.28:                               ;   in Loop: Header=BB130_10 Depth=1
	s_and_not1_b32 vcc_lo, exec_lo, s25
	s_cbranch_vccnz .LBB130_39
; %bb.29:                               ;   in Loop: Header=BB130_10 Depth=1
	s_wait_dscnt 0x0
	ds_load_b64 v[26:27], v36 offset:32
	v_lshl_add_u64 v[30:31], v[12:13], 3, v[24:25]
	s_wait_dscnt 0x0
	global_store_b64 v[30:31], v[26:27], off
	s_cbranch_execnz .LBB130_31
.LBB130_30:                             ;   in Loop: Header=BB130_10 Depth=1
	s_wait_dscnt 0x0
	s_wait_xcnt 0x0
	ds_load_b64 v[26:27], v36 offset:32
	v_dual_mov_b32 v31, v4 :: v_dual_lshlrev_b32 v30, 3, v0
	s_delay_alu instid0(VALU_DEP_1)
	v_add_nc_u64_e32 v[30:31], v[22:23], v[30:31]
	s_wait_dscnt 0x0
	global_store_b64 v[30:31], v[26:27], off offset:32
.LBB130_31:                             ;   in Loop: Header=BB130_10 Depth=1
	s_wait_xcnt 0x0
	s_or_b32 exec_lo, exec_lo, s3
	s_and_saveexec_b32 s3, s1
	s_cbranch_execz .LBB130_35
; %bb.32:                               ;   in Loop: Header=BB130_10 Depth=1
	s_and_not1_b32 vcc_lo, exec_lo, s25
	s_cbranch_vccnz .LBB130_40
; %bb.33:                               ;   in Loop: Header=BB130_10 Depth=1
	s_wait_dscnt 0x0
	ds_load_b64 v[26:27], v36 offset:64
	v_lshl_add_u64 v[30:31], v[14:15], 3, v[24:25]
	s_wait_dscnt 0x0
	global_store_b64 v[30:31], v[26:27], off
	s_cbranch_execnz .LBB130_35
.LBB130_34:                             ;   in Loop: Header=BB130_10 Depth=1
	s_wait_dscnt 0x0
	s_wait_xcnt 0x0
	ds_load_b64 v[26:27], v36 offset:64
	v_dual_mov_b32 v31, v4 :: v_dual_lshlrev_b32 v30, 3, v0
	s_delay_alu instid0(VALU_DEP_1)
	v_add_nc_u64_e32 v[30:31], v[22:23], v[30:31]
	s_wait_dscnt 0x0
	global_store_b64 v[30:31], v[26:27], off offset:64
.LBB130_35:                             ;   in Loop: Header=BB130_10 Depth=1
	s_wait_xcnt 0x0
	s_or_b32 exec_lo, exec_lo, s3
	s_and_saveexec_b32 s3, s28
	s_cbranch_execz .LBB130_8
; %bb.36:                               ;   in Loop: Header=BB130_10 Depth=1
	s_and_not1_b32 vcc_lo, exec_lo, s25
	s_cbranch_vccnz .LBB130_41
; %bb.37:                               ;   in Loop: Header=BB130_10 Depth=1
	s_wait_dscnt 0x0
	ds_load_b64 v[26:27], v36 offset:96
	v_lshl_add_u64 v[24:25], v[16:17], 3, v[24:25]
	s_wait_dscnt 0x0
	global_store_b64 v[24:25], v[26:27], off
	s_cbranch_execnz .LBB130_8
	s_branch .LBB130_42
.LBB130_38:                             ;   in Loop: Header=BB130_10 Depth=1
	s_branch .LBB130_26
.LBB130_39:                             ;   in Loop: Header=BB130_10 Depth=1
	s_branch .LBB130_30
.LBB130_40:                             ;   in Loop: Header=BB130_10 Depth=1
	s_branch .LBB130_34
.LBB130_41:                             ;   in Loop: Header=BB130_10 Depth=1
.LBB130_42:                             ;   in Loop: Header=BB130_10 Depth=1
	s_wait_xcnt 0x0
	ds_load_b64 v[24:25], v36 offset:96
	s_wait_dscnt 0x1
	v_dual_mov_b32 v27, v4 :: v_dual_lshlrev_b32 v26, 3, v0
	s_delay_alu instid0(VALU_DEP_1)
	v_add_nc_u64_e32 v[22:23], v[22:23], v[26:27]
	s_wait_dscnt 0x0
	global_store_b64 v[22:23], v[24:25], off offset:96
	s_branch .LBB130_8
.LBB130_43:
	s_endpgm
	.section	.rodata,"a",@progbits
	.p2align	6, 0x0
	.amdhsa_kernel _ZN9rocsparseL42csr2bsr_wavefront_per_row_multipass_kernelILj256ELj64ELj16EdilEEv20rocsparse_direction_T4_S2_S2_S2_S2_21rocsparse_index_base_PKT2_PKT3_PKS2_S3_PS4_PS7_PS2_
		.amdhsa_group_segment_fixed_size 8200
		.amdhsa_private_segment_fixed_size 0
		.amdhsa_kernarg_size 112
		.amdhsa_user_sgpr_count 2
		.amdhsa_user_sgpr_dispatch_ptr 0
		.amdhsa_user_sgpr_queue_ptr 0
		.amdhsa_user_sgpr_kernarg_segment_ptr 1
		.amdhsa_user_sgpr_dispatch_id 0
		.amdhsa_user_sgpr_kernarg_preload_length 0
		.amdhsa_user_sgpr_kernarg_preload_offset 0
		.amdhsa_user_sgpr_private_segment_size 0
		.amdhsa_wavefront_size32 1
		.amdhsa_uses_dynamic_stack 0
		.amdhsa_enable_private_segment 0
		.amdhsa_system_sgpr_workgroup_id_x 1
		.amdhsa_system_sgpr_workgroup_id_y 0
		.amdhsa_system_sgpr_workgroup_id_z 0
		.amdhsa_system_sgpr_workgroup_info 0
		.amdhsa_system_vgpr_workitem_id 0
		.amdhsa_next_free_vgpr 58
		.amdhsa_next_free_sgpr 43
		.amdhsa_named_barrier_count 0
		.amdhsa_reserve_vcc 1
		.amdhsa_float_round_mode_32 0
		.amdhsa_float_round_mode_16_64 0
		.amdhsa_float_denorm_mode_32 3
		.amdhsa_float_denorm_mode_16_64 3
		.amdhsa_fp16_overflow 0
		.amdhsa_memory_ordered 1
		.amdhsa_forward_progress 1
		.amdhsa_inst_pref_size 21
		.amdhsa_round_robin_scheduling 0
		.amdhsa_exception_fp_ieee_invalid_op 0
		.amdhsa_exception_fp_denorm_src 0
		.amdhsa_exception_fp_ieee_div_zero 0
		.amdhsa_exception_fp_ieee_overflow 0
		.amdhsa_exception_fp_ieee_underflow 0
		.amdhsa_exception_fp_ieee_inexact 0
		.amdhsa_exception_int_div_zero 0
	.end_amdhsa_kernel
	.section	.text._ZN9rocsparseL42csr2bsr_wavefront_per_row_multipass_kernelILj256ELj64ELj16EdilEEv20rocsparse_direction_T4_S2_S2_S2_S2_21rocsparse_index_base_PKT2_PKT3_PKS2_S3_PS4_PS7_PS2_,"axG",@progbits,_ZN9rocsparseL42csr2bsr_wavefront_per_row_multipass_kernelILj256ELj64ELj16EdilEEv20rocsparse_direction_T4_S2_S2_S2_S2_21rocsparse_index_base_PKT2_PKT3_PKS2_S3_PS4_PS7_PS2_,comdat
.Lfunc_end130:
	.size	_ZN9rocsparseL42csr2bsr_wavefront_per_row_multipass_kernelILj256ELj64ELj16EdilEEv20rocsparse_direction_T4_S2_S2_S2_S2_21rocsparse_index_base_PKT2_PKT3_PKS2_S3_PS4_PS7_PS2_, .Lfunc_end130-_ZN9rocsparseL42csr2bsr_wavefront_per_row_multipass_kernelILj256ELj64ELj16EdilEEv20rocsparse_direction_T4_S2_S2_S2_S2_21rocsparse_index_base_PKT2_PKT3_PKS2_S3_PS4_PS7_PS2_
                                        ; -- End function
	.set _ZN9rocsparseL42csr2bsr_wavefront_per_row_multipass_kernelILj256ELj64ELj16EdilEEv20rocsparse_direction_T4_S2_S2_S2_S2_21rocsparse_index_base_PKT2_PKT3_PKS2_S3_PS4_PS7_PS2_.num_vgpr, 58
	.set _ZN9rocsparseL42csr2bsr_wavefront_per_row_multipass_kernelILj256ELj64ELj16EdilEEv20rocsparse_direction_T4_S2_S2_S2_S2_21rocsparse_index_base_PKT2_PKT3_PKS2_S3_PS4_PS7_PS2_.num_agpr, 0
	.set _ZN9rocsparseL42csr2bsr_wavefront_per_row_multipass_kernelILj256ELj64ELj16EdilEEv20rocsparse_direction_T4_S2_S2_S2_S2_21rocsparse_index_base_PKT2_PKT3_PKS2_S3_PS4_PS7_PS2_.numbered_sgpr, 43
	.set _ZN9rocsparseL42csr2bsr_wavefront_per_row_multipass_kernelILj256ELj64ELj16EdilEEv20rocsparse_direction_T4_S2_S2_S2_S2_21rocsparse_index_base_PKT2_PKT3_PKS2_S3_PS4_PS7_PS2_.num_named_barrier, 0
	.set _ZN9rocsparseL42csr2bsr_wavefront_per_row_multipass_kernelILj256ELj64ELj16EdilEEv20rocsparse_direction_T4_S2_S2_S2_S2_21rocsparse_index_base_PKT2_PKT3_PKS2_S3_PS4_PS7_PS2_.private_seg_size, 0
	.set _ZN9rocsparseL42csr2bsr_wavefront_per_row_multipass_kernelILj256ELj64ELj16EdilEEv20rocsparse_direction_T4_S2_S2_S2_S2_21rocsparse_index_base_PKT2_PKT3_PKS2_S3_PS4_PS7_PS2_.uses_vcc, 1
	.set _ZN9rocsparseL42csr2bsr_wavefront_per_row_multipass_kernelILj256ELj64ELj16EdilEEv20rocsparse_direction_T4_S2_S2_S2_S2_21rocsparse_index_base_PKT2_PKT3_PKS2_S3_PS4_PS7_PS2_.uses_flat_scratch, 0
	.set _ZN9rocsparseL42csr2bsr_wavefront_per_row_multipass_kernelILj256ELj64ELj16EdilEEv20rocsparse_direction_T4_S2_S2_S2_S2_21rocsparse_index_base_PKT2_PKT3_PKS2_S3_PS4_PS7_PS2_.has_dyn_sized_stack, 0
	.set _ZN9rocsparseL42csr2bsr_wavefront_per_row_multipass_kernelILj256ELj64ELj16EdilEEv20rocsparse_direction_T4_S2_S2_S2_S2_21rocsparse_index_base_PKT2_PKT3_PKS2_S3_PS4_PS7_PS2_.has_recursion, 0
	.set _ZN9rocsparseL42csr2bsr_wavefront_per_row_multipass_kernelILj256ELj64ELj16EdilEEv20rocsparse_direction_T4_S2_S2_S2_S2_21rocsparse_index_base_PKT2_PKT3_PKS2_S3_PS4_PS7_PS2_.has_indirect_call, 0
	.section	.AMDGPU.csdata,"",@progbits
; Kernel info:
; codeLenInByte = 2592
; TotalNumSgprs: 45
; NumVgprs: 58
; ScratchSize: 0
; MemoryBound: 0
; FloatMode: 240
; IeeeMode: 1
; LDSByteSize: 8200 bytes/workgroup (compile time only)
; SGPRBlocks: 0
; VGPRBlocks: 3
; NumSGPRsForWavesPerEU: 45
; NumVGPRsForWavesPerEU: 58
; NamedBarCnt: 0
; Occupancy: 16
; WaveLimiterHint : 0
; COMPUTE_PGM_RSRC2:SCRATCH_EN: 0
; COMPUTE_PGM_RSRC2:USER_SGPR: 2
; COMPUTE_PGM_RSRC2:TRAP_HANDLER: 0
; COMPUTE_PGM_RSRC2:TGID_X_EN: 1
; COMPUTE_PGM_RSRC2:TGID_Y_EN: 0
; COMPUTE_PGM_RSRC2:TGID_Z_EN: 0
; COMPUTE_PGM_RSRC2:TIDIG_COMP_CNT: 0
	.section	.text._ZN9rocsparseL42csr2bsr_wavefront_per_row_multipass_kernelILj256ELj32ELj16EdilEEv20rocsparse_direction_T4_S2_S2_S2_S2_21rocsparse_index_base_PKT2_PKT3_PKS2_S3_PS4_PS7_PS2_,"axG",@progbits,_ZN9rocsparseL42csr2bsr_wavefront_per_row_multipass_kernelILj256ELj32ELj16EdilEEv20rocsparse_direction_T4_S2_S2_S2_S2_21rocsparse_index_base_PKT2_PKT3_PKS2_S3_PS4_PS7_PS2_,comdat
	.globl	_ZN9rocsparseL42csr2bsr_wavefront_per_row_multipass_kernelILj256ELj32ELj16EdilEEv20rocsparse_direction_T4_S2_S2_S2_S2_21rocsparse_index_base_PKT2_PKT3_PKS2_S3_PS4_PS7_PS2_ ; -- Begin function _ZN9rocsparseL42csr2bsr_wavefront_per_row_multipass_kernelILj256ELj32ELj16EdilEEv20rocsparse_direction_T4_S2_S2_S2_S2_21rocsparse_index_base_PKT2_PKT3_PKS2_S3_PS4_PS7_PS2_
	.p2align	8
	.type	_ZN9rocsparseL42csr2bsr_wavefront_per_row_multipass_kernelILj256ELj32ELj16EdilEEv20rocsparse_direction_T4_S2_S2_S2_S2_21rocsparse_index_base_PKT2_PKT3_PKS2_S3_PS4_PS7_PS2_,@function
_ZN9rocsparseL42csr2bsr_wavefront_per_row_multipass_kernelILj256ELj32ELj16EdilEEv20rocsparse_direction_T4_S2_S2_S2_S2_21rocsparse_index_base_PKT2_PKT3_PKS2_S3_PS4_PS7_PS2_: ; @_ZN9rocsparseL42csr2bsr_wavefront_per_row_multipass_kernelILj256ELj32ELj16EdilEEv20rocsparse_direction_T4_S2_S2_S2_S2_21rocsparse_index_base_PKT2_PKT3_PKS2_S3_PS4_PS7_PS2_
; %bb.0:
	s_bfe_u32 s2, ttmp6, 0x4000c
	s_clause 0x1
	s_load_b96 s[12:14], s[0:1], 0x28
	s_load_b64 s[6:7], s[0:1], 0x40
	s_add_co_i32 s2, s2, 1
	s_and_b32 s3, ttmp6, 15
	s_mul_i32 s2, ttmp9, s2
	s_getreg_b32 s4, hwreg(HW_REG_IB_STS2, 6, 4)
	s_add_co_i32 s3, s3, s2
	s_cmp_eq_u32 s4, 0
	v_dual_mov_b32 v43, 0 :: v_dual_lshrrev_b32 v42, 5, v0
	s_cselect_b32 s4, ttmp9, s3
	v_bfe_u32 v4, v0, 1, 4
	s_ashr_i32 s5, s4, 31
	v_mov_b32_e32 v38, 0
	s_lshl_b64 s[2:3], s[4:5], 3
	s_delay_alu instid0(SALU_CYCLE_1) | instskip(SKIP_2) | instid1(VALU_DEP_1)
	v_dual_mov_b32 v5, v43 :: v_dual_bitop2_b32 v1, s2, v42 bitop3:0x54
	s_load_b128 s[8:11], s[0:1], 0x18
	s_wait_kmcnt 0x0
	v_mad_nc_u64_u32 v[2:3], v1, s12, v[4:5]
	s_delay_alu instid0(VALU_DEP_1) | instskip(SKIP_1) | instid1(VALU_DEP_1)
	v_mad_u32 v3, s3, s12, v3
	s_load_b64 s[2:3], s[0:1], 0x8
	v_mad_u32 v3, v1, s13, v3
	s_wait_kmcnt 0x0
	s_delay_alu instid0(VALU_DEP_1) | instskip(SKIP_2) | instid1(SALU_CYCLE_1)
	v_cmp_gt_i64_e32 vcc_lo, s[2:3], v[2:3]
	v_cmp_gt_i64_e64 s2, s[12:13], v[4:5]
	s_and_b32 s3, s2, vcc_lo
	s_and_saveexec_b32 s5, s3
	s_cbranch_execz .LBB131_2
; %bb.1:
	v_lshl_add_u64 v[6:7], v[2:3], 2, s[6:7]
	global_load_b32 v1, v[6:7], off
	s_wait_loadcnt 0x0
	v_subrev_nc_u32_e32 v38, s14, v1
.LBB131_2:
	s_or_b32 exec_lo, exec_lo, s5
	s_and_saveexec_b32 s5, s3
	s_cbranch_execz .LBB131_4
; %bb.3:
	v_lshl_add_u64 v[2:3], v[2:3], 2, s[6:7]
	global_load_b32 v1, v[2:3], off offset:4
	s_wait_loadcnt 0x0
	v_subrev_nc_u32_e32 v43, s14, v1
.LBB131_4:
	s_or_b32 exec_lo, exec_lo, s5
	s_load_b32 s24, s[0:1], 0x50
	v_mov_b32_e32 v7, 0
	v_lshl_or_b32 v6, s4, 3, v42
	s_mov_b32 s3, exec_lo
	s_delay_alu instid0(VALU_DEP_2) | instskip(NEXT) | instid1(VALU_DEP_2)
	v_mov_b32_e32 v2, v7
	v_cmpx_gt_i64_e64 s[8:9], v[6:7]
	s_cbranch_execz .LBB131_6
; %bb.5:
	s_load_b64 s[4:5], s[0:1], 0x60
	s_wait_kmcnt 0x0
	v_lshl_add_u64 v[2:3], v[6:7], 2, s[4:5]
	global_load_b32 v1, v[2:3], off
	s_wait_loadcnt 0x0
	v_subrev_nc_u32_e32 v2, s24, v1
.LBB131_6:
	s_or_b32 exec_lo, exec_lo, s3
	v_cmp_lt_i64_e64 s3, s[10:11], 1
	s_and_b32 vcc_lo, exec_lo, s3
	s_cbranch_vccnz .LBB131_63
; %bb.7:
	v_mbcnt_lo_u32_b32 v1, -1, 0
	v_mul_u64_e32 v[8:9], s[12:13], v[4:5]
	v_dual_lshlrev_b32 v6, 3, v4 :: v_dual_lshlrev_b32 v3, 7, v4
	s_delay_alu instid0(VALU_DEP_3) | instskip(SKIP_2) | instid1(VALU_DEP_4)
	v_dual_mov_b32 v4, 0 :: v_dual_bitop2_b32 v5, 1, v1 bitop3:0x14
	v_xor_b32_e32 v11, 2, v1
	v_xor_b32_e32 v10, 4, v1
	v_lshl_or_b32 v44, v42, 11, v3
	s_clause 0x4
	s_load_b64 s[4:5], s[0:1], 0x58
	s_load_b64 s[8:9], s[0:1], 0x48
	s_load_b64 s[16:17], s[0:1], 0x38
	s_load_b32 s3, s[0:1], 0x0
	s_load_b64 s[18:19], s[0:1], 0x68
	v_cmp_gt_i32_e32 vcc_lo, 32, v5
	v_dual_mov_b32 v7, v4 :: v_dual_bitop2_b32 v0, 1, v0 bitop3:0x40
	v_lshl_or_b32 v47, v1, 2, 4
	v_dual_mov_b32 v52, 0x7c :: v_dual_cndmask_b32 v3, v1, v5
	s_delay_alu instid0(VALU_DEP_3) | instskip(SKIP_1) | instid1(VALU_DEP_3)
	v_dual_mov_b32 v27, v4 :: v_dual_bitop2_b32 v26, 2, v0 bitop3:0x54
	v_dual_mov_b32 v29, v4 :: v_dual_bitop2_b32 v28, 4, v0 bitop3:0x54
	v_dual_lshlrev_b32 v46, 2, v3 :: v_dual_bitop2_b32 v3, 16, v1 bitop3:0x14
	v_dual_mov_b32 v31, v4 :: v_dual_bitop2_b32 v30, 6, v0 bitop3:0x54
	v_dual_mov_b32 v33, v4 :: v_dual_bitop2_b32 v32, 8, v0 bitop3:0x54
	s_delay_alu instid0(VALU_DEP_3) | instskip(SKIP_4) | instid1(VALU_DEP_4)
	v_cmp_gt_i32_e32 vcc_lo, 32, v3
	v_xor_b32_e32 v5, 8, v1
	v_dual_mov_b32 v35, v4 :: v_dual_bitop2_b32 v34, 10, v0 bitop3:0x54
	v_dual_mov_b32 v37, v4 :: v_dual_bitop2_b32 v36, 12, v0 bitop3:0x54
	v_cndmask_b32_e32 v3, v1, v3, vcc_lo
	v_cmp_gt_i32_e32 vcc_lo, 32, v5
	v_dual_mov_b32 v41, v4 :: v_dual_bitop2_b32 v40, 14, v0 bitop3:0x54
	v_mul_u64_e32 v[12:13], s[12:13], v[26:27]
	v_mul_u64_e32 v[14:15], s[12:13], v[28:29]
	v_cndmask_b32_e32 v5, v1, v5, vcc_lo
	v_cmp_gt_i32_e32 vcc_lo, 32, v10
	v_lshlrev_b32_e32 v48, 2, v3
	v_cvt_f32_u32_e32 v3, s12
	v_mul_u64_e32 v[16:17], s[12:13], v[30:31]
	v_mul_u64_e32 v[18:19], s[12:13], v[32:33]
	v_cndmask_b32_e32 v10, v1, v10, vcc_lo
	v_cmp_gt_i32_e32 vcc_lo, 32, v11
	v_rcp_iflag_f32_e32 v3, v3
	v_mul_u64_e32 v[20:21], s[12:13], v[34:35]
	v_mul_u64_e32 v[22:23], s[12:13], v[36:37]
	;; [unrolled: 1-line block ×3, first 2 shown]
	v_dual_cndmask_b32 v1, v1, v11 :: v_dual_lshlrev_b32 v50, 2, v10
	s_wait_xcnt 0x0
	v_cmp_gt_u64_e64 s1, s[12:13], v[28:29]
	v_dual_mul_f32 v3, 0x4f7ffffe, v3 :: v_dual_lshlrev_b32 v28, 3, v0
	s_delay_alu instid0(VALU_DEP_3) | instskip(SKIP_2) | instid1(VALU_DEP_2)
	v_dual_lshlrev_b32 v51, 2, v1 :: v_dual_mov_b32 v1, v4
	s_wait_kmcnt 0x0
	s_cmp_lg_u32 s3, 0
	v_cvt_u32_f32_e32 v3, v3
	s_cselect_b32 s25, -1, 0
	s_sub_co_i32 s0, 0, s12
	v_mul_u64_e32 v[10:11], s[12:13], v[0:1]
	v_cmp_gt_u64_e32 vcc_lo, s[12:13], v[0:1]
	v_mul_lo_u32 v1, s0, v3
	v_lshlrev_b32_e32 v49, 2, v5
	v_add_nc_u64_e32 v[6:7], s[4:5], v[6:7]
	v_lshl_add_u64 v[8:9], v[8:9], 3, s[4:5]
	v_cmp_gt_u64_e64 s0, s[12:13], v[26:27]
	v_cmp_gt_u64_e64 s3, s[12:13], v[30:31]
	;; [unrolled: 1-line block ×6, first 2 shown]
	v_mov_b64_e32 v[32:33], 0
	v_mul_hi_u32 v5, v3, v1
	v_mov_b64_e32 v[26:27], 0
	v_lshl_or_b32 v45, v0, 3, v44
	v_dual_mov_b32 v1, 1 :: v_dual_mov_b32 v29, 0
	s_mov_b32 s15, 0
	s_mul_u64 s[20:21], s[12:13], s[12:13]
	s_mov_b32 s22, s14
	s_mov_b32 s23, s15
	s_and_b32 s26, s2, vcc_lo
	s_and_b32 s27, s2, s0
	s_delay_alu instid0(VALU_DEP_4)
	v_add_nc_u32_e32 v53, v3, v5
	s_and_b32 s1, s2, s1
	s_and_b32 s28, s2, s3
	;; [unrolled: 1-line block ×5, first 2 shown]
	s_mov_b64 s[4:5], 0xffffffff
	s_and_b32 s33, s2, s7
	s_ashr_i32 s2, s13, 31
	s_mov_b32 s34, 0
	s_branch .LBB131_10
.LBB131_8:                              ;   in Loop: Header=BB131_10 Depth=1
	s_wait_xcnt 0x0
	s_or_b32 exec_lo, exec_lo, s3
	v_mov_b32_e32 v3, 1
.LBB131_9:                              ;   in Loop: Header=BB131_10 Depth=1
	s_or_b32 exec_lo, exec_lo, s0
	ds_bpermute_b32 v32, v48, v30
	ds_bpermute_b32 v33, v48, v31
	s_wait_storecnt_dscnt 0x0
	v_add_nc_u32_e32 v2, v3, v2
	v_min_i64 v[30:31], v[32:33], v[30:31]
	ds_bpermute_b32 v32, v49, v30
	ds_bpermute_b32 v33, v49, v31
	s_wait_dscnt 0x0
	v_min_i64 v[30:31], v[32:33], v[30:31]
	ds_bpermute_b32 v32, v50, v30
	ds_bpermute_b32 v33, v50, v31
	s_wait_dscnt 0x0
	;; [unrolled: 4-line block ×4, first 2 shown]
	v_min_i64 v[30:31], v[32:33], v[30:31]
	ds_bpermute_b32 v32, v52, v30
	s_wait_dscnt 0x0
	v_dual_ashrrev_i32 v33, 31, v32 :: v_dual_mov_b32 v29, v32
	s_delay_alu instid0(VALU_DEP_1) | instskip(SKIP_1) | instid1(SALU_CYCLE_1)
	v_cmp_le_i64_e32 vcc_lo, s[10:11], v[32:33]
	s_or_b32 s34, vcc_lo, s34
	s_and_not1_b32 exec_lo, exec_lo, s34
	s_cbranch_execz .LBB131_63
.LBB131_10:                             ; =>This Loop Header: Depth=1
                                        ;     Child Loop BB131_13 Depth 2
	v_mov_b64_e32 v[30:31], s[10:11]
	v_dual_mov_b32 v5, v43 :: v_dual_add_nc_u32 v34, v38, v0
	s_mov_b32 s35, exec_lo
	ds_store_b8 v42, v4 offset:16384
	ds_store_2addr_b64 v45, v[26:27], v[26:27] offset1:2
	ds_store_2addr_b64 v45, v[26:27], v[26:27] offset0:4 offset1:6
	ds_store_2addr_b64 v45, v[26:27], v[26:27] offset0:8 offset1:10
	;; [unrolled: 1-line block ×3, first 2 shown]
	s_wait_dscnt 0x0
	v_cmpx_lt_i32_e64 v34, v43
	s_cbranch_execz .LBB131_22
; %bb.11:                               ;   in Loop: Header=BB131_10 Depth=1
	v_mul_u64_e32 v[36:37], s[12:13], v[32:33]
	v_mov_b64_e32 v[30:31], s[10:11]
	v_mov_b32_e32 v3, v43
	s_mov_b32 s36, 0
	s_branch .LBB131_13
.LBB131_12:                             ;   in Loop: Header=BB131_13 Depth=2
	s_wait_xcnt 0x0
	s_or_b32 exec_lo, exec_lo, s0
	v_dual_mov_b32 v3, v5 :: v_dual_add_nc_u32 v34, 2, v34
	s_xor_b32 s3, vcc_lo, -1
	s_delay_alu instid0(VALU_DEP_1) | instskip(SKIP_1) | instid1(SALU_CYCLE_1)
	v_cmp_ge_i32_e64 s0, v34, v43
	s_or_b32 s0, s3, s0
	s_and_b32 s0, exec_lo, s0
	s_delay_alu instid0(SALU_CYCLE_1) | instskip(NEXT) | instid1(SALU_CYCLE_1)
	s_or_b32 s36, s0, s36
	s_and_not1_b32 exec_lo, exec_lo, s36
	s_cbranch_execz .LBB131_21
.LBB131_13:                             ;   Parent Loop BB131_10 Depth=1
                                        ; =>  This Inner Loop Header: Depth=2
	global_load_b64 v[38:39], v34, s[8:9] scale_offset
                                        ; implicit-def: $vgpr40_vgpr41
	s_mov_b32 s0, exec_lo
	s_wait_loadcnt 0x0
	v_sub_nc_u64_e64 v[38:39], v[38:39], s[22:23]
	s_delay_alu instid0(VALU_DEP_1) | instskip(SKIP_1) | instid1(VALU_DEP_1)
	v_or_b32_e32 v5, s13, v39
	s_wait_xcnt 0x0
	v_cmpx_ne_u64_e32 0, v[4:5]
	s_xor_b32 s37, exec_lo, s0
	s_cbranch_execz .LBB131_15
; %bb.14:                               ;   in Loop: Header=BB131_13 Depth=2
	s_mov_b32 s3, s2
	v_dual_mov_b32 v57, v4 :: v_dual_ashrrev_i32 v40, 31, v39
	s_add_nc_u64 s[6:7], s[12:13], s[2:3]
	v_mov_b32_e32 v65, v4
	s_xor_b64 s[6:7], s[6:7], s[2:3]
	s_delay_alu instid0(VALU_DEP_2) | instskip(SKIP_3) | instid1(VALU_DEP_1)
	v_mov_b32_e32 v41, v40
	s_cvt_f32_u32 s0, s6
	s_cvt_f32_u32 s3, s7
	s_sub_nc_u64 s[40:41], 0, s[6:7]
	v_add_nc_u64_e32 v[54:55], v[38:39], v[40:41]
	s_delay_alu instid0(SALU_CYCLE_1) | instskip(SKIP_1) | instid1(SALU_CYCLE_2)
	s_fmamk_f32 s0, s3, 0x4f800000, s0
	v_mov_b32_e32 v61, v4
	v_s_rcp_f32 s0, s0
	s_delay_alu instid0(VALU_DEP_2) | instskip(NEXT) | instid1(VALU_DEP_3)
	v_xor_b32_e32 v56, v54, v40
	v_xor_b32_e32 v60, v55, v40
	s_delay_alu instid0(TRANS32_DEP_1) | instskip(NEXT) | instid1(SALU_CYCLE_3)
	s_mul_f32 s0, s0, 0x5f7ffffc
	s_mul_f32 s3, s0, 0x2f800000
	s_delay_alu instid0(SALU_CYCLE_3) | instskip(NEXT) | instid1(SALU_CYCLE_3)
	s_trunc_f32 s3, s3
	s_fmamk_f32 s0, s3, 0xcf800000, s0
	s_cvt_u32_f32 s39, s3
	s_delay_alu instid0(SALU_CYCLE_2) | instskip(NEXT) | instid1(SALU_CYCLE_3)
	s_cvt_u32_f32 s38, s0
	s_mul_u64 s[42:43], s[40:41], s[38:39]
	s_delay_alu instid0(SALU_CYCLE_1)
	s_mul_hi_u32 s45, s38, s43
	s_mul_i32 s44, s38, s43
	s_mul_hi_u32 s14, s38, s42
	s_mul_i32 s3, s39, s42
	s_add_nc_u64 s[44:45], s[14:15], s[44:45]
	s_mul_hi_u32 s0, s39, s42
	s_mul_hi_u32 s46, s39, s43
	s_add_co_u32 s3, s44, s3
	s_add_co_ci_u32 s14, s45, s0
	s_mul_i32 s42, s39, s43
	s_add_co_ci_u32 s43, s46, 0
	s_delay_alu instid0(SALU_CYCLE_1) | instskip(NEXT) | instid1(SALU_CYCLE_1)
	s_add_nc_u64 s[42:43], s[14:15], s[42:43]
	s_add_co_u32 s38, s38, s42
	s_cselect_b32 s0, -1, 0
	s_delay_alu instid0(SALU_CYCLE_1) | instskip(SKIP_1) | instid1(SALU_CYCLE_1)
	s_cmp_lg_u32 s0, 0
	s_add_co_ci_u32 s39, s39, s43
	s_mul_u64 s[40:41], s[40:41], s[38:39]
	s_delay_alu instid0(SALU_CYCLE_1)
	s_mul_hi_u32 s43, s38, s41
	s_mul_i32 s42, s38, s41
	s_mul_hi_u32 s14, s38, s40
	s_mul_i32 s3, s39, s40
	s_add_nc_u64 s[42:43], s[14:15], s[42:43]
	s_mul_hi_u32 s0, s39, s40
	s_mul_hi_u32 s44, s39, s41
	s_add_co_u32 s3, s42, s3
	s_add_co_ci_u32 s14, s43, s0
	s_mul_i32 s40, s39, s41
	s_add_co_ci_u32 s41, s44, 0
	s_delay_alu instid0(SALU_CYCLE_1) | instskip(NEXT) | instid1(SALU_CYCLE_1)
	s_add_nc_u64 s[40:41], s[14:15], s[40:41]
	s_add_co_u32 s0, s38, s40
	s_cselect_b32 s3, -1, 0
	v_mul_hi_u32 v64, v56, s0
	s_cmp_lg_u32 s3, 0
	s_add_co_ci_u32 s14, s39, s41
	s_and_b64 s[38:39], s[0:1], s[4:5]
	v_mul_u64_e32 v[58:59], s[14:15], v[56:57]
	v_mul_u64_e32 v[54:55], s[38:39], v[60:61]
	;; [unrolled: 1-line block ×3, first 2 shown]
	s_delay_alu instid0(VALU_DEP_3) | instskip(NEXT) | instid1(VALU_DEP_1)
	v_add_nc_u64_e32 v[58:59], v[64:65], v[58:59]
	v_add_co_u32 v5, vcc_lo, v58, v54
	s_delay_alu instid0(VALU_DEP_2) | instskip(NEXT) | instid1(VALU_DEP_4)
	v_add_co_ci_u32_e32 v64, vcc_lo, v59, v55, vcc_lo
	v_add_co_ci_u32_e32 v63, vcc_lo, 0, v63, vcc_lo
	s_delay_alu instid0(VALU_DEP_1) | instskip(NEXT) | instid1(VALU_DEP_1)
	v_add_nc_u64_e32 v[54:55], v[64:65], v[62:63]
	v_mul_u64_e32 v[58:59], s[6:7], v[54:55]
	s_delay_alu instid0(VALU_DEP_1) | instskip(SKIP_1) | instid1(VALU_DEP_3)
	v_sub_co_u32 v35, vcc_lo, v56, v58
	v_add_nc_u64_e32 v[56:57], 2, v[54:55]
	v_sub_nc_u32_e32 v5, v60, v59
	v_sub_co_ci_u32_e64 v39, null, v60, v59, vcc_lo
	s_delay_alu instid0(VALU_DEP_4) | instskip(NEXT) | instid1(VALU_DEP_3)
	v_sub_co_u32 v37, s0, v35, s6
	v_subrev_co_ci_u32_e64 v5, null, s7, v5, vcc_lo
	v_add_nc_u64_e32 v[58:59], 1, v[54:55]
	s_delay_alu instid0(VALU_DEP_3) | instskip(NEXT) | instid1(VALU_DEP_3)
	v_cmp_le_u32_e32 vcc_lo, s6, v37
	v_subrev_co_ci_u32_e64 v5, null, 0, v5, s0
	v_cndmask_b32_e64 v37, 0, -1, vcc_lo
	s_delay_alu instid0(VALU_DEP_2)
	v_cmp_le_u32_e32 vcc_lo, s7, v5
	v_cndmask_b32_e64 v41, 0, -1, vcc_lo
	v_cmp_le_u32_e32 vcc_lo, s6, v35
	v_cndmask_b32_e64 v35, 0, -1, vcc_lo
	;; [unrolled: 2-line block ×3, first 2 shown]
	v_cmp_eq_u32_e32 vcc_lo, s7, v5
	v_cndmask_b32_e32 v5, v41, v37, vcc_lo
	v_cmp_eq_u32_e32 vcc_lo, s7, v39
	s_delay_alu instid0(VALU_DEP_4) | instskip(NEXT) | instid1(VALU_DEP_3)
	v_cndmask_b32_e32 v35, v60, v35, vcc_lo
	v_cmp_ne_u32_e32 vcc_lo, 0, v5
	v_cndmask_b32_e32 v5, v59, v57, vcc_lo
	s_delay_alu instid0(VALU_DEP_3) | instskip(SKIP_1) | instid1(VALU_DEP_2)
	v_cmp_ne_u32_e64 s0, 0, v35
	v_cndmask_b32_e32 v35, v58, v56, vcc_lo
	v_dual_cndmask_b32 v5, v55, v5, s0 :: v_dual_bitop2_b32 v40, s2, v40 bitop3:0x14
	s_delay_alu instid0(VALU_DEP_1) | instskip(NEXT) | instid1(VALU_DEP_2)
	v_dual_cndmask_b32 v35, v54, v35, s0 :: v_dual_mov_b32 v41, v40
	v_xor_b32_e32 v55, v5, v40
	s_delay_alu instid0(VALU_DEP_2) | instskip(NEXT) | instid1(VALU_DEP_1)
	v_xor_b32_e32 v54, v35, v40
	v_sub_nc_u64_e32 v[40:41], v[54:55], v[40:41]
.LBB131_15:                             ;   in Loop: Header=BB131_13 Depth=2
	s_and_not1_saveexec_b32 s0, s37
	s_cbranch_execz .LBB131_17
; %bb.16:                               ;   in Loop: Header=BB131_13 Depth=2
	v_mul_hi_u32 v5, v38, v53
	v_mov_b32_e32 v41, v4
	s_delay_alu instid0(VALU_DEP_2) | instskip(NEXT) | instid1(VALU_DEP_1)
	v_mul_lo_u32 v35, v5, s12
	v_dual_add_nc_u32 v37, 1, v5 :: v_dual_sub_nc_u32 v35, v38, v35
	s_delay_alu instid0(VALU_DEP_1) | instskip(SKIP_1) | instid1(VALU_DEP_2)
	v_subrev_nc_u32_e32 v39, s12, v35
	v_cmp_le_u32_e32 vcc_lo, s12, v35
	v_dual_cndmask_b32 v35, v35, v39, vcc_lo :: v_dual_cndmask_b32 v5, v5, v37, vcc_lo
	s_delay_alu instid0(VALU_DEP_1) | instskip(NEXT) | instid1(VALU_DEP_2)
	v_cmp_le_u32_e32 vcc_lo, s12, v35
	v_add_nc_u32_e32 v37, 1, v5
	s_delay_alu instid0(VALU_DEP_1)
	v_cndmask_b32_e32 v40, v5, v37, vcc_lo
.LBB131_17:                             ;   in Loop: Header=BB131_13 Depth=2
	s_or_b32 exec_lo, exec_lo, s0
	s_delay_alu instid0(VALU_DEP_1) | instskip(SKIP_2) | instid1(SALU_CYCLE_1)
	v_cmp_ne_u64_e64 s0, v[40:41], v[32:33]
	v_cmp_eq_u64_e32 vcc_lo, v[40:41], v[32:33]
	s_and_saveexec_b32 s3, s0
	s_xor_b32 s0, exec_lo, s3
; %bb.18:                               ;   in Loop: Header=BB131_13 Depth=2
	v_min_i64 v[30:31], v[40:41], v[30:31]
                                        ; implicit-def: $vgpr38_vgpr39
                                        ; implicit-def: $vgpr3
; %bb.19:                               ;   in Loop: Header=BB131_13 Depth=2
	s_or_saveexec_b32 s0, s0
	v_mov_b32_e32 v5, v34
	s_xor_b32 exec_lo, exec_lo, s0
	s_cbranch_execz .LBB131_12
; %bb.20:                               ;   in Loop: Header=BB131_13 Depth=2
	v_dual_ashrrev_i32 v35, 31, v34 :: v_dual_sub_nc_u32 v5, v38, v36
	s_delay_alu instid0(VALU_DEP_1) | instskip(NEXT) | instid1(VALU_DEP_2)
	v_lshl_add_u64 v[40:41], v[34:35], 3, s[16:17]
	v_lshl_add_u32 v35, v5, 3, v44
	v_mov_b32_e32 v5, v3
	global_load_b64 v[40:41], v[40:41], off
	ds_store_b8 v42, v1 offset:16384
	s_wait_loadcnt 0x0
	ds_store_b64 v35, v[40:41]
	s_branch .LBB131_12
.LBB131_21:                             ;   in Loop: Header=BB131_10 Depth=1
	s_or_b32 exec_lo, exec_lo, s36
.LBB131_22:                             ;   in Loop: Header=BB131_10 Depth=1
	s_delay_alu instid0(SALU_CYCLE_1)
	s_or_b32 exec_lo, exec_lo, s35
	ds_bpermute_b32 v3, v46, v5
	s_wait_dscnt 0x0
	ds_load_u8 v32, v42 offset:16384
	v_min_i32_e32 v3, v3, v5
	ds_bpermute_b32 v38, v47, v3
	s_wait_dscnt 0x1
	v_and_b32_e32 v3, 1, v32
	s_delay_alu instid0(VALU_DEP_1)
	v_cmp_eq_u32_e32 vcc_lo, 1, v3
	v_mov_b32_e32 v3, 0
	s_and_saveexec_b32 s0, vcc_lo
	s_cbranch_execz .LBB131_9
; %bb.23:                               ;   in Loop: Header=BB131_10 Depth=1
	v_dual_ashrrev_i32 v3, 31, v2 :: v_dual_add_nc_u32 v36, s24, v29
	s_delay_alu instid0(VALU_DEP_1) | instskip(NEXT) | instid1(VALU_DEP_2)
	v_mul_u64_e32 v[32:33], s[20:21], v[2:3]
	v_ashrrev_i32_e32 v37, 31, v36
	global_store_b64 v2, v[36:37], s[18:19] scale_offset
	v_lshlrev_b64_e32 v[32:33], 3, v[32:33]
	s_delay_alu instid0(VALU_DEP_1)
	v_add_nc_u64_e32 v[34:35], v[6:7], v[32:33]
	v_add_nc_u64_e32 v[32:33], v[8:9], v[32:33]
	s_wait_xcnt 0x0
	s_and_saveexec_b32 s3, s26
	s_cbranch_execz .LBB131_27
; %bb.24:                               ;   in Loop: Header=BB131_10 Depth=1
	ds_load_b64 v[36:37], v45
	s_and_b32 vcc_lo, exec_lo, s25
	s_cbranch_vccz .LBB131_54
; %bb.25:                               ;   in Loop: Header=BB131_10 Depth=1
	v_lshl_add_u64 v[40:41], v[10:11], 3, v[34:35]
	s_wait_dscnt 0x0
	global_store_b64 v[40:41], v[36:37], off
	s_cbranch_execnz .LBB131_27
.LBB131_26:                             ;   in Loop: Header=BB131_10 Depth=1
	v_mov_b32_e32 v29, v4
	s_wait_xcnt 0x0
	s_delay_alu instid0(VALU_DEP_1)
	v_add_nc_u64_e32 v[40:41], v[32:33], v[28:29]
	s_wait_dscnt 0x0
	global_store_b64 v[40:41], v[36:37], off
.LBB131_27:                             ;   in Loop: Header=BB131_10 Depth=1
	s_wait_xcnt 0x0
	s_or_b32 exec_lo, exec_lo, s3
	s_and_saveexec_b32 s3, s27
	s_cbranch_execz .LBB131_31
; %bb.28:                               ;   in Loop: Header=BB131_10 Depth=1
	s_and_not1_b32 vcc_lo, exec_lo, s25
	s_cbranch_vccnz .LBB131_55
; %bb.29:                               ;   in Loop: Header=BB131_10 Depth=1
	s_wait_dscnt 0x0
	ds_load_b64 v[36:37], v45 offset:16
	v_lshl_add_u64 v[40:41], v[12:13], 3, v[34:35]
	s_wait_dscnt 0x0
	global_store_b64 v[40:41], v[36:37], off
	s_cbranch_execnz .LBB131_31
.LBB131_30:                             ;   in Loop: Header=BB131_10 Depth=1
	s_wait_dscnt 0x0
	s_wait_xcnt 0x0
	ds_load_b64 v[36:37], v45 offset:16
	v_mov_b32_e32 v29, v4
	s_delay_alu instid0(VALU_DEP_1)
	v_add_nc_u64_e32 v[40:41], v[32:33], v[28:29]
	s_wait_dscnt 0x0
	global_store_b64 v[40:41], v[36:37], off offset:16
.LBB131_31:                             ;   in Loop: Header=BB131_10 Depth=1
	s_wait_xcnt 0x0
	s_or_b32 exec_lo, exec_lo, s3
	s_and_saveexec_b32 s3, s1
	s_cbranch_execz .LBB131_35
; %bb.32:                               ;   in Loop: Header=BB131_10 Depth=1
	s_and_not1_b32 vcc_lo, exec_lo, s25
	s_cbranch_vccnz .LBB131_56
; %bb.33:                               ;   in Loop: Header=BB131_10 Depth=1
	s_wait_dscnt 0x0
	ds_load_b64 v[36:37], v45 offset:32
	v_lshl_add_u64 v[40:41], v[14:15], 3, v[34:35]
	s_wait_dscnt 0x0
	global_store_b64 v[40:41], v[36:37], off
	s_cbranch_execnz .LBB131_35
.LBB131_34:                             ;   in Loop: Header=BB131_10 Depth=1
	s_wait_dscnt 0x0
	s_wait_xcnt 0x0
	ds_load_b64 v[36:37], v45 offset:32
	v_mov_b32_e32 v29, v4
	s_delay_alu instid0(VALU_DEP_1)
	v_add_nc_u64_e32 v[40:41], v[32:33], v[28:29]
	s_wait_dscnt 0x0
	global_store_b64 v[40:41], v[36:37], off offset:32
.LBB131_35:                             ;   in Loop: Header=BB131_10 Depth=1
	s_wait_xcnt 0x0
	s_or_b32 exec_lo, exec_lo, s3
	s_and_saveexec_b32 s3, s28
	s_cbranch_execz .LBB131_39
; %bb.36:                               ;   in Loop: Header=BB131_10 Depth=1
	s_and_not1_b32 vcc_lo, exec_lo, s25
	s_cbranch_vccnz .LBB131_57
; %bb.37:                               ;   in Loop: Header=BB131_10 Depth=1
	s_wait_dscnt 0x0
	ds_load_b64 v[36:37], v45 offset:48
	v_lshl_add_u64 v[40:41], v[16:17], 3, v[34:35]
	s_wait_dscnt 0x0
	global_store_b64 v[40:41], v[36:37], off
	s_cbranch_execnz .LBB131_39
.LBB131_38:                             ;   in Loop: Header=BB131_10 Depth=1
	s_wait_dscnt 0x0
	s_wait_xcnt 0x0
	ds_load_b64 v[36:37], v45 offset:48
	v_mov_b32_e32 v29, v4
	s_delay_alu instid0(VALU_DEP_1)
	v_add_nc_u64_e32 v[40:41], v[32:33], v[28:29]
	s_wait_dscnt 0x0
	global_store_b64 v[40:41], v[36:37], off offset:48
.LBB131_39:                             ;   in Loop: Header=BB131_10 Depth=1
	s_wait_xcnt 0x0
	s_or_b32 exec_lo, exec_lo, s3
	s_and_saveexec_b32 s3, s29
	s_cbranch_execz .LBB131_43
; %bb.40:                               ;   in Loop: Header=BB131_10 Depth=1
	s_and_not1_b32 vcc_lo, exec_lo, s25
	s_cbranch_vccnz .LBB131_58
; %bb.41:                               ;   in Loop: Header=BB131_10 Depth=1
	s_wait_dscnt 0x0
	ds_load_b64 v[36:37], v45 offset:64
	v_lshl_add_u64 v[40:41], v[18:19], 3, v[34:35]
	s_wait_dscnt 0x0
	global_store_b64 v[40:41], v[36:37], off
	s_cbranch_execnz .LBB131_43
.LBB131_42:                             ;   in Loop: Header=BB131_10 Depth=1
	s_wait_dscnt 0x0
	s_wait_xcnt 0x0
	ds_load_b64 v[36:37], v45 offset:64
	v_mov_b32_e32 v29, v4
	s_delay_alu instid0(VALU_DEP_1)
	v_add_nc_u64_e32 v[40:41], v[32:33], v[28:29]
	s_wait_dscnt 0x0
	global_store_b64 v[40:41], v[36:37], off offset:64
.LBB131_43:                             ;   in Loop: Header=BB131_10 Depth=1
	s_wait_xcnt 0x0
	s_or_b32 exec_lo, exec_lo, s3
	s_and_saveexec_b32 s3, s30
	s_cbranch_execz .LBB131_47
; %bb.44:                               ;   in Loop: Header=BB131_10 Depth=1
	s_and_not1_b32 vcc_lo, exec_lo, s25
	s_cbranch_vccnz .LBB131_59
; %bb.45:                               ;   in Loop: Header=BB131_10 Depth=1
	s_wait_dscnt 0x0
	ds_load_b64 v[36:37], v45 offset:80
	v_lshl_add_u64 v[40:41], v[20:21], 3, v[34:35]
	s_wait_dscnt 0x0
	global_store_b64 v[40:41], v[36:37], off
	s_cbranch_execnz .LBB131_47
.LBB131_46:                             ;   in Loop: Header=BB131_10 Depth=1
	s_wait_dscnt 0x0
	s_wait_xcnt 0x0
	ds_load_b64 v[36:37], v45 offset:80
	v_mov_b32_e32 v29, v4
	s_delay_alu instid0(VALU_DEP_1)
	v_add_nc_u64_e32 v[40:41], v[32:33], v[28:29]
	s_wait_dscnt 0x0
	global_store_b64 v[40:41], v[36:37], off offset:80
.LBB131_47:                             ;   in Loop: Header=BB131_10 Depth=1
	s_wait_xcnt 0x0
	s_or_b32 exec_lo, exec_lo, s3
	s_and_saveexec_b32 s3, s31
	s_cbranch_execz .LBB131_51
; %bb.48:                               ;   in Loop: Header=BB131_10 Depth=1
	s_and_not1_b32 vcc_lo, exec_lo, s25
	s_cbranch_vccnz .LBB131_60
; %bb.49:                               ;   in Loop: Header=BB131_10 Depth=1
	s_wait_dscnt 0x0
	ds_load_b64 v[36:37], v45 offset:96
	v_lshl_add_u64 v[40:41], v[22:23], 3, v[34:35]
	s_wait_dscnt 0x0
	global_store_b64 v[40:41], v[36:37], off
	s_cbranch_execnz .LBB131_51
.LBB131_50:                             ;   in Loop: Header=BB131_10 Depth=1
	s_wait_dscnt 0x0
	s_wait_xcnt 0x0
	ds_load_b64 v[36:37], v45 offset:96
	v_mov_b32_e32 v29, v4
	s_delay_alu instid0(VALU_DEP_1)
	v_add_nc_u64_e32 v[40:41], v[32:33], v[28:29]
	s_wait_dscnt 0x0
	global_store_b64 v[40:41], v[36:37], off offset:96
.LBB131_51:                             ;   in Loop: Header=BB131_10 Depth=1
	s_wait_xcnt 0x0
	s_or_b32 exec_lo, exec_lo, s3
	s_and_saveexec_b32 s3, s33
	s_cbranch_execz .LBB131_8
; %bb.52:                               ;   in Loop: Header=BB131_10 Depth=1
	s_and_not1_b32 vcc_lo, exec_lo, s25
	s_cbranch_vccnz .LBB131_61
; %bb.53:                               ;   in Loop: Header=BB131_10 Depth=1
	s_wait_dscnt 0x0
	ds_load_b64 v[36:37], v45 offset:112
	v_lshl_add_u64 v[34:35], v[24:25], 3, v[34:35]
	s_wait_dscnt 0x0
	global_store_b64 v[34:35], v[36:37], off
	s_cbranch_execnz .LBB131_8
	s_branch .LBB131_62
.LBB131_54:                             ;   in Loop: Header=BB131_10 Depth=1
	s_branch .LBB131_26
.LBB131_55:                             ;   in Loop: Header=BB131_10 Depth=1
	s_branch .LBB131_30
.LBB131_56:                             ;   in Loop: Header=BB131_10 Depth=1
	s_branch .LBB131_34
.LBB131_57:                             ;   in Loop: Header=BB131_10 Depth=1
	s_branch .LBB131_38
.LBB131_58:                             ;   in Loop: Header=BB131_10 Depth=1
	s_branch .LBB131_42
.LBB131_59:                             ;   in Loop: Header=BB131_10 Depth=1
	s_branch .LBB131_46
.LBB131_60:                             ;   in Loop: Header=BB131_10 Depth=1
	s_branch .LBB131_50
.LBB131_61:                             ;   in Loop: Header=BB131_10 Depth=1
.LBB131_62:                             ;   in Loop: Header=BB131_10 Depth=1
	s_wait_xcnt 0x0
	ds_load_b64 v[34:35], v45 offset:112
	v_mov_b32_e32 v29, v4
	s_delay_alu instid0(VALU_DEP_1)
	v_add_nc_u64_e32 v[32:33], v[32:33], v[28:29]
	s_wait_dscnt 0x0
	global_store_b64 v[32:33], v[34:35], off offset:112
	s_branch .LBB131_8
.LBB131_63:
	s_endpgm
	.section	.rodata,"a",@progbits
	.p2align	6, 0x0
	.amdhsa_kernel _ZN9rocsparseL42csr2bsr_wavefront_per_row_multipass_kernelILj256ELj32ELj16EdilEEv20rocsparse_direction_T4_S2_S2_S2_S2_21rocsparse_index_base_PKT2_PKT3_PKS2_S3_PS4_PS7_PS2_
		.amdhsa_group_segment_fixed_size 16392
		.amdhsa_private_segment_fixed_size 0
		.amdhsa_kernarg_size 112
		.amdhsa_user_sgpr_count 2
		.amdhsa_user_sgpr_dispatch_ptr 0
		.amdhsa_user_sgpr_queue_ptr 0
		.amdhsa_user_sgpr_kernarg_segment_ptr 1
		.amdhsa_user_sgpr_dispatch_id 0
		.amdhsa_user_sgpr_kernarg_preload_length 0
		.amdhsa_user_sgpr_kernarg_preload_offset 0
		.amdhsa_user_sgpr_private_segment_size 0
		.amdhsa_wavefront_size32 1
		.amdhsa_uses_dynamic_stack 0
		.amdhsa_enable_private_segment 0
		.amdhsa_system_sgpr_workgroup_id_x 1
		.amdhsa_system_sgpr_workgroup_id_y 0
		.amdhsa_system_sgpr_workgroup_id_z 0
		.amdhsa_system_sgpr_workgroup_info 0
		.amdhsa_system_vgpr_workitem_id 0
		.amdhsa_next_free_vgpr 66
		.amdhsa_next_free_sgpr 47
		.amdhsa_named_barrier_count 0
		.amdhsa_reserve_vcc 1
		.amdhsa_float_round_mode_32 0
		.amdhsa_float_round_mode_16_64 0
		.amdhsa_float_denorm_mode_32 3
		.amdhsa_float_denorm_mode_16_64 3
		.amdhsa_fp16_overflow 0
		.amdhsa_memory_ordered 1
		.amdhsa_forward_progress 1
		.amdhsa_inst_pref_size 25
		.amdhsa_round_robin_scheduling 0
		.amdhsa_exception_fp_ieee_invalid_op 0
		.amdhsa_exception_fp_denorm_src 0
		.amdhsa_exception_fp_ieee_div_zero 0
		.amdhsa_exception_fp_ieee_overflow 0
		.amdhsa_exception_fp_ieee_underflow 0
		.amdhsa_exception_fp_ieee_inexact 0
		.amdhsa_exception_int_div_zero 0
	.end_amdhsa_kernel
	.section	.text._ZN9rocsparseL42csr2bsr_wavefront_per_row_multipass_kernelILj256ELj32ELj16EdilEEv20rocsparse_direction_T4_S2_S2_S2_S2_21rocsparse_index_base_PKT2_PKT3_PKS2_S3_PS4_PS7_PS2_,"axG",@progbits,_ZN9rocsparseL42csr2bsr_wavefront_per_row_multipass_kernelILj256ELj32ELj16EdilEEv20rocsparse_direction_T4_S2_S2_S2_S2_21rocsparse_index_base_PKT2_PKT3_PKS2_S3_PS4_PS7_PS2_,comdat
.Lfunc_end131:
	.size	_ZN9rocsparseL42csr2bsr_wavefront_per_row_multipass_kernelILj256ELj32ELj16EdilEEv20rocsparse_direction_T4_S2_S2_S2_S2_21rocsparse_index_base_PKT2_PKT3_PKS2_S3_PS4_PS7_PS2_, .Lfunc_end131-_ZN9rocsparseL42csr2bsr_wavefront_per_row_multipass_kernelILj256ELj32ELj16EdilEEv20rocsparse_direction_T4_S2_S2_S2_S2_21rocsparse_index_base_PKT2_PKT3_PKS2_S3_PS4_PS7_PS2_
                                        ; -- End function
	.set _ZN9rocsparseL42csr2bsr_wavefront_per_row_multipass_kernelILj256ELj32ELj16EdilEEv20rocsparse_direction_T4_S2_S2_S2_S2_21rocsparse_index_base_PKT2_PKT3_PKS2_S3_PS4_PS7_PS2_.num_vgpr, 66
	.set _ZN9rocsparseL42csr2bsr_wavefront_per_row_multipass_kernelILj256ELj32ELj16EdilEEv20rocsparse_direction_T4_S2_S2_S2_S2_21rocsparse_index_base_PKT2_PKT3_PKS2_S3_PS4_PS7_PS2_.num_agpr, 0
	.set _ZN9rocsparseL42csr2bsr_wavefront_per_row_multipass_kernelILj256ELj32ELj16EdilEEv20rocsparse_direction_T4_S2_S2_S2_S2_21rocsparse_index_base_PKT2_PKT3_PKS2_S3_PS4_PS7_PS2_.numbered_sgpr, 47
	.set _ZN9rocsparseL42csr2bsr_wavefront_per_row_multipass_kernelILj256ELj32ELj16EdilEEv20rocsparse_direction_T4_S2_S2_S2_S2_21rocsparse_index_base_PKT2_PKT3_PKS2_S3_PS4_PS7_PS2_.num_named_barrier, 0
	.set _ZN9rocsparseL42csr2bsr_wavefront_per_row_multipass_kernelILj256ELj32ELj16EdilEEv20rocsparse_direction_T4_S2_S2_S2_S2_21rocsparse_index_base_PKT2_PKT3_PKS2_S3_PS4_PS7_PS2_.private_seg_size, 0
	.set _ZN9rocsparseL42csr2bsr_wavefront_per_row_multipass_kernelILj256ELj32ELj16EdilEEv20rocsparse_direction_T4_S2_S2_S2_S2_21rocsparse_index_base_PKT2_PKT3_PKS2_S3_PS4_PS7_PS2_.uses_vcc, 1
	.set _ZN9rocsparseL42csr2bsr_wavefront_per_row_multipass_kernelILj256ELj32ELj16EdilEEv20rocsparse_direction_T4_S2_S2_S2_S2_21rocsparse_index_base_PKT2_PKT3_PKS2_S3_PS4_PS7_PS2_.uses_flat_scratch, 0
	.set _ZN9rocsparseL42csr2bsr_wavefront_per_row_multipass_kernelILj256ELj32ELj16EdilEEv20rocsparse_direction_T4_S2_S2_S2_S2_21rocsparse_index_base_PKT2_PKT3_PKS2_S3_PS4_PS7_PS2_.has_dyn_sized_stack, 0
	.set _ZN9rocsparseL42csr2bsr_wavefront_per_row_multipass_kernelILj256ELj32ELj16EdilEEv20rocsparse_direction_T4_S2_S2_S2_S2_21rocsparse_index_base_PKT2_PKT3_PKS2_S3_PS4_PS7_PS2_.has_recursion, 0
	.set _ZN9rocsparseL42csr2bsr_wavefront_per_row_multipass_kernelILj256ELj32ELj16EdilEEv20rocsparse_direction_T4_S2_S2_S2_S2_21rocsparse_index_base_PKT2_PKT3_PKS2_S3_PS4_PS7_PS2_.has_indirect_call, 0
	.section	.AMDGPU.csdata,"",@progbits
; Kernel info:
; codeLenInByte = 3104
; TotalNumSgprs: 49
; NumVgprs: 66
; ScratchSize: 0
; MemoryBound: 0
; FloatMode: 240
; IeeeMode: 1
; LDSByteSize: 16392 bytes/workgroup (compile time only)
; SGPRBlocks: 0
; VGPRBlocks: 4
; NumSGPRsForWavesPerEU: 49
; NumVGPRsForWavesPerEU: 66
; NamedBarCnt: 0
; Occupancy: 12
; WaveLimiterHint : 0
; COMPUTE_PGM_RSRC2:SCRATCH_EN: 0
; COMPUTE_PGM_RSRC2:USER_SGPR: 2
; COMPUTE_PGM_RSRC2:TRAP_HANDLER: 0
; COMPUTE_PGM_RSRC2:TGID_X_EN: 1
; COMPUTE_PGM_RSRC2:TGID_Y_EN: 0
; COMPUTE_PGM_RSRC2:TGID_Z_EN: 0
; COMPUTE_PGM_RSRC2:TIDIG_COMP_CNT: 0
	.section	.text._ZN9rocsparseL38csr2bsr_block_per_row_multipass_kernelILj256ELj32EdilEEv20rocsparse_direction_T3_S2_S2_S2_S2_21rocsparse_index_base_PKT1_PKT2_PKS2_S3_PS4_PS7_PS2_,"axG",@progbits,_ZN9rocsparseL38csr2bsr_block_per_row_multipass_kernelILj256ELj32EdilEEv20rocsparse_direction_T3_S2_S2_S2_S2_21rocsparse_index_base_PKT1_PKT2_PKS2_S3_PS4_PS7_PS2_,comdat
	.globl	_ZN9rocsparseL38csr2bsr_block_per_row_multipass_kernelILj256ELj32EdilEEv20rocsparse_direction_T3_S2_S2_S2_S2_21rocsparse_index_base_PKT1_PKT2_PKS2_S3_PS4_PS7_PS2_ ; -- Begin function _ZN9rocsparseL38csr2bsr_block_per_row_multipass_kernelILj256ELj32EdilEEv20rocsparse_direction_T3_S2_S2_S2_S2_21rocsparse_index_base_PKT1_PKT2_PKS2_S3_PS4_PS7_PS2_
	.p2align	8
	.type	_ZN9rocsparseL38csr2bsr_block_per_row_multipass_kernelILj256ELj32EdilEEv20rocsparse_direction_T3_S2_S2_S2_S2_21rocsparse_index_base_PKT1_PKT2_PKS2_S3_PS4_PS7_PS2_,@function
_ZN9rocsparseL38csr2bsr_block_per_row_multipass_kernelILj256ELj32EdilEEv20rocsparse_direction_T3_S2_S2_S2_S2_21rocsparse_index_base_PKT1_PKT2_PKS2_S3_PS4_PS7_PS2_: ; @_ZN9rocsparseL38csr2bsr_block_per_row_multipass_kernelILj256ELj32EdilEEv20rocsparse_direction_T3_S2_S2_S2_S2_21rocsparse_index_base_PKT1_PKT2_PKS2_S3_PS4_PS7_PS2_
; %bb.0:
	s_clause 0x1
	s_load_b128 s[12:15], s[0:1], 0x20
	s_load_b64 s[6:7], s[0:1], 0x8
	s_bfe_u32 s3, ttmp6, 0x4000c
	v_dual_mov_b32 v30, 0 :: v_dual_lshrrev_b32 v6, 3, v0
	s_add_co_i32 s3, s3, 1
	s_and_b32 s2, ttmp6, 15
	s_mul_i32 s3, ttmp9, s3
	s_getreg_b32 s4, hwreg(HW_REG_IB_STS2, 6, 4)
	v_dual_mov_b32 v7, v30 :: v_dual_mov_b32 v26, 0
	s_add_co_i32 s2, s2, s3
	s_cmp_eq_u32 s4, 0
	s_clause 0x1
	s_load_b32 s10, s[0:1], 0x30
	s_load_b64 s[4:5], s[0:1], 0x40
	s_cselect_b32 s2, ttmp9, s2
	s_delay_alu instid0(SALU_CYCLE_1)
	s_ashr_i32 s3, s2, 31
	s_wait_kmcnt 0x0
	v_mad_nc_u64_u32 v[2:3], s14, s2, v[6:7]
	s_mul_i32 s8, s14, s3
	s_mul_i32 s9, s15, s2
	s_delay_alu instid0(VALU_DEP_1) | instid1(SALU_CYCLE_1)
	v_add3_u32 v3, s8, s9, v3
	v_cmp_gt_i64_e64 s8, s[14:15], v[6:7]
	s_delay_alu instid0(VALU_DEP_2) | instskip(SKIP_1) | instid1(SALU_CYCLE_1)
	v_cmp_gt_i64_e32 vcc_lo, s[6:7], v[2:3]
	s_and_b32 s6, s8, vcc_lo
	s_and_saveexec_b32 s7, s6
	s_cbranch_execnz .LBB132_3
; %bb.1:
	s_or_b32 exec_lo, exec_lo, s7
	s_and_saveexec_b32 s7, s6
	s_cbranch_execnz .LBB132_4
.LBB132_2:
	s_or_b32 exec_lo, exec_lo, s7
	v_cmp_lt_i64_e64 s4, s[12:13], 1
	s_and_b32 vcc_lo, exec_lo, s4
	s_cbranch_vccz .LBB132_5
	s_branch .LBB132_57
.LBB132_3:
	v_lshl_add_u64 v[4:5], v[2:3], 2, s[4:5]
	global_load_b32 v1, v[4:5], off
	s_wait_loadcnt 0x0
	v_subrev_nc_u32_e32 v26, s10, v1
	s_or_b32 exec_lo, exec_lo, s7
	s_and_saveexec_b32 s7, s6
	s_cbranch_execz .LBB132_2
.LBB132_4:
	v_lshl_add_u64 v[2:3], v[2:3], 2, s[4:5]
	global_load_b32 v1, v[2:3], off offset:4
	s_wait_loadcnt 0x0
	v_subrev_nc_u32_e32 v30, s10, v1
	s_or_b32 exec_lo, exec_lo, s7
	v_cmp_lt_i64_e64 s4, s[12:13], 1
	s_and_b32 vcc_lo, exec_lo, s4
	s_cbranch_vccnz .LBB132_57
.LBB132_5:
	s_clause 0x1
	s_load_b128 s[4:7], s[0:1], 0x58
	s_load_b64 s[20:21], s[0:1], 0x68
	v_mbcnt_lo_u32_b32 v1, -1, 0
	v_mul_u64_e32 v[10:11], s[14:15], v[6:7]
	v_dual_lshlrev_b32 v8, 3, v6 :: v_dual_mov_b32 v2, 0
	v_dual_lshlrev_b32 v31, 8, v6 :: v_dual_bitop2_b32 v4, 7, v0 bitop3:0x40
	s_delay_alu instid0(VALU_DEP_4) | instskip(NEXT) | instid1(VALU_DEP_3)
	v_xor_b32_e32 v6, 4, v1
	v_dual_mov_b32 v19, v2 :: v_dual_bitop2_b32 v7, 2, v1 bitop3:0x14
	v_mov_b32_e32 v5, v2
	s_clause 0x2
	s_load_b96 s[16:18], s[0:1], 0x48
	s_load_b64 s[26:27], s[0:1], 0x38
	s_load_b32 s9, s[0:1], 0x0
	v_cmp_gt_i32_e32 vcc_lo, 32, v6
	s_wait_xcnt 0x0
	s_lshl_b64 s[0:1], s[2:3], 2
	v_dual_mov_b32 v21, v2 :: v_dual_bitop2_b32 v12, 1, v1 bitop3:0x14
	v_dual_cndmask_b32 v6, v1, v6, vcc_lo :: v_dual_bitop2_b32 v22, 16, v4 bitop3:0x54
	v_cmp_gt_i32_e32 vcc_lo, 32, v7
	s_wait_kmcnt 0x0
	s_add_nc_u64 s[0:1], s[6:7], s[0:1]
	v_cvt_f32_u32_e32 v3, s14
	s_load_b32 s0, s[0:1], 0x0
	v_lshl_or_b32 v32, v1, 2, 28
	v_cndmask_b32_e32 v7, v1, v7, vcc_lo
	v_cmp_gt_i32_e32 vcc_lo, 32, v12
	v_rcp_iflag_f32_e32 v3, v3
	v_dual_mov_b32 v9, v2 :: v_dual_lshlrev_b32 v18, 3, v4
	v_dual_mov_b32 v23, v2 :: v_dual_bitop2_b32 v20, 8, v4 bitop3:0x54
	v_cndmask_b32_e32 v1, v1, v12, vcc_lo
	v_dual_lshlrev_b32 v33, 2, v6 :: v_dual_bitop2_b32 v24, 24, v4 bitop3:0x54
	v_dual_mov_b32 v25, v2 :: v_dual_lshlrev_b32 v34, 2, v7
	s_delay_alu instid0(VALU_DEP_3)
	v_dual_mov_b32 v37, 1 :: v_dual_lshlrev_b32 v35, 2, v1
	v_dual_mul_f32 v1, 0x4f7ffffe, v3 :: v_dual_lshlrev_b32 v36, 3, v0
	v_add_nc_u64_e32 v[6:7], s[4:5], v[8:9]
	v_lshl_add_u64 v[16:17], v[10:11], 3, s[4:5]
	s_wait_kmcnt 0x0
	s_sub_co_i32 s28, s0, s18
	v_mul_u64_e32 v[8:9], s[14:15], v[4:5]
	v_mul_u64_e32 v[10:11], s[14:15], v[20:21]
	;; [unrolled: 1-line block ×3, first 2 shown]
	v_cvt_u32_f32_e32 v3, v1
	v_mul_u64_e32 v[14:15], s[14:15], v[24:25]
	s_cmp_lg_u32 s9, 0
	v_add_nc_u64_e32 v[16:17], v[16:17], v[18:19]
	s_cselect_b32 s19, -1, 0
	s_sub_co_i32 s0, 0, s14
	v_cmp_gt_i64_e32 vcc_lo, s[14:15], v[4:5]
	v_mul_lo_u32 v1, s0, v3
	v_cmp_gt_i64_e64 s9, s[14:15], v[20:21]
	v_cmp_gt_u32_e64 s0, 0x80, v0
	v_cmp_gt_u32_e64 s1, 64, v0
	v_cmp_gt_u32_e64 s2, 32, v0
	v_cmp_gt_u32_e64 s3, 16, v0
	s_and_b32 s33, s8, vcc_lo
	v_cmp_gt_i64_e32 vcc_lo, s[14:15], v[22:23]
	s_and_b32 s38, s8, s9
	v_cmp_gt_i64_e64 s9, s[14:15], v[24:25]
	v_cmp_gt_u32_e64 s4, 8, v0
	v_mul_hi_u32 v19, v3, v1
	v_cmp_gt_u32_e64 s5, 4, v0
	v_cmp_gt_u32_e64 s6, 2, v0
	v_cmp_eq_u32_e64 s7, 0, v0
	v_mov_b64_e32 v[20:21], 0
	v_mov_b64_e32 v[0:1], 0
	v_dual_add_nc_u32 v5, v18, v31 :: v_dual_mov_b32 v39, 0
	s_mov_b32 s25, 0
	s_mul_u64 s[22:23], s[14:15], s[14:15]
	s_mov_b32 s11, s25
	v_add_nc_u32_e32 v38, v3, v19
	s_mov_b64 s[30:31], 0xffffffff
	s_and_b32 s39, s8, vcc_lo
	s_and_b32 s9, s8, s9
	s_ashr_i32 s34, s15, 31
	s_branch .LBB132_7
.LBB132_6:                              ;   in Loop: Header=BB132_7 Depth=1
	s_or_b32 exec_lo, exec_lo, s24
	s_wait_dscnt 0x0
	s_barrier_signal -1
	s_barrier_wait -1
	ds_load_b64 v[20:21], v2
	s_add_co_i32 s28, s8, s28
	s_wait_dscnt 0x0
	s_barrier_signal -1
	s_barrier_wait -1
	v_dual_ashrrev_i32 v21, 31, v20 :: v_dual_mov_b32 v39, v20
	s_delay_alu instid0(VALU_DEP_1)
	v_cmp_gt_i64_e32 vcc_lo, s[12:13], v[20:21]
	s_cbranch_vccz .LBB132_57
.LBB132_7:                              ; =>This Loop Header: Depth=1
                                        ;     Child Loop BB132_10 Depth 2
	v_mov_b64_e32 v[18:19], s[12:13]
	v_add_nc_u32_e32 v22, v26, v4
	v_mov_b32_e32 v3, v30
	s_mov_b32 s29, exec_lo
	ds_store_b8 v2, v2 offset:8192
	ds_store_2addr_b64 v5, v[0:1], v[0:1] offset1:8
	ds_store_2addr_b64 v5, v[0:1], v[0:1] offset0:16 offset1:24
	s_wait_dscnt 0x0
	s_barrier_signal -1
	s_barrier_wait -1
	v_cmpx_lt_i32_e64 v22, v30
	s_cbranch_execz .LBB132_19
; %bb.8:                                ;   in Loop: Header=BB132_7 Depth=1
	v_mul_u64_e32 v[24:25], s[14:15], v[20:21]
	v_mov_b64_e32 v[18:19], s[12:13]
	v_mov_b32_e32 v25, v30
	s_mov_b32 s40, 0
	s_branch .LBB132_10
.LBB132_9:                              ;   in Loop: Header=BB132_10 Depth=2
	s_wait_xcnt 0x0
	s_or_b32 exec_lo, exec_lo, s8
	v_dual_mov_b32 v25, v3 :: v_dual_add_nc_u32 v22, 8, v22
	s_xor_b32 s24, vcc_lo, -1
	s_delay_alu instid0(VALU_DEP_1) | instskip(SKIP_1) | instid1(SALU_CYCLE_1)
	v_cmp_ge_i32_e64 s8, v22, v30
	s_or_b32 s8, s24, s8
	s_and_b32 s8, exec_lo, s8
	s_delay_alu instid0(SALU_CYCLE_1) | instskip(NEXT) | instid1(SALU_CYCLE_1)
	s_or_b32 s40, s8, s40
	s_and_not1_b32 exec_lo, exec_lo, s40
	s_cbranch_execz .LBB132_18
.LBB132_10:                             ;   Parent Loop BB132_7 Depth=1
                                        ; =>  This Inner Loop Header: Depth=2
	global_load_b64 v[26:27], v22, s[16:17] scale_offset
                                        ; implicit-def: $vgpr28_vgpr29
	s_mov_b32 s8, exec_lo
	s_wait_loadcnt 0x0
	v_sub_nc_u64_e64 v[26:27], v[26:27], s[10:11]
	s_delay_alu instid0(VALU_DEP_1) | instskip(SKIP_1) | instid1(VALU_DEP_1)
	v_or_b32_e32 v3, s15, v27
	s_wait_xcnt 0x0
	v_cmpx_ne_u64_e32 0, v[2:3]
	s_xor_b32 s41, exec_lo, s8
	s_cbranch_execz .LBB132_12
; %bb.11:                               ;   in Loop: Header=BB132_10 Depth=2
	s_mov_b32 s35, s34
	v_dual_mov_b32 v43, v2 :: v_dual_ashrrev_i32 v28, 31, v27
	s_add_nc_u64 s[36:37], s[14:15], s[34:35]
	v_mov_b32_e32 v47, v2
	s_xor_b64 s[36:37], s[36:37], s[34:35]
	s_delay_alu instid0(VALU_DEP_2)
	v_mov_b32_e32 v29, v28
	s_cvt_f32_u32 s8, s36
	s_cvt_f32_u32 s24, s37
	s_sub_nc_u64 s[44:45], 0, s[36:37]
	v_mov_b32_e32 v51, v2
	v_add_nc_u64_e32 v[40:41], v[26:27], v[28:29]
	s_fmamk_f32 s8, s24, 0x4f800000, s8
	s_delay_alu instid0(SALU_CYCLE_3) | instskip(NEXT) | instid1(VALU_DEP_1)
	v_s_rcp_f32 s8, s8
	v_xor_b32_e32 v42, v40, v28
	s_delay_alu instid0(VALU_DEP_2) | instskip(NEXT) | instid1(TRANS32_DEP_1)
	v_xor_b32_e32 v46, v41, v28
	s_mul_f32 s8, s8, 0x5f7ffffc
	s_delay_alu instid0(SALU_CYCLE_3) | instskip(NEXT) | instid1(SALU_CYCLE_3)
	s_mul_f32 s24, s8, 0x2f800000
	s_trunc_f32 s24, s24
	s_delay_alu instid0(SALU_CYCLE_3) | instskip(SKIP_1) | instid1(SALU_CYCLE_2)
	s_fmamk_f32 s8, s24, 0xcf800000, s8
	s_cvt_u32_f32 s43, s24
	s_cvt_u32_f32 s42, s8
	s_delay_alu instid0(SALU_CYCLE_3) | instskip(NEXT) | instid1(SALU_CYCLE_1)
	s_mul_u64 s[46:47], s[44:45], s[42:43]
	s_mul_hi_u32 s49, s42, s47
	s_mul_i32 s48, s42, s47
	s_mul_hi_u32 s24, s42, s46
	s_mul_i32 s35, s43, s46
	s_add_nc_u64 s[48:49], s[24:25], s[48:49]
	s_mul_hi_u32 s8, s43, s46
	s_mul_hi_u32 s50, s43, s47
	s_add_co_u32 s24, s48, s35
	s_add_co_ci_u32 s24, s49, s8
	s_mul_i32 s46, s43, s47
	s_add_co_ci_u32 s47, s50, 0
	s_delay_alu instid0(SALU_CYCLE_1) | instskip(NEXT) | instid1(SALU_CYCLE_1)
	s_add_nc_u64 s[46:47], s[24:25], s[46:47]
	s_add_co_u32 s42, s42, s46
	s_cselect_b32 s8, -1, 0
	s_delay_alu instid0(SALU_CYCLE_1) | instskip(SKIP_1) | instid1(SALU_CYCLE_1)
	s_cmp_lg_u32 s8, 0
	s_add_co_ci_u32 s43, s43, s47
	s_mul_u64 s[44:45], s[44:45], s[42:43]
	s_delay_alu instid0(SALU_CYCLE_1)
	s_mul_hi_u32 s47, s42, s45
	s_mul_i32 s46, s42, s45
	s_mul_hi_u32 s24, s42, s44
	s_mul_i32 s35, s43, s44
	s_add_nc_u64 s[46:47], s[24:25], s[46:47]
	s_mul_hi_u32 s8, s43, s44
	s_mul_hi_u32 s48, s43, s45
	s_add_co_u32 s24, s46, s35
	s_add_co_ci_u32 s24, s47, s8
	s_mul_i32 s44, s43, s45
	s_add_co_ci_u32 s45, s48, 0
	s_delay_alu instid0(SALU_CYCLE_1) | instskip(NEXT) | instid1(SALU_CYCLE_1)
	s_add_nc_u64 s[44:45], s[24:25], s[44:45]
	s_add_co_u32 s8, s42, s44
	s_cselect_b32 s24, -1, 0
	v_mul_hi_u32 v50, v42, s8
	s_cmp_lg_u32 s24, 0
	s_add_co_ci_u32 s24, s43, s45
	s_and_b64 s[42:43], s[8:9], s[30:31]
	v_mul_u64_e32 v[44:45], s[24:25], v[42:43]
	v_mul_u64_e32 v[40:41], s[42:43], v[46:47]
	;; [unrolled: 1-line block ×3, first 2 shown]
	s_delay_alu instid0(VALU_DEP_3) | instskip(NEXT) | instid1(VALU_DEP_1)
	v_add_nc_u64_e32 v[44:45], v[50:51], v[44:45]
	v_add_co_u32 v3, vcc_lo, v44, v40
	s_delay_alu instid0(VALU_DEP_2) | instskip(NEXT) | instid1(VALU_DEP_4)
	v_add_co_ci_u32_e32 v50, vcc_lo, v45, v41, vcc_lo
	v_add_co_ci_u32_e32 v49, vcc_lo, 0, v49, vcc_lo
	s_delay_alu instid0(VALU_DEP_1) | instskip(NEXT) | instid1(VALU_DEP_1)
	v_add_nc_u64_e32 v[40:41], v[50:51], v[48:49]
	v_mul_u64_e32 v[44:45], s[36:37], v[40:41]
	s_delay_alu instid0(VALU_DEP_1) | instskip(NEXT) | instid1(VALU_DEP_2)
	v_sub_nc_u32_e32 v3, v46, v45
	v_sub_co_u32 v23, vcc_lo, v42, v44
	s_delay_alu instid0(VALU_DEP_1) | instskip(NEXT) | instid1(VALU_DEP_3)
	v_sub_co_ci_u32_e64 v29, null, v46, v45, vcc_lo
	v_subrev_co_ci_u32_e64 v3, null, s37, v3, vcc_lo
	s_delay_alu instid0(VALU_DEP_3) | instskip(SKIP_1) | instid1(VALU_DEP_3)
	v_sub_co_u32 v27, s8, v23, s36
	v_add_nc_u64_e32 v[44:45], 1, v[40:41]
	v_subrev_co_ci_u32_e64 v3, null, 0, v3, s8
	s_delay_alu instid0(VALU_DEP_3) | instskip(SKIP_1) | instid1(VALU_DEP_3)
	v_cmp_le_u32_e32 vcc_lo, s36, v27
	v_cndmask_b32_e64 v27, 0, -1, vcc_lo
	v_cmp_le_u32_e32 vcc_lo, s37, v3
	v_cndmask_b32_e64 v42, 0, -1, vcc_lo
	v_cmp_le_u32_e32 vcc_lo, s36, v23
	v_cndmask_b32_e64 v23, 0, -1, vcc_lo
	v_cmp_le_u32_e32 vcc_lo, s37, v29
	v_cndmask_b32_e64 v46, 0, -1, vcc_lo
	v_cmp_eq_u32_e32 vcc_lo, s37, v3
	v_cndmask_b32_e32 v3, v42, v27, vcc_lo
	v_cmp_eq_u32_e32 vcc_lo, s37, v29
	v_add_nc_u64_e32 v[42:43], 2, v[40:41]
	v_cndmask_b32_e32 v23, v46, v23, vcc_lo
	s_delay_alu instid0(VALU_DEP_4) | instskip(NEXT) | instid1(VALU_DEP_2)
	v_cmp_ne_u32_e32 vcc_lo, 0, v3
	v_cmp_ne_u32_e64 s8, 0, v23
	s_delay_alu instid0(VALU_DEP_4) | instskip(NEXT) | instid1(VALU_DEP_1)
	v_dual_cndmask_b32 v3, v45, v43, vcc_lo :: v_dual_cndmask_b32 v23, v44, v42, vcc_lo
	v_dual_cndmask_b32 v3, v41, v3, s8 :: v_dual_bitop2_b32 v28, s34, v28 bitop3:0x14
	s_delay_alu instid0(VALU_DEP_1) | instskip(NEXT) | instid1(VALU_DEP_1)
	v_dual_cndmask_b32 v23, v40, v23, s8 :: v_dual_bitop2_b32 v41, v3, v28 bitop3:0x14
	v_dual_mov_b32 v29, v28 :: v_dual_bitop2_b32 v40, v23, v28 bitop3:0x14
	s_delay_alu instid0(VALU_DEP_1)
	v_sub_nc_u64_e32 v[28:29], v[40:41], v[28:29]
.LBB132_12:                             ;   in Loop: Header=BB132_10 Depth=2
	s_and_not1_saveexec_b32 s8, s41
	s_cbranch_execz .LBB132_14
; %bb.13:                               ;   in Loop: Header=BB132_10 Depth=2
	v_mul_hi_u32 v3, v26, v38
	v_mov_b32_e32 v29, v2
	s_delay_alu instid0(VALU_DEP_2) | instskip(NEXT) | instid1(VALU_DEP_1)
	v_mul_lo_u32 v23, v3, s14
	v_sub_nc_u32_e32 v23, v26, v23
	s_delay_alu instid0(VALU_DEP_1) | instskip(SKIP_1) | instid1(VALU_DEP_2)
	v_subrev_nc_u32_e32 v28, s14, v23
	v_cmp_le_u32_e32 vcc_lo, s14, v23
	v_dual_add_nc_u32 v27, 1, v3 :: v_dual_cndmask_b32 v23, v23, v28, vcc_lo
	s_delay_alu instid0(VALU_DEP_1) | instskip(NEXT) | instid1(VALU_DEP_2)
	v_cndmask_b32_e32 v3, v3, v27, vcc_lo
	v_cmp_le_u32_e32 vcc_lo, s14, v23
	s_delay_alu instid0(VALU_DEP_2) | instskip(NEXT) | instid1(VALU_DEP_1)
	v_add_nc_u32_e32 v27, 1, v3
	v_cndmask_b32_e32 v28, v3, v27, vcc_lo
.LBB132_14:                             ;   in Loop: Header=BB132_10 Depth=2
	s_or_b32 exec_lo, exec_lo, s8
	s_delay_alu instid0(VALU_DEP_1) | instskip(SKIP_2) | instid1(SALU_CYCLE_1)
	v_cmp_ne_u64_e64 s8, v[28:29], v[20:21]
	v_cmp_eq_u64_e32 vcc_lo, v[28:29], v[20:21]
	s_and_saveexec_b32 s24, s8
	s_xor_b32 s8, exec_lo, s24
; %bb.15:                               ;   in Loop: Header=BB132_10 Depth=2
	v_min_i64 v[18:19], v[28:29], v[18:19]
                                        ; implicit-def: $vgpr26_vgpr27
                                        ; implicit-def: $vgpr25
; %bb.16:                               ;   in Loop: Header=BB132_10 Depth=2
	s_or_saveexec_b32 s8, s8
	v_mov_b32_e32 v3, v22
	s_xor_b32 exec_lo, exec_lo, s8
	s_cbranch_execz .LBB132_9
; %bb.17:                               ;   in Loop: Header=BB132_10 Depth=2
	v_dual_ashrrev_i32 v23, 31, v22 :: v_dual_sub_nc_u32 v3, v26, v24
	s_delay_alu instid0(VALU_DEP_1) | instskip(NEXT) | instid1(VALU_DEP_2)
	v_lshl_add_u64 v[28:29], v[22:23], 3, s[26:27]
	v_lshl_add_u32 v23, v3, 3, v31
	v_mov_b32_e32 v3, v25
	global_load_b64 v[28:29], v[28:29], off
	ds_store_b8 v2, v37 offset:8192
	s_wait_loadcnt 0x0
	ds_store_b64 v23, v[28:29]
	s_branch .LBB132_9
.LBB132_18:                             ;   in Loop: Header=BB132_7 Depth=1
	s_or_b32 exec_lo, exec_lo, s40
.LBB132_19:                             ;   in Loop: Header=BB132_7 Depth=1
	s_delay_alu instid0(SALU_CYCLE_1)
	s_or_b32 exec_lo, exec_lo, s29
	ds_bpermute_b32 v20, v33, v3
	s_wait_dscnt 0x0
	s_barrier_signal -1
	s_barrier_wait -1
	ds_load_u8 v21, v2 offset:8192
	s_mov_b32 s8, 0
	v_min_i32_e32 v3, v20, v3
	ds_bpermute_b32 v20, v34, v3
	s_wait_dscnt 0x0
	v_min_i32_e32 v3, v20, v3
	ds_bpermute_b32 v20, v35, v3
	s_wait_dscnt 0x0
	v_min_i32_e32 v3, v20, v3
	ds_bpermute_b32 v26, v32, v3
	v_and_b32_e32 v3, 1, v21
	s_delay_alu instid0(VALU_DEP_1)
	v_cmp_eq_u32_e32 vcc_lo, 0, v3
	s_cbranch_vccnz .LBB132_37
; %bb.20:                               ;   in Loop: Header=BB132_7 Depth=1
	s_ashr_i32 s29, s28, 31
	v_dual_mov_b32 v3, s28 :: v_dual_add_nc_u32 v24, s18, v39
	s_mul_u64 s[36:37], s[22:23], s[28:29]
	s_delay_alu instid0(SALU_CYCLE_1) | instskip(NEXT) | instid1(VALU_DEP_1)
	s_lshl_b64 s[36:37], s[36:37], 3
	v_ashrrev_i32_e32 v25, 31, v24
	v_add_nc_u64_e32 v[22:23], s[36:37], v[6:7]
	v_add_nc_u64_e32 v[20:21], s[36:37], v[16:17]
	global_store_b64 v3, v[24:25], s[20:21] scale_offset
	s_wait_xcnt 0x0
	s_and_saveexec_b32 s8, s33
	s_cbranch_execz .LBB132_24
; %bb.21:                               ;   in Loop: Header=BB132_7 Depth=1
	ds_load_b64 v[24:25], v5
	s_and_b32 vcc_lo, exec_lo, s19
	s_cbranch_vccz .LBB132_53
; %bb.22:                               ;   in Loop: Header=BB132_7 Depth=1
	v_lshl_add_u64 v[28:29], v[8:9], 3, v[22:23]
	s_wait_dscnt 0x0
	global_store_b64 v[28:29], v[24:25], off
	s_cbranch_execnz .LBB132_24
.LBB132_23:                             ;   in Loop: Header=BB132_7 Depth=1
	s_wait_dscnt 0x0
	global_store_b64 v[20:21], v[24:25], off
.LBB132_24:                             ;   in Loop: Header=BB132_7 Depth=1
	s_wait_xcnt 0x0
	s_or_b32 exec_lo, exec_lo, s8
	s_and_saveexec_b32 s8, s38
	s_cbranch_execz .LBB132_28
; %bb.25:                               ;   in Loop: Header=BB132_7 Depth=1
	s_wait_dscnt 0x0
	ds_load_b64 v[24:25], v5 offset:64
	s_and_not1_b32 vcc_lo, exec_lo, s19
	s_cbranch_vccnz .LBB132_54
; %bb.26:                               ;   in Loop: Header=BB132_7 Depth=1
	v_lshl_add_u64 v[28:29], v[10:11], 3, v[22:23]
	s_wait_dscnt 0x0
	global_store_b64 v[28:29], v[24:25], off
	s_cbranch_execnz .LBB132_28
.LBB132_27:                             ;   in Loop: Header=BB132_7 Depth=1
	s_wait_dscnt 0x0
	global_store_b64 v[20:21], v[24:25], off offset:64
.LBB132_28:                             ;   in Loop: Header=BB132_7 Depth=1
	s_wait_xcnt 0x0
	s_or_b32 exec_lo, exec_lo, s8
	s_and_saveexec_b32 s8, s39
	s_cbranch_execz .LBB132_32
; %bb.29:                               ;   in Loop: Header=BB132_7 Depth=1
	s_wait_dscnt 0x0
	ds_load_b64 v[24:25], v5 offset:128
	s_and_not1_b32 vcc_lo, exec_lo, s19
	s_cbranch_vccnz .LBB132_55
; %bb.30:                               ;   in Loop: Header=BB132_7 Depth=1
	v_lshl_add_u64 v[28:29], v[12:13], 3, v[22:23]
	s_wait_dscnt 0x0
	global_store_b64 v[28:29], v[24:25], off
	s_cbranch_execnz .LBB132_32
.LBB132_31:                             ;   in Loop: Header=BB132_7 Depth=1
	s_wait_dscnt 0x0
	global_store_b64 v[20:21], v[24:25], off offset:128
.LBB132_32:                             ;   in Loop: Header=BB132_7 Depth=1
	s_wait_xcnt 0x0
	s_or_b32 exec_lo, exec_lo, s8
	s_and_saveexec_b32 s8, s9
	s_cbranch_execz .LBB132_36
; %bb.33:                               ;   in Loop: Header=BB132_7 Depth=1
	s_wait_dscnt 0x0
	ds_load_b64 v[24:25], v5 offset:192
	s_and_not1_b32 vcc_lo, exec_lo, s19
	s_cbranch_vccnz .LBB132_56
; %bb.34:                               ;   in Loop: Header=BB132_7 Depth=1
	v_lshl_add_u64 v[22:23], v[14:15], 3, v[22:23]
	s_wait_dscnt 0x0
	global_store_b64 v[22:23], v[24:25], off
	s_cbranch_execnz .LBB132_36
.LBB132_35:                             ;   in Loop: Header=BB132_7 Depth=1
	s_wait_dscnt 0x0
	global_store_b64 v[20:21], v[24:25], off offset:192
.LBB132_36:                             ;   in Loop: Header=BB132_7 Depth=1
	s_wait_xcnt 0x0
	s_or_b32 exec_lo, exec_lo, s8
	s_mov_b32 s8, 1
.LBB132_37:                             ;   in Loop: Header=BB132_7 Depth=1
	s_wait_storecnt_dscnt 0x0
	s_barrier_signal -1
	s_barrier_wait -1
	ds_store_b64 v36, v[18:19]
	s_wait_dscnt 0x0
	s_barrier_signal -1
	s_barrier_wait -1
	s_and_saveexec_b32 s24, s0
	s_cbranch_execz .LBB132_39
; %bb.38:                               ;   in Loop: Header=BB132_7 Depth=1
	ds_load_2addr_stride64_b64 v[18:21], v36 offset1:2
	s_wait_dscnt 0x0
	v_min_i64 v[18:19], v[20:21], v[18:19]
	ds_store_b64 v36, v[18:19]
.LBB132_39:                             ;   in Loop: Header=BB132_7 Depth=1
	s_or_b32 exec_lo, exec_lo, s24
	s_wait_dscnt 0x0
	s_barrier_signal -1
	s_barrier_wait -1
	s_and_saveexec_b32 s24, s1
	s_cbranch_execz .LBB132_41
; %bb.40:                               ;   in Loop: Header=BB132_7 Depth=1
	ds_load_2addr_stride64_b64 v[18:21], v36 offset1:1
	s_wait_dscnt 0x0
	v_min_i64 v[18:19], v[20:21], v[18:19]
	ds_store_b64 v36, v[18:19]
.LBB132_41:                             ;   in Loop: Header=BB132_7 Depth=1
	s_or_b32 exec_lo, exec_lo, s24
	s_wait_dscnt 0x0
	s_barrier_signal -1
	s_barrier_wait -1
	s_and_saveexec_b32 s24, s2
	s_cbranch_execz .LBB132_43
; %bb.42:                               ;   in Loop: Header=BB132_7 Depth=1
	ds_load_2addr_b64 v[18:21], v36 offset1:32
	s_wait_dscnt 0x0
	v_min_i64 v[18:19], v[20:21], v[18:19]
	ds_store_b64 v36, v[18:19]
.LBB132_43:                             ;   in Loop: Header=BB132_7 Depth=1
	s_or_b32 exec_lo, exec_lo, s24
	s_wait_dscnt 0x0
	s_barrier_signal -1
	s_barrier_wait -1
	s_and_saveexec_b32 s24, s3
	s_cbranch_execz .LBB132_45
; %bb.44:                               ;   in Loop: Header=BB132_7 Depth=1
	ds_load_2addr_b64 v[18:21], v36 offset1:16
	s_wait_dscnt 0x0
	v_min_i64 v[18:19], v[20:21], v[18:19]
	ds_store_b64 v36, v[18:19]
.LBB132_45:                             ;   in Loop: Header=BB132_7 Depth=1
	;; [unrolled: 12-line block ×5, first 2 shown]
	s_or_b32 exec_lo, exec_lo, s24
	s_wait_dscnt 0x0
	s_barrier_signal -1
	s_barrier_wait -1
	s_and_saveexec_b32 s24, s7
	s_cbranch_execz .LBB132_6
; %bb.52:                               ;   in Loop: Header=BB132_7 Depth=1
	ds_load_b128 v[18:21], v2
	s_wait_dscnt 0x0
	v_min_i64 v[18:19], v[20:21], v[18:19]
	ds_store_b64 v2, v[18:19]
	s_branch .LBB132_6
.LBB132_53:                             ;   in Loop: Header=BB132_7 Depth=1
	s_branch .LBB132_23
.LBB132_54:                             ;   in Loop: Header=BB132_7 Depth=1
	s_branch .LBB132_27
.LBB132_55:                             ;   in Loop: Header=BB132_7 Depth=1
	s_branch .LBB132_31
.LBB132_56:                             ;   in Loop: Header=BB132_7 Depth=1
	s_branch .LBB132_35
.LBB132_57:
	s_endpgm
	.section	.rodata,"a",@progbits
	.p2align	6, 0x0
	.amdhsa_kernel _ZN9rocsparseL38csr2bsr_block_per_row_multipass_kernelILj256ELj32EdilEEv20rocsparse_direction_T3_S2_S2_S2_S2_21rocsparse_index_base_PKT1_PKT2_PKS2_S3_PS4_PS7_PS2_
		.amdhsa_group_segment_fixed_size 8200
		.amdhsa_private_segment_fixed_size 0
		.amdhsa_kernarg_size 112
		.amdhsa_user_sgpr_count 2
		.amdhsa_user_sgpr_dispatch_ptr 0
		.amdhsa_user_sgpr_queue_ptr 0
		.amdhsa_user_sgpr_kernarg_segment_ptr 1
		.amdhsa_user_sgpr_dispatch_id 0
		.amdhsa_user_sgpr_kernarg_preload_length 0
		.amdhsa_user_sgpr_kernarg_preload_offset 0
		.amdhsa_user_sgpr_private_segment_size 0
		.amdhsa_wavefront_size32 1
		.amdhsa_uses_dynamic_stack 0
		.amdhsa_enable_private_segment 0
		.amdhsa_system_sgpr_workgroup_id_x 1
		.amdhsa_system_sgpr_workgroup_id_y 0
		.amdhsa_system_sgpr_workgroup_id_z 0
		.amdhsa_system_sgpr_workgroup_info 0
		.amdhsa_system_vgpr_workitem_id 0
		.amdhsa_next_free_vgpr 52
		.amdhsa_next_free_sgpr 51
		.amdhsa_named_barrier_count 0
		.amdhsa_reserve_vcc 1
		.amdhsa_float_round_mode_32 0
		.amdhsa_float_round_mode_16_64 0
		.amdhsa_float_denorm_mode_32 3
		.amdhsa_float_denorm_mode_16_64 3
		.amdhsa_fp16_overflow 0
		.amdhsa_memory_ordered 1
		.amdhsa_forward_progress 1
		.amdhsa_inst_pref_size 22
		.amdhsa_round_robin_scheduling 0
		.amdhsa_exception_fp_ieee_invalid_op 0
		.amdhsa_exception_fp_denorm_src 0
		.amdhsa_exception_fp_ieee_div_zero 0
		.amdhsa_exception_fp_ieee_overflow 0
		.amdhsa_exception_fp_ieee_underflow 0
		.amdhsa_exception_fp_ieee_inexact 0
		.amdhsa_exception_int_div_zero 0
	.end_amdhsa_kernel
	.section	.text._ZN9rocsparseL38csr2bsr_block_per_row_multipass_kernelILj256ELj32EdilEEv20rocsparse_direction_T3_S2_S2_S2_S2_21rocsparse_index_base_PKT1_PKT2_PKS2_S3_PS4_PS7_PS2_,"axG",@progbits,_ZN9rocsparseL38csr2bsr_block_per_row_multipass_kernelILj256ELj32EdilEEv20rocsparse_direction_T3_S2_S2_S2_S2_21rocsparse_index_base_PKT1_PKT2_PKS2_S3_PS4_PS7_PS2_,comdat
.Lfunc_end132:
	.size	_ZN9rocsparseL38csr2bsr_block_per_row_multipass_kernelILj256ELj32EdilEEv20rocsparse_direction_T3_S2_S2_S2_S2_21rocsparse_index_base_PKT1_PKT2_PKS2_S3_PS4_PS7_PS2_, .Lfunc_end132-_ZN9rocsparseL38csr2bsr_block_per_row_multipass_kernelILj256ELj32EdilEEv20rocsparse_direction_T3_S2_S2_S2_S2_21rocsparse_index_base_PKT1_PKT2_PKS2_S3_PS4_PS7_PS2_
                                        ; -- End function
	.set _ZN9rocsparseL38csr2bsr_block_per_row_multipass_kernelILj256ELj32EdilEEv20rocsparse_direction_T3_S2_S2_S2_S2_21rocsparse_index_base_PKT1_PKT2_PKS2_S3_PS4_PS7_PS2_.num_vgpr, 52
	.set _ZN9rocsparseL38csr2bsr_block_per_row_multipass_kernelILj256ELj32EdilEEv20rocsparse_direction_T3_S2_S2_S2_S2_21rocsparse_index_base_PKT1_PKT2_PKS2_S3_PS4_PS7_PS2_.num_agpr, 0
	.set _ZN9rocsparseL38csr2bsr_block_per_row_multipass_kernelILj256ELj32EdilEEv20rocsparse_direction_T3_S2_S2_S2_S2_21rocsparse_index_base_PKT1_PKT2_PKS2_S3_PS4_PS7_PS2_.numbered_sgpr, 51
	.set _ZN9rocsparseL38csr2bsr_block_per_row_multipass_kernelILj256ELj32EdilEEv20rocsparse_direction_T3_S2_S2_S2_S2_21rocsparse_index_base_PKT1_PKT2_PKS2_S3_PS4_PS7_PS2_.num_named_barrier, 0
	.set _ZN9rocsparseL38csr2bsr_block_per_row_multipass_kernelILj256ELj32EdilEEv20rocsparse_direction_T3_S2_S2_S2_S2_21rocsparse_index_base_PKT1_PKT2_PKS2_S3_PS4_PS7_PS2_.private_seg_size, 0
	.set _ZN9rocsparseL38csr2bsr_block_per_row_multipass_kernelILj256ELj32EdilEEv20rocsparse_direction_T3_S2_S2_S2_S2_21rocsparse_index_base_PKT1_PKT2_PKS2_S3_PS4_PS7_PS2_.uses_vcc, 1
	.set _ZN9rocsparseL38csr2bsr_block_per_row_multipass_kernelILj256ELj32EdilEEv20rocsparse_direction_T3_S2_S2_S2_S2_21rocsparse_index_base_PKT1_PKT2_PKS2_S3_PS4_PS7_PS2_.uses_flat_scratch, 0
	.set _ZN9rocsparseL38csr2bsr_block_per_row_multipass_kernelILj256ELj32EdilEEv20rocsparse_direction_T3_S2_S2_S2_S2_21rocsparse_index_base_PKT1_PKT2_PKS2_S3_PS4_PS7_PS2_.has_dyn_sized_stack, 0
	.set _ZN9rocsparseL38csr2bsr_block_per_row_multipass_kernelILj256ELj32EdilEEv20rocsparse_direction_T3_S2_S2_S2_S2_21rocsparse_index_base_PKT1_PKT2_PKS2_S3_PS4_PS7_PS2_.has_recursion, 0
	.set _ZN9rocsparseL38csr2bsr_block_per_row_multipass_kernelILj256ELj32EdilEEv20rocsparse_direction_T3_S2_S2_S2_S2_21rocsparse_index_base_PKT1_PKT2_PKS2_S3_PS4_PS7_PS2_.has_indirect_call, 0
	.section	.AMDGPU.csdata,"",@progbits
; Kernel info:
; codeLenInByte = 2736
; TotalNumSgprs: 53
; NumVgprs: 52
; ScratchSize: 0
; MemoryBound: 0
; FloatMode: 240
; IeeeMode: 1
; LDSByteSize: 8200 bytes/workgroup (compile time only)
; SGPRBlocks: 0
; VGPRBlocks: 3
; NumSGPRsForWavesPerEU: 53
; NumVGPRsForWavesPerEU: 52
; NamedBarCnt: 0
; Occupancy: 16
; WaveLimiterHint : 1
; COMPUTE_PGM_RSRC2:SCRATCH_EN: 0
; COMPUTE_PGM_RSRC2:USER_SGPR: 2
; COMPUTE_PGM_RSRC2:TRAP_HANDLER: 0
; COMPUTE_PGM_RSRC2:TGID_X_EN: 1
; COMPUTE_PGM_RSRC2:TGID_Y_EN: 0
; COMPUTE_PGM_RSRC2:TGID_Z_EN: 0
; COMPUTE_PGM_RSRC2:TIDIG_COMP_CNT: 0
	.section	.text._ZN9rocsparseL38csr2bsr_block_per_row_multipass_kernelILj256ELj64EdilEEv20rocsparse_direction_T3_S2_S2_S2_S2_21rocsparse_index_base_PKT1_PKT2_PKS2_S3_PS4_PS7_PS2_,"axG",@progbits,_ZN9rocsparseL38csr2bsr_block_per_row_multipass_kernelILj256ELj64EdilEEv20rocsparse_direction_T3_S2_S2_S2_S2_21rocsparse_index_base_PKT1_PKT2_PKS2_S3_PS4_PS7_PS2_,comdat
	.globl	_ZN9rocsparseL38csr2bsr_block_per_row_multipass_kernelILj256ELj64EdilEEv20rocsparse_direction_T3_S2_S2_S2_S2_21rocsparse_index_base_PKT1_PKT2_PKS2_S3_PS4_PS7_PS2_ ; -- Begin function _ZN9rocsparseL38csr2bsr_block_per_row_multipass_kernelILj256ELj64EdilEEv20rocsparse_direction_T3_S2_S2_S2_S2_21rocsparse_index_base_PKT1_PKT2_PKS2_S3_PS4_PS7_PS2_
	.p2align	8
	.type	_ZN9rocsparseL38csr2bsr_block_per_row_multipass_kernelILj256ELj64EdilEEv20rocsparse_direction_T3_S2_S2_S2_S2_21rocsparse_index_base_PKT1_PKT2_PKS2_S3_PS4_PS7_PS2_,@function
_ZN9rocsparseL38csr2bsr_block_per_row_multipass_kernelILj256ELj64EdilEEv20rocsparse_direction_T3_S2_S2_S2_S2_21rocsparse_index_base_PKT1_PKT2_PKS2_S3_PS4_PS7_PS2_: ; @_ZN9rocsparseL38csr2bsr_block_per_row_multipass_kernelILj256ELj64EdilEEv20rocsparse_direction_T3_S2_S2_S2_S2_21rocsparse_index_base_PKT1_PKT2_PKS2_S3_PS4_PS7_PS2_
; %bb.0:
	s_clause 0x1
	s_load_b128 s[12:15], s[0:1], 0x20
	s_load_b64 s[2:3], s[0:1], 0x8
	s_bfe_u32 s5, ttmp6, 0x4000c
	s_and_b32 s4, ttmp6, 15
	s_add_co_i32 s5, s5, 1
	s_getreg_b32 s6, hwreg(HW_REG_IB_STS2, 6, 4)
	s_mul_i32 s5, ttmp9, s5
	v_dual_mov_b32 v3, 0 :: v_dual_lshrrev_b32 v2, 2, v0
	s_add_co_i32 s4, s4, s5
	s_cmp_eq_u32 s6, 0
	s_clause 0x1
	s_load_b32 s10, s[0:1], 0x30
	s_load_b64 s[6:7], s[0:1], 0x40
	s_cselect_b32 s4, ttmp9, s4
	v_mov_b32_e32 v7, v3
	s_ashr_i32 s5, s4, 31
	s_wait_kmcnt 0x0
	v_mad_nc_u64_u32 v[4:5], s14, s4, v[2:3]
	s_mul_i32 s8, s14, s5
	s_mul_i32 s9, s15, s4
	s_delay_alu instid0(VALU_DEP_1) | instid1(SALU_CYCLE_1)
	v_add3_u32 v5, s8, s9, v5
	s_delay_alu instid0(VALU_DEP_1) | instskip(SKIP_2) | instid1(SALU_CYCLE_1)
	v_cmp_gt_i64_e32 vcc_lo, s[2:3], v[4:5]
	v_cmp_gt_i64_e64 s2, s[14:15], v[2:3]
	s_and_b32 s3, s2, vcc_lo
	s_and_saveexec_b32 s8, s3
	s_cbranch_execnz .LBB133_3
; %bb.1:
	s_or_b32 exec_lo, exec_lo, s8
	s_and_saveexec_b32 s8, s3
	s_cbranch_execnz .LBB133_4
.LBB133_2:
	s_or_b32 exec_lo, exec_lo, s8
	v_cmp_lt_i64_e64 s3, s[12:13], 1
	s_and_b32 vcc_lo, exec_lo, s3
	s_cbranch_vccz .LBB133_5
	s_branch .LBB133_59
.LBB133_3:
	v_lshl_add_u64 v[6:7], v[4:5], 2, s[6:7]
	global_load_b32 v1, v[6:7], off
	s_wait_loadcnt 0x0
	v_subrev_nc_u32_e32 v7, s10, v1
	s_or_b32 exec_lo, exec_lo, s8
	s_and_saveexec_b32 s8, s3
	s_cbranch_execz .LBB133_2
.LBB133_4:
	v_lshl_add_u64 v[4:5], v[4:5], 2, s[6:7]
	global_load_b32 v1, v[4:5], off offset:4
	s_wait_loadcnt 0x0
	v_subrev_nc_u32_e32 v3, s10, v1
	s_or_b32 exec_lo, exec_lo, s8
	v_cmp_lt_i64_e64 s3, s[12:13], 1
	s_and_b32 vcc_lo, exec_lo, s3
	s_cbranch_vccnz .LBB133_59
.LBB133_5:
	s_clause 0x4
	s_load_b128 s[16:19], s[0:1], 0x58
	s_load_b64 s[24:25], s[0:1], 0x68
	s_load_b96 s[20:22], s[0:1], 0x48
	s_load_b64 s[26:27], s[0:1], 0x38
	s_load_b32 s9, s[0:1], 0x0
	s_wait_xcnt 0x0
	s_lshl_b64 s[0:1], s[4:5], 2
	v_cvt_f32_u32_e32 v1, s14
	v_dual_lshlrev_b32 v34, 9, v2 :: v_dual_bitop2_b32 v4, 3, v0 bitop3:0x40
	v_dual_mov_b32 v6, 0 :: v_dual_lshlrev_b32 v35, 3, v0
	s_delay_alu instid0(VALU_DEP_3)
	v_rcp_iflag_f32_e32 v1, v1
	v_cmp_gt_u32_e64 s3, 32, v0
	v_cmp_gt_u32_e64 s4, 16, v0
	;; [unrolled: 1-line block ×5, first 2 shown]
	v_cmp_eq_u32_e64 s8, 0, v0
	v_mbcnt_lo_u32_b32 v12, -1, 0
	v_mov_b32_e32 v5, v6
	s_wait_kmcnt 0x0
	s_add_nc_u64 s[0:1], s[18:19], s[0:1]
	v_mov_b64_e32 v[20:21], 0
	s_load_b32 s11, s[0:1], 0x0
	s_wait_xcnt 0x0
	v_cmp_gt_u32_e64 s0, 0x80, v0
	v_cmp_gt_u32_e64 s1, 64, v0
	v_dual_mul_f32 v1, 0x4f7ffffe, v1 :: v_dual_lshlrev_b32 v0, 3, v2
	v_dual_mov_b32 v2, 1 :: v_dual_bitop2_b32 v16, 2, v12 bitop3:0x14
	v_lshlrev_b32_e32 v10, 3, v4
	v_xor_b32_e32 v19, 1, v12
	s_delay_alu instid0(VALU_DEP_4) | instskip(NEXT) | instid1(VALU_DEP_4)
	v_cvt_u32_f32_e32 v18, v1
	v_cmp_gt_i32_e32 vcc_lo, 32, v16
	v_mov_b32_e32 v1, v6
	v_or_b32_e32 v37, v34, v10
	v_mov_b64_e32 v[8:9], 0
	v_lshl_or_b32 v36, v12, 2, 12
	v_cndmask_b32_e32 v23, v12, v16, vcc_lo
	v_cmp_gt_i32_e32 vcc_lo, 32, v19
	v_dual_mov_b32 v11, v6 :: v_dual_mov_b32 v13, v6
	v_dual_mov_b32 v15, v6 :: v_dual_mov_b32 v17, v6
	s_wait_kmcnt 0x0
	s_sub_co_i32 s30, s11, s22
	s_cmp_lg_u32 s9, 0
	v_dual_cndmask_b32 v19, v12, v19, vcc_lo :: v_dual_bitop2_b32 v12, 64, v10 bitop3:0x54
	s_cselect_b32 s23, -1, 0
	s_sub_co_i32 s9, 0, s14
	v_or_b32_e32 v16, 0x60, v10
	v_mul_lo_u32 v14, s9, v18
	v_mov_b32_e32 v30, 0
	s_mov_b32 s29, 0
	s_mov_b64 s[18:19], 0xffffffff
	s_mov_b32 s11, s29
	s_lshl_b64 s[34:35], s[14:15], 3
	s_lshl_b64 s[36:37], s[14:15], 7
	s_ashr_i32 s38, s15, 31
	v_lshlrev_b32_e32 v38, 2, v23
	s_delay_alu instid0(VALU_DEP_3) | instskip(SKIP_1) | instid1(VALU_DEP_2)
	v_mul_hi_u32 v22, v18, v14
	v_dual_lshlrev_b32 v39, 2, v19 :: v_dual_bitop2_b32 v14, 32, v10 bitop3:0x54
	v_add_nc_u32_e32 v40, v18, v22
	s_branch .LBB133_7
.LBB133_6:                              ;   in Loop: Header=BB133_7 Depth=1
	s_or_b32 exec_lo, exec_lo, s28
	s_wait_dscnt 0x0
	s_barrier_signal -1
	s_barrier_wait -1
	ds_load_b64 v[20:21], v6
	s_add_co_i32 s30, s9, s30
	s_wait_dscnt 0x0
	s_barrier_signal -1
	s_barrier_wait -1
	v_dual_mov_b32 v30, v20 :: v_dual_ashrrev_i32 v21, 31, v20
	s_delay_alu instid0(VALU_DEP_1)
	v_cmp_gt_i64_e32 vcc_lo, s[12:13], v[20:21]
	s_cbranch_vccz .LBB133_59
.LBB133_7:                              ; =>This Loop Header: Depth=1
                                        ;     Child Loop BB133_10 Depth 2
                                        ;     Child Loop BB133_22 Depth 2
	v_mov_b64_e32 v[18:19], s[12:13]
	v_add_nc_u32_e32 v22, v7, v4
	v_mov_b32_e32 v7, v3
	s_mov_b32 s31, exec_lo
	ds_store_b8 v6, v6 offset:32768
	ds_store_2addr_b64 v37, v[8:9], v[8:9] offset1:4
	ds_store_2addr_b64 v37, v[8:9], v[8:9] offset0:8 offset1:12
	ds_store_2addr_b64 v37, v[8:9], v[8:9] offset0:16 offset1:20
	;; [unrolled: 1-line block ×7, first 2 shown]
	s_wait_dscnt 0x0
	s_barrier_signal -1
	s_barrier_wait -1
	v_cmpx_lt_i32_e64 v22, v3
	s_cbranch_execz .LBB133_19
; %bb.8:                                ;   in Loop: Header=BB133_7 Depth=1
	v_mul_u64_e32 v[24:25], s[14:15], v[20:21]
	v_mov_b64_e32 v[18:19], s[12:13]
	v_mov_b32_e32 v25, v3
	s_mov_b32 s33, 0
	s_branch .LBB133_10
.LBB133_9:                              ;   in Loop: Header=BB133_10 Depth=2
	s_wait_xcnt 0x0
	s_or_b32 exec_lo, exec_lo, s9
	v_dual_mov_b32 v25, v7 :: v_dual_add_nc_u32 v22, 4, v22
	s_xor_b32 s28, vcc_lo, -1
	s_delay_alu instid0(VALU_DEP_1) | instskip(SKIP_1) | instid1(SALU_CYCLE_1)
	v_cmp_ge_i32_e64 s9, v22, v3
	s_or_b32 s9, s28, s9
	s_and_b32 s9, exec_lo, s9
	s_delay_alu instid0(SALU_CYCLE_1) | instskip(NEXT) | instid1(SALU_CYCLE_1)
	s_or_b32 s33, s9, s33
	s_and_not1_b32 exec_lo, exec_lo, s33
	s_cbranch_execz .LBB133_18
.LBB133_10:                             ;   Parent Loop BB133_7 Depth=1
                                        ; =>  This Inner Loop Header: Depth=2
	global_load_b64 v[26:27], v22, s[20:21] scale_offset
                                        ; implicit-def: $vgpr28_vgpr29
	s_mov_b32 s9, exec_lo
	s_wait_loadcnt 0x0
	v_sub_nc_u64_e64 v[26:27], v[26:27], s[10:11]
	s_delay_alu instid0(VALU_DEP_1) | instskip(SKIP_1) | instid1(VALU_DEP_1)
	v_or_b32_e32 v7, s15, v27
	s_wait_xcnt 0x0
	v_cmpx_ne_u64_e32 0, v[6:7]
	s_xor_b32 s42, exec_lo, s9
	s_cbranch_execz .LBB133_12
; %bb.11:                               ;   in Loop: Header=BB133_10 Depth=2
	s_mov_b32 s39, s38
	v_dual_mov_b32 v43, v6 :: v_dual_ashrrev_i32 v28, 31, v27
	s_add_nc_u64 s[40:41], s[14:15], s[38:39]
	v_mov_b32_e32 v47, v6
	s_xor_b64 s[40:41], s[40:41], s[38:39]
	s_delay_alu instid0(VALU_DEP_2)
	v_mov_b32_e32 v29, v28
	s_cvt_f32_u32 s9, s40
	s_cvt_f32_u32 s28, s41
	s_sub_nc_u64 s[46:47], 0, s[40:41]
	v_mov_b32_e32 v51, v6
	v_add_nc_u64_e32 v[32:33], v[26:27], v[28:29]
	s_fmamk_f32 s9, s28, 0x4f800000, s9
	s_delay_alu instid0(SALU_CYCLE_3) | instskip(NEXT) | instid1(VALU_DEP_1)
	v_s_rcp_f32 s9, s9
	v_xor_b32_e32 v42, v32, v28
	s_delay_alu instid0(VALU_DEP_2) | instskip(NEXT) | instid1(TRANS32_DEP_1)
	v_xor_b32_e32 v46, v33, v28
	s_mul_f32 s9, s9, 0x5f7ffffc
	s_delay_alu instid0(SALU_CYCLE_3) | instskip(NEXT) | instid1(SALU_CYCLE_3)
	s_mul_f32 s28, s9, 0x2f800000
	s_trunc_f32 s28, s28
	s_delay_alu instid0(SALU_CYCLE_3) | instskip(SKIP_1) | instid1(SALU_CYCLE_2)
	s_fmamk_f32 s9, s28, 0xcf800000, s9
	s_cvt_u32_f32 s45, s28
	s_cvt_u32_f32 s44, s9
	s_delay_alu instid0(SALU_CYCLE_3) | instskip(NEXT) | instid1(SALU_CYCLE_1)
	s_mul_u64 s[48:49], s[46:47], s[44:45]
	s_mul_hi_u32 s51, s44, s49
	s_mul_i32 s50, s44, s49
	s_mul_hi_u32 s28, s44, s48
	s_mul_i32 s39, s45, s48
	s_add_nc_u64 s[50:51], s[28:29], s[50:51]
	s_mul_hi_u32 s9, s45, s48
	s_mul_hi_u32 s43, s45, s49
	s_add_co_u32 s28, s50, s39
	s_add_co_ci_u32 s28, s51, s9
	s_mul_i32 s48, s45, s49
	s_add_co_ci_u32 s49, s43, 0
	s_delay_alu instid0(SALU_CYCLE_1) | instskip(NEXT) | instid1(SALU_CYCLE_1)
	s_add_nc_u64 s[48:49], s[28:29], s[48:49]
	s_add_co_u32 s44, s44, s48
	s_cselect_b32 s9, -1, 0
	s_delay_alu instid0(SALU_CYCLE_1) | instskip(SKIP_1) | instid1(SALU_CYCLE_1)
	s_cmp_lg_u32 s9, 0
	s_add_co_ci_u32 s45, s45, s49
	s_mul_u64 s[46:47], s[46:47], s[44:45]
	s_delay_alu instid0(SALU_CYCLE_1)
	s_mul_hi_u32 s49, s44, s47
	s_mul_i32 s48, s44, s47
	s_mul_hi_u32 s28, s44, s46
	s_mul_i32 s39, s45, s46
	s_add_nc_u64 s[48:49], s[28:29], s[48:49]
	s_mul_hi_u32 s9, s45, s46
	s_mul_hi_u32 s43, s45, s47
	s_add_co_u32 s28, s48, s39
	s_add_co_ci_u32 s28, s49, s9
	s_mul_i32 s46, s45, s47
	s_add_co_ci_u32 s47, s43, 0
	s_delay_alu instid0(SALU_CYCLE_1) | instskip(NEXT) | instid1(SALU_CYCLE_1)
	s_add_nc_u64 s[46:47], s[28:29], s[46:47]
	s_add_co_u32 s44, s44, s46
	s_cselect_b32 s9, -1, 0
	v_mul_hi_u32 v50, v42, s44
	s_cmp_lg_u32 s9, 0
	s_add_co_ci_u32 s28, s45, s47
	s_and_b64 s[46:47], s[44:45], s[18:19]
	v_mul_u64_e32 v[44:45], s[28:29], v[42:43]
	v_mul_u64_e32 v[32:33], s[46:47], v[46:47]
	;; [unrolled: 1-line block ×3, first 2 shown]
	s_delay_alu instid0(VALU_DEP_3) | instskip(NEXT) | instid1(VALU_DEP_1)
	v_add_nc_u64_e32 v[44:45], v[50:51], v[44:45]
	v_add_co_u32 v7, vcc_lo, v44, v32
	s_delay_alu instid0(VALU_DEP_2) | instskip(NEXT) | instid1(VALU_DEP_4)
	v_add_co_ci_u32_e32 v50, vcc_lo, v45, v33, vcc_lo
	v_add_co_ci_u32_e32 v49, vcc_lo, 0, v49, vcc_lo
	s_delay_alu instid0(VALU_DEP_1) | instskip(NEXT) | instid1(VALU_DEP_1)
	v_add_nc_u64_e32 v[32:33], v[50:51], v[48:49]
	v_mul_u64_e32 v[44:45], s[40:41], v[32:33]
	s_delay_alu instid0(VALU_DEP_1) | instskip(NEXT) | instid1(VALU_DEP_2)
	v_sub_nc_u32_e32 v7, v46, v45
	v_sub_co_u32 v23, vcc_lo, v42, v44
	s_delay_alu instid0(VALU_DEP_1) | instskip(NEXT) | instid1(VALU_DEP_3)
	v_sub_co_ci_u32_e64 v29, null, v46, v45, vcc_lo
	v_subrev_co_ci_u32_e64 v7, null, s41, v7, vcc_lo
	s_delay_alu instid0(VALU_DEP_3) | instskip(SKIP_1) | instid1(VALU_DEP_3)
	v_sub_co_u32 v27, s9, v23, s40
	v_add_nc_u64_e32 v[42:43], 2, v[32:33]
	v_subrev_co_ci_u32_e64 v7, null, 0, v7, s9
	s_delay_alu instid0(VALU_DEP_3) | instskip(SKIP_2) | instid1(VALU_DEP_4)
	v_cmp_le_u32_e32 vcc_lo, s40, v27
	v_add_nc_u64_e32 v[44:45], 1, v[32:33]
	v_cndmask_b32_e64 v27, 0, -1, vcc_lo
	v_cmp_le_u32_e32 vcc_lo, s41, v7
	v_cndmask_b32_e64 v31, 0, -1, vcc_lo
	v_cmp_le_u32_e32 vcc_lo, s40, v23
	;; [unrolled: 2-line block ×3, first 2 shown]
	v_cndmask_b32_e64 v41, 0, -1, vcc_lo
	v_cmp_eq_u32_e32 vcc_lo, s41, v7
	v_cndmask_b32_e32 v7, v31, v27, vcc_lo
	v_cmp_eq_u32_e32 vcc_lo, s41, v29
	s_delay_alu instid0(VALU_DEP_4) | instskip(NEXT) | instid1(VALU_DEP_3)
	v_cndmask_b32_e32 v23, v41, v23, vcc_lo
	v_cmp_ne_u32_e32 vcc_lo, 0, v7
	s_delay_alu instid0(VALU_DEP_2) | instskip(SKIP_1) | instid1(VALU_DEP_1)
	v_cmp_ne_u32_e64 s9, 0, v23
	v_dual_cndmask_b32 v7, v45, v43, vcc_lo :: v_dual_cndmask_b32 v23, v44, v42, vcc_lo
	v_dual_cndmask_b32 v7, v33, v7, s9 :: v_dual_bitop2_b32 v28, s38, v28 bitop3:0x14
	s_delay_alu instid0(VALU_DEP_1) | instskip(NEXT) | instid1(VALU_DEP_1)
	v_dual_cndmask_b32 v23, v32, v23, s9 :: v_dual_bitop2_b32 v33, v7, v28 bitop3:0x14
	v_dual_mov_b32 v29, v28 :: v_dual_bitop2_b32 v32, v23, v28 bitop3:0x14
	s_delay_alu instid0(VALU_DEP_1)
	v_sub_nc_u64_e32 v[28:29], v[32:33], v[28:29]
.LBB133_12:                             ;   in Loop: Header=BB133_10 Depth=2
	s_and_not1_saveexec_b32 s9, s42
	s_cbranch_execz .LBB133_14
; %bb.13:                               ;   in Loop: Header=BB133_10 Depth=2
	v_mul_hi_u32 v7, v26, v40
	v_mov_b32_e32 v29, v6
	s_delay_alu instid0(VALU_DEP_2) | instskip(NEXT) | instid1(VALU_DEP_1)
	v_mul_lo_u32 v23, v7, s14
	v_sub_nc_u32_e32 v23, v26, v23
	s_delay_alu instid0(VALU_DEP_1) | instskip(SKIP_1) | instid1(VALU_DEP_2)
	v_subrev_nc_u32_e32 v28, s14, v23
	v_cmp_le_u32_e32 vcc_lo, s14, v23
	v_dual_add_nc_u32 v27, 1, v7 :: v_dual_cndmask_b32 v23, v23, v28, vcc_lo
	s_delay_alu instid0(VALU_DEP_1) | instskip(NEXT) | instid1(VALU_DEP_2)
	v_cndmask_b32_e32 v7, v7, v27, vcc_lo
	v_cmp_le_u32_e32 vcc_lo, s14, v23
	s_delay_alu instid0(VALU_DEP_2) | instskip(NEXT) | instid1(VALU_DEP_1)
	v_add_nc_u32_e32 v27, 1, v7
	v_cndmask_b32_e32 v28, v7, v27, vcc_lo
.LBB133_14:                             ;   in Loop: Header=BB133_10 Depth=2
	s_or_b32 exec_lo, exec_lo, s9
	s_delay_alu instid0(VALU_DEP_1) | instskip(SKIP_2) | instid1(SALU_CYCLE_1)
	v_cmp_ne_u64_e64 s9, v[28:29], v[20:21]
	v_cmp_eq_u64_e32 vcc_lo, v[28:29], v[20:21]
	s_and_saveexec_b32 s28, s9
	s_xor_b32 s9, exec_lo, s28
; %bb.15:                               ;   in Loop: Header=BB133_10 Depth=2
	v_min_i64 v[18:19], v[28:29], v[18:19]
                                        ; implicit-def: $vgpr26_vgpr27
                                        ; implicit-def: $vgpr25
; %bb.16:                               ;   in Loop: Header=BB133_10 Depth=2
	s_or_saveexec_b32 s9, s9
	v_mov_b32_e32 v7, v22
	s_xor_b32 exec_lo, exec_lo, s9
	s_cbranch_execz .LBB133_9
; %bb.17:                               ;   in Loop: Header=BB133_10 Depth=2
	v_dual_ashrrev_i32 v23, 31, v22 :: v_dual_sub_nc_u32 v7, v26, v24
	s_delay_alu instid0(VALU_DEP_1) | instskip(NEXT) | instid1(VALU_DEP_2)
	v_lshl_add_u64 v[28:29], v[22:23], 3, s[26:27]
	v_lshl_add_u32 v23, v7, 3, v34
	v_mov_b32_e32 v7, v25
	global_load_b64 v[28:29], v[28:29], off
	ds_store_b8 v6, v2 offset:32768
	s_wait_loadcnt 0x0
	ds_store_b64 v23, v[28:29]
	s_branch .LBB133_9
.LBB133_18:                             ;   in Loop: Header=BB133_7 Depth=1
	s_or_b32 exec_lo, exec_lo, s33
.LBB133_19:                             ;   in Loop: Header=BB133_7 Depth=1
	s_delay_alu instid0(SALU_CYCLE_1)
	s_or_b32 exec_lo, exec_lo, s31
	ds_bpermute_b32 v20, v38, v7
	s_wait_dscnt 0x0
	s_barrier_signal -1
	s_barrier_wait -1
	ds_load_u8 v21, v6 offset:32768
	s_mov_b32 s9, 0
	v_min_i32_e32 v7, v20, v7
	ds_bpermute_b32 v20, v39, v7
	s_wait_dscnt 0x0
	v_min_i32_e32 v7, v20, v7
	v_and_b32_e32 v20, 1, v21
	ds_bpermute_b32 v7, v36, v7
	v_cmp_eq_u32_e32 vcc_lo, 0, v20
	s_cbranch_vccnz .LBB133_43
; %bb.20:                               ;   in Loop: Header=BB133_7 Depth=1
	s_ashr_i32 s31, s30, 31
	v_add_nc_u32_e32 v30, s22, v30
	s_mul_u64 s[40:41], s[34:35], s[30:31]
	v_mov_b32_e32 v41, v37
	v_add_nc_u64_e32 v[32:33], s[40:41], v[12:13]
	v_add_nc_u64_e32 v[42:43], s[40:41], v[14:15]
	;; [unrolled: 1-line block ×5, first 2 shown]
	s_mov_b64 s[40:41], 0
	v_mad_nc_u64_u32 v[20:21], s14, v32, v[0:1]
	v_mad_nc_u64_u32 v[22:23], s14, v42, v[0:1]
	;; [unrolled: 1-line block ×5, first 2 shown]
	v_mad_u32 v21, s15, v32, v21
	v_mad_u32 v23, s15, v42, v23
	;; [unrolled: 1-line block ×5, first 2 shown]
	v_dual_mov_b32 v32, s30 :: v_dual_ashrrev_i32 v31, 31, v30
	global_store_b64 v32, v[30:31], s[24:25] scale_offset
	v_mad_u32 v21, s14, v33, v21
	v_mad_u32 v23, s14, v43, v23
	;; [unrolled: 1-line block ×5, first 2 shown]
	s_branch .LBB133_22
.LBB133_21:                             ;   in Loop: Header=BB133_22 Depth=2
	s_wait_xcnt 0x0
	s_or_b32 exec_lo, exec_lo, s9
	v_add_nc_u64_e32 v[20:21], s[36:37], v[20:21]
	v_add_nc_u64_e32 v[22:23], s[36:37], v[22:23]
	;; [unrolled: 1-line block ×5, first 2 shown]
	s_add_nc_u64 s[40:41], s[40:41], 16
	v_add_nc_u32_e32 v41, 0x80, v41
	s_add_co_i32 s9, s40, -4
	s_delay_alu instid0(SALU_CYCLE_1)
	s_cmp_lt_u32 s9, 60
	s_cbranch_scc0 .LBB133_42
.LBB133_22:                             ;   Parent Loop BB133_7 Depth=1
                                        ; =>  This Inner Loop Header: Depth=2
	s_wait_xcnt 0x0
	s_wait_dscnt 0x0
	v_add_nc_u64_e32 v[30:31], s[40:41], v[4:5]
	s_delay_alu instid0(VALU_DEP_1) | instskip(SKIP_1) | instid1(SALU_CYCLE_1)
	v_cmp_gt_i64_e32 vcc_lo, s[14:15], v[30:31]
	s_and_b32 s28, s2, vcc_lo
	s_and_saveexec_b32 s9, s28
	s_cbranch_execz .LBB133_26
; %bb.23:                               ;   in Loop: Header=BB133_22 Depth=2
	ds_load_b64 v[32:33], v41
	s_and_b32 vcc_lo, exec_lo, s23
	s_cbranch_vccz .LBB133_37
; %bb.24:                               ;   in Loop: Header=BB133_22 Depth=2
	v_add_nc_u64_e32 v[42:43], s[16:17], v[24:25]
	s_wait_dscnt 0x0
	global_store_b64 v[42:43], v[32:33], off
	s_cbranch_execnz .LBB133_26
.LBB133_25:                             ;   in Loop: Header=BB133_22 Depth=2
	s_wait_xcnt 0x0
	v_add_nc_u64_e32 v[42:43], s[16:17], v[26:27]
	s_wait_dscnt 0x0
	global_store_b64 v[42:43], v[32:33], off
.LBB133_26:                             ;   in Loop: Header=BB133_22 Depth=2
	s_wait_xcnt 0x0
	s_or_b32 exec_lo, exec_lo, s9
	s_wait_dscnt 0x0
	v_add_nc_u64_e32 v[32:33], 4, v[30:31]
	s_delay_alu instid0(VALU_DEP_1) | instskip(SKIP_1) | instid1(SALU_CYCLE_1)
	v_cmp_gt_i64_e32 vcc_lo, s[14:15], v[32:33]
	s_and_b32 s28, s2, vcc_lo
	s_and_saveexec_b32 s9, s28
	s_cbranch_execz .LBB133_30
; %bb.27:                               ;   in Loop: Header=BB133_22 Depth=2
	ds_load_b64 v[32:33], v41 offset:32
	s_and_not1_b32 vcc_lo, exec_lo, s23
	s_cbranch_vccnz .LBB133_38
; %bb.28:                               ;   in Loop: Header=BB133_22 Depth=2
	v_add_nc_u64_e32 v[42:43], s[16:17], v[22:23]
	s_wait_dscnt 0x0
	global_store_b64 v[42:43], v[32:33], off
	s_cbranch_execnz .LBB133_30
.LBB133_29:                             ;   in Loop: Header=BB133_22 Depth=2
	s_wait_xcnt 0x0
	v_add_nc_u64_e32 v[42:43], s[16:17], v[26:27]
	s_wait_dscnt 0x0
	global_store_b64 v[42:43], v[32:33], off offset:32
.LBB133_30:                             ;   in Loop: Header=BB133_22 Depth=2
	s_wait_xcnt 0x0
	s_or_b32 exec_lo, exec_lo, s9
	s_wait_dscnt 0x0
	v_add_nc_u64_e32 v[32:33], 8, v[30:31]
	s_delay_alu instid0(VALU_DEP_1) | instskip(SKIP_1) | instid1(SALU_CYCLE_1)
	v_cmp_gt_i64_e32 vcc_lo, s[14:15], v[32:33]
	s_and_b32 s28, s2, vcc_lo
	s_and_saveexec_b32 s9, s28
	s_cbranch_execz .LBB133_34
; %bb.31:                               ;   in Loop: Header=BB133_22 Depth=2
	ds_load_b64 v[32:33], v41 offset:64
	s_and_not1_b32 vcc_lo, exec_lo, s23
	s_cbranch_vccnz .LBB133_39
; %bb.32:                               ;   in Loop: Header=BB133_22 Depth=2
	v_add_nc_u64_e32 v[42:43], s[16:17], v[20:21]
	s_wait_dscnt 0x0
	global_store_b64 v[42:43], v[32:33], off
	s_cbranch_execnz .LBB133_34
.LBB133_33:                             ;   in Loop: Header=BB133_22 Depth=2
	s_wait_xcnt 0x0
	v_add_nc_u64_e32 v[42:43], s[16:17], v[26:27]
	s_wait_dscnt 0x0
	global_store_b64 v[42:43], v[32:33], off offset:64
.LBB133_34:                             ;   in Loop: Header=BB133_22 Depth=2
	s_wait_xcnt 0x0
	s_or_b32 exec_lo, exec_lo, s9
	v_add_nc_u64_e32 v[30:31], 12, v[30:31]
	s_delay_alu instid0(VALU_DEP_1) | instskip(SKIP_1) | instid1(SALU_CYCLE_1)
	v_cmp_gt_i64_e32 vcc_lo, s[14:15], v[30:31]
	s_and_b32 s28, s2, vcc_lo
	s_and_saveexec_b32 s9, s28
	s_cbranch_execz .LBB133_21
; %bb.35:                               ;   in Loop: Header=BB133_22 Depth=2
	ds_load_b64 v[30:31], v41 offset:96
	s_and_not1_b32 vcc_lo, exec_lo, s23
	s_cbranch_vccnz .LBB133_40
; %bb.36:                               ;   in Loop: Header=BB133_22 Depth=2
	s_wait_dscnt 0x1
	v_add_nc_u64_e32 v[32:33], s[16:17], v[28:29]
	s_wait_dscnt 0x0
	global_store_b64 v[32:33], v[30:31], off
	s_cbranch_execnz .LBB133_21
	s_branch .LBB133_41
.LBB133_37:                             ;   in Loop: Header=BB133_22 Depth=2
	s_branch .LBB133_25
.LBB133_38:                             ;   in Loop: Header=BB133_22 Depth=2
	s_branch .LBB133_29
.LBB133_39:                             ;   in Loop: Header=BB133_22 Depth=2
	s_branch .LBB133_33
.LBB133_40:                             ;   in Loop: Header=BB133_22 Depth=2
.LBB133_41:                             ;   in Loop: Header=BB133_22 Depth=2
	s_wait_dscnt 0x1
	s_wait_xcnt 0x0
	v_add_nc_u64_e32 v[32:33], s[16:17], v[26:27]
	s_wait_dscnt 0x0
	global_store_b64 v[32:33], v[30:31], off offset:96
	s_branch .LBB133_21
.LBB133_42:                             ;   in Loop: Header=BB133_7 Depth=1
	s_mov_b32 s9, 1
.LBB133_43:                             ;   in Loop: Header=BB133_7 Depth=1
	s_wait_storecnt_dscnt 0x0
	s_barrier_signal -1
	s_barrier_wait -1
	ds_store_b64 v35, v[18:19]
	s_wait_dscnt 0x0
	s_barrier_signal -1
	s_barrier_wait -1
	s_and_saveexec_b32 s28, s0
	s_cbranch_execz .LBB133_45
; %bb.44:                               ;   in Loop: Header=BB133_7 Depth=1
	ds_load_2addr_stride64_b64 v[18:21], v35 offset1:2
	s_wait_dscnt 0x0
	v_min_i64 v[18:19], v[20:21], v[18:19]
	ds_store_b64 v35, v[18:19]
.LBB133_45:                             ;   in Loop: Header=BB133_7 Depth=1
	s_or_b32 exec_lo, exec_lo, s28
	s_wait_dscnt 0x0
	s_barrier_signal -1
	s_barrier_wait -1
	s_and_saveexec_b32 s28, s1
	s_cbranch_execz .LBB133_47
; %bb.46:                               ;   in Loop: Header=BB133_7 Depth=1
	ds_load_2addr_stride64_b64 v[18:21], v35 offset1:1
	s_wait_dscnt 0x0
	v_min_i64 v[18:19], v[20:21], v[18:19]
	ds_store_b64 v35, v[18:19]
.LBB133_47:                             ;   in Loop: Header=BB133_7 Depth=1
	s_or_b32 exec_lo, exec_lo, s28
	s_wait_dscnt 0x0
	s_barrier_signal -1
	s_barrier_wait -1
	s_and_saveexec_b32 s28, s3
	s_cbranch_execz .LBB133_49
; %bb.48:                               ;   in Loop: Header=BB133_7 Depth=1
	ds_load_2addr_b64 v[18:21], v35 offset1:32
	s_wait_dscnt 0x0
	v_min_i64 v[18:19], v[20:21], v[18:19]
	ds_store_b64 v35, v[18:19]
.LBB133_49:                             ;   in Loop: Header=BB133_7 Depth=1
	s_or_b32 exec_lo, exec_lo, s28
	s_wait_dscnt 0x0
	s_barrier_signal -1
	s_barrier_wait -1
	s_and_saveexec_b32 s28, s4
	s_cbranch_execz .LBB133_51
; %bb.50:                               ;   in Loop: Header=BB133_7 Depth=1
	ds_load_2addr_b64 v[18:21], v35 offset1:16
	s_wait_dscnt 0x0
	v_min_i64 v[18:19], v[20:21], v[18:19]
	ds_store_b64 v35, v[18:19]
.LBB133_51:                             ;   in Loop: Header=BB133_7 Depth=1
	;; [unrolled: 12-line block ×5, first 2 shown]
	s_or_b32 exec_lo, exec_lo, s28
	s_wait_dscnt 0x0
	s_barrier_signal -1
	s_barrier_wait -1
	s_and_saveexec_b32 s28, s8
	s_cbranch_execz .LBB133_6
; %bb.58:                               ;   in Loop: Header=BB133_7 Depth=1
	ds_load_b128 v[18:21], v6
	s_wait_dscnt 0x0
	v_min_i64 v[18:19], v[20:21], v[18:19]
	ds_store_b64 v6, v[18:19]
	s_branch .LBB133_6
.LBB133_59:
	s_endpgm
	.section	.rodata,"a",@progbits
	.p2align	6, 0x0
	.amdhsa_kernel _ZN9rocsparseL38csr2bsr_block_per_row_multipass_kernelILj256ELj64EdilEEv20rocsparse_direction_T3_S2_S2_S2_S2_21rocsparse_index_base_PKT1_PKT2_PKS2_S3_PS4_PS7_PS2_
		.amdhsa_group_segment_fixed_size 32776
		.amdhsa_private_segment_fixed_size 0
		.amdhsa_kernarg_size 112
		.amdhsa_user_sgpr_count 2
		.amdhsa_user_sgpr_dispatch_ptr 0
		.amdhsa_user_sgpr_queue_ptr 0
		.amdhsa_user_sgpr_kernarg_segment_ptr 1
		.amdhsa_user_sgpr_dispatch_id 0
		.amdhsa_user_sgpr_kernarg_preload_length 0
		.amdhsa_user_sgpr_kernarg_preload_offset 0
		.amdhsa_user_sgpr_private_segment_size 0
		.amdhsa_wavefront_size32 1
		.amdhsa_uses_dynamic_stack 0
		.amdhsa_enable_private_segment 0
		.amdhsa_system_sgpr_workgroup_id_x 1
		.amdhsa_system_sgpr_workgroup_id_y 0
		.amdhsa_system_sgpr_workgroup_id_z 0
		.amdhsa_system_sgpr_workgroup_info 0
		.amdhsa_system_vgpr_workitem_id 0
		.amdhsa_next_free_vgpr 52
		.amdhsa_next_free_sgpr 52
		.amdhsa_named_barrier_count 0
		.amdhsa_reserve_vcc 1
		.amdhsa_float_round_mode_32 0
		.amdhsa_float_round_mode_16_64 0
		.amdhsa_float_denorm_mode_32 3
		.amdhsa_float_denorm_mode_16_64 3
		.amdhsa_fp16_overflow 0
		.amdhsa_memory_ordered 1
		.amdhsa_forward_progress 1
		.amdhsa_inst_pref_size 23
		.amdhsa_round_robin_scheduling 0
		.amdhsa_exception_fp_ieee_invalid_op 0
		.amdhsa_exception_fp_denorm_src 0
		.amdhsa_exception_fp_ieee_div_zero 0
		.amdhsa_exception_fp_ieee_overflow 0
		.amdhsa_exception_fp_ieee_underflow 0
		.amdhsa_exception_fp_ieee_inexact 0
		.amdhsa_exception_int_div_zero 0
	.end_amdhsa_kernel
	.section	.text._ZN9rocsparseL38csr2bsr_block_per_row_multipass_kernelILj256ELj64EdilEEv20rocsparse_direction_T3_S2_S2_S2_S2_21rocsparse_index_base_PKT1_PKT2_PKS2_S3_PS4_PS7_PS2_,"axG",@progbits,_ZN9rocsparseL38csr2bsr_block_per_row_multipass_kernelILj256ELj64EdilEEv20rocsparse_direction_T3_S2_S2_S2_S2_21rocsparse_index_base_PKT1_PKT2_PKS2_S3_PS4_PS7_PS2_,comdat
.Lfunc_end133:
	.size	_ZN9rocsparseL38csr2bsr_block_per_row_multipass_kernelILj256ELj64EdilEEv20rocsparse_direction_T3_S2_S2_S2_S2_21rocsparse_index_base_PKT1_PKT2_PKS2_S3_PS4_PS7_PS2_, .Lfunc_end133-_ZN9rocsparseL38csr2bsr_block_per_row_multipass_kernelILj256ELj64EdilEEv20rocsparse_direction_T3_S2_S2_S2_S2_21rocsparse_index_base_PKT1_PKT2_PKS2_S3_PS4_PS7_PS2_
                                        ; -- End function
	.set _ZN9rocsparseL38csr2bsr_block_per_row_multipass_kernelILj256ELj64EdilEEv20rocsparse_direction_T3_S2_S2_S2_S2_21rocsparse_index_base_PKT1_PKT2_PKS2_S3_PS4_PS7_PS2_.num_vgpr, 52
	.set _ZN9rocsparseL38csr2bsr_block_per_row_multipass_kernelILj256ELj64EdilEEv20rocsparse_direction_T3_S2_S2_S2_S2_21rocsparse_index_base_PKT1_PKT2_PKS2_S3_PS4_PS7_PS2_.num_agpr, 0
	.set _ZN9rocsparseL38csr2bsr_block_per_row_multipass_kernelILj256ELj64EdilEEv20rocsparse_direction_T3_S2_S2_S2_S2_21rocsparse_index_base_PKT1_PKT2_PKS2_S3_PS4_PS7_PS2_.numbered_sgpr, 52
	.set _ZN9rocsparseL38csr2bsr_block_per_row_multipass_kernelILj256ELj64EdilEEv20rocsparse_direction_T3_S2_S2_S2_S2_21rocsparse_index_base_PKT1_PKT2_PKS2_S3_PS4_PS7_PS2_.num_named_barrier, 0
	.set _ZN9rocsparseL38csr2bsr_block_per_row_multipass_kernelILj256ELj64EdilEEv20rocsparse_direction_T3_S2_S2_S2_S2_21rocsparse_index_base_PKT1_PKT2_PKS2_S3_PS4_PS7_PS2_.private_seg_size, 0
	.set _ZN9rocsparseL38csr2bsr_block_per_row_multipass_kernelILj256ELj64EdilEEv20rocsparse_direction_T3_S2_S2_S2_S2_21rocsparse_index_base_PKT1_PKT2_PKS2_S3_PS4_PS7_PS2_.uses_vcc, 1
	.set _ZN9rocsparseL38csr2bsr_block_per_row_multipass_kernelILj256ELj64EdilEEv20rocsparse_direction_T3_S2_S2_S2_S2_21rocsparse_index_base_PKT1_PKT2_PKS2_S3_PS4_PS7_PS2_.uses_flat_scratch, 0
	.set _ZN9rocsparseL38csr2bsr_block_per_row_multipass_kernelILj256ELj64EdilEEv20rocsparse_direction_T3_S2_S2_S2_S2_21rocsparse_index_base_PKT1_PKT2_PKS2_S3_PS4_PS7_PS2_.has_dyn_sized_stack, 0
	.set _ZN9rocsparseL38csr2bsr_block_per_row_multipass_kernelILj256ELj64EdilEEv20rocsparse_direction_T3_S2_S2_S2_S2_21rocsparse_index_base_PKT1_PKT2_PKS2_S3_PS4_PS7_PS2_.has_recursion, 0
	.set _ZN9rocsparseL38csr2bsr_block_per_row_multipass_kernelILj256ELj64EdilEEv20rocsparse_direction_T3_S2_S2_S2_S2_21rocsparse_index_base_PKT1_PKT2_PKS2_S3_PS4_PS7_PS2_.has_indirect_call, 0
	.section	.AMDGPU.csdata,"",@progbits
; Kernel info:
; codeLenInByte = 2936
; TotalNumSgprs: 54
; NumVgprs: 52
; ScratchSize: 0
; MemoryBound: 0
; FloatMode: 240
; IeeeMode: 1
; LDSByteSize: 32776 bytes/workgroup (compile time only)
; SGPRBlocks: 0
; VGPRBlocks: 3
; NumSGPRsForWavesPerEU: 54
; NumVGPRsForWavesPerEU: 52
; NamedBarCnt: 0
; Occupancy: 16
; WaveLimiterHint : 1
; COMPUTE_PGM_RSRC2:SCRATCH_EN: 0
; COMPUTE_PGM_RSRC2:USER_SGPR: 2
; COMPUTE_PGM_RSRC2:TRAP_HANDLER: 0
; COMPUTE_PGM_RSRC2:TGID_X_EN: 1
; COMPUTE_PGM_RSRC2:TGID_Y_EN: 0
; COMPUTE_PGM_RSRC2:TGID_Z_EN: 0
; COMPUTE_PGM_RSRC2:TIDIG_COMP_CNT: 0
	.section	.text._ZN9rocsparseL21csr2bsr_65_inf_kernelILj32EdilEEv20rocsparse_direction_T2_S2_S2_S2_S2_S2_21rocsparse_index_base_PKT0_PKT1_PKS2_S3_PS4_PS7_PS2_SD_SE_SC_,"axG",@progbits,_ZN9rocsparseL21csr2bsr_65_inf_kernelILj32EdilEEv20rocsparse_direction_T2_S2_S2_S2_S2_S2_21rocsparse_index_base_PKT0_PKT1_PKS2_S3_PS4_PS7_PS2_SD_SE_SC_,comdat
	.globl	_ZN9rocsparseL21csr2bsr_65_inf_kernelILj32EdilEEv20rocsparse_direction_T2_S2_S2_S2_S2_S2_21rocsparse_index_base_PKT0_PKT1_PKS2_S3_PS4_PS7_PS2_SD_SE_SC_ ; -- Begin function _ZN9rocsparseL21csr2bsr_65_inf_kernelILj32EdilEEv20rocsparse_direction_T2_S2_S2_S2_S2_S2_21rocsparse_index_base_PKT0_PKT1_PKS2_S3_PS4_PS7_PS2_SD_SE_SC_
	.p2align	8
	.type	_ZN9rocsparseL21csr2bsr_65_inf_kernelILj32EdilEEv20rocsparse_direction_T2_S2_S2_S2_S2_S2_21rocsparse_index_base_PKT0_PKT1_PKS2_S3_PS4_PS7_PS2_SD_SE_SC_,@function
_ZN9rocsparseL21csr2bsr_65_inf_kernelILj32EdilEEv20rocsparse_direction_T2_S2_S2_S2_S2_S2_21rocsparse_index_base_PKT0_PKT1_PKS2_S3_PS4_PS7_PS2_SD_SE_SC_: ; @_ZN9rocsparseL21csr2bsr_65_inf_kernelILj32EdilEEv20rocsparse_direction_T2_S2_S2_S2_S2_S2_21rocsparse_index_base_PKT0_PKT1_PKS2_S3_PS4_PS7_PS2_SD_SE_SC_
; %bb.0:
	s_clause 0x1
	s_load_b64 s[8:9], s[0:1], 0x18
	s_load_b128 s[4:7], s[0:1], 0x8
	s_bfe_u32 s10, ttmp6, 0x4000c
	s_clause 0x1
	s_load_b64 s[2:3], s[0:1], 0x78
	s_load_b32 s12, s[0:1], 0x58
	s_add_co_i32 s10, s10, 1
	s_and_b32 s11, ttmp6, 15
	s_mul_i32 s10, ttmp9, s10
	s_getreg_b32 s13, hwreg(HW_REG_IB_STS2, 6, 4)
	s_add_co_i32 s11, s11, s10
	s_cmp_eq_u32 s13, 0
	s_mov_b32 s21, 0
	s_cselect_b32 s20, ttmp9, s11
	s_mov_b64 s[22:23], 0
	s_wait_kmcnt 0x0
	v_cmp_le_i64_e64 s8, s[8:9], s[20:21]
	s_and_b32 vcc_lo, exec_lo, s8
	s_cbranch_vccnz .LBB134_2
; %bb.1:
	s_load_b64 s[8:9], s[0:1], 0x68
	s_lshl_b64 s[10:11], s[20:21], 2
	s_wait_kmcnt 0x0
	s_add_nc_u64 s[8:9], s[8:9], s[10:11]
	s_load_b32 s8, s[8:9], 0x0
	s_wait_kmcnt 0x0
	s_sub_co_i32 s22, s8, s12
	s_delay_alu instid0(SALU_CYCLE_1)
	s_ashr_i32 s23, s22, 31
.LBB134_2:
	s_clause 0x1
	s_load_b128 s[8:11], s[0:1], 0x28
	s_load_b32 s14, s[0:1], 0x38
	v_mov_b32_e32 v1, 0
	s_wait_kmcnt 0x0
	s_delay_alu instid0(VALU_DEP_1)
	v_mul_u64_e32 v[6:7], s[10:11], v[0:1]
	s_mul_u64 s[16:17], s[20:21], s[10:11]
	s_lshl_b64 s[18:19], s[10:11], 7
	s_lshl_b64 s[16:17], s[16:17], 8
	v_cmp_lt_i64_e64 s13, s[10:11], 1
	s_add_nc_u64 s[2:3], s[2:3], s[16:17]
	v_cmp_gt_i64_e64 s33, s[10:11], 0
	s_add_nc_u64 s[16:17], s[2:3], s[18:19]
	s_and_b32 vcc_lo, exec_lo, s13
	v_lshlrev_b64_e32 v[4:5], 2, v[6:7]
	s_delay_alu instid0(VALU_DEP_1)
	v_add_nc_u64_e32 v[2:3], s[2:3], v[4:5]
	v_add_nc_u64_e32 v[4:5], s[16:17], v[4:5]
	s_cbranch_vccnz .LBB134_7
; %bb.3:
	s_load_b64 s[2:3], s[0:1], 0x48
	s_mul_u64 s[16:17], s[8:9], s[20:21]
	s_delay_alu instid0(VALU_DEP_1)
	v_mov_b64_e32 v[10:11], v[4:5]
	v_add_nc_u64_e32 v[8:9], s[16:17], v[0:1]
	v_mov_b64_e32 v[12:13], v[0:1]
	v_mov_b64_e32 v[14:15], v[2:3]
	s_mov_b64 s[18:19], s[10:11]
	s_wait_kmcnt 0x0
	s_delay_alu instid0(VALU_DEP_3) | instskip(NEXT) | instid1(VALU_DEP_1)
	v_lshl_add_u64 v[8:9], v[8:9], 2, s[2:3]
	v_add_nc_u64_e32 v[8:9], 4, v[8:9]
	s_branch .LBB134_5
.LBB134_4:                              ;   in Loop: Header=BB134_5 Depth=1
	s_wait_xcnt 0x0
	s_or_b32 exec_lo, exec_lo, s2
	v_add_nc_u64_e32 v[14:15], 4, v[14:15]
	v_add_nc_u64_e32 v[8:9], 0x80, v[8:9]
	;; [unrolled: 1-line block ×4, first 2 shown]
	s_add_nc_u64 s[18:19], s[18:19], -1
	s_delay_alu instid0(SALU_CYCLE_1)
	s_cmp_eq_u64 s[18:19], 0
	s_cbranch_scc1 .LBB134_7
.LBB134_5:                              ; =>This Inner Loop Header: Depth=1
	s_delay_alu instid0(VALU_DEP_2)
	v_add_nc_u64_e32 v[16:17], s[16:17], v[12:13]
	v_cmp_gt_i64_e64 s2, s[8:9], v[12:13]
	global_store_b32 v[14:15], v1, off
	global_store_b32 v[10:11], v1, off
	v_cmp_gt_i64_e32 vcc_lo, s[4:5], v[16:17]
	s_and_b32 s3, vcc_lo, s2
	s_wait_xcnt 0x0
	s_and_saveexec_b32 s2, s3
	s_cbranch_execz .LBB134_4
; %bb.6:                                ;   in Loop: Header=BB134_5 Depth=1
	global_load_b64 v[16:17], v[8:9], off offset:-4
	s_wait_loadcnt 0x0
	v_subrev_nc_u32_e32 v16, s14, v16
	v_subrev_nc_u32_e32 v17, s14, v17
	global_store_b32 v[14:15], v16, off
	global_store_b32 v[10:11], v17, off
	s_branch .LBB134_4
.LBB134_7:
	v_cmp_lt_i64_e64 s2, s[6:7], 1
	s_and_b32 vcc_lo, exec_lo, s2
	s_cbranch_vccnz .LBB134_52
; %bb.8:
	v_mbcnt_lo_u32_b32 v10, -1, 0
	v_lshlrev_b64_e32 v[8:9], 3, v[6:7]
	s_clause 0x5
	s_load_b128 s[24:27], s[0:1], 0x80
	s_load_b64 s[28:29], s[0:1], 0x70
	s_load_b64 s[2:3], s[0:1], 0x60
	;; [unrolled: 1-line block ×4, first 2 shown]
	s_load_b32 s18, s[0:1], 0x0
	s_lshl_b64 s[30:31], s[10:11], 5
	v_xor_b32_e32 v15, 1, v10
	v_xor_b32_e32 v13, 2, v10
	;; [unrolled: 1-line block ×5, first 2 shown]
	s_wait_xcnt 0x0
	s_mul_u64 s[0:1], s[30:31], s[20:21]
	v_mov_b64_e32 v[20:21], 0
	s_lshl_b64 s[0:1], s[0:1], 3
	v_mov_b64_e32 v[18:19], 0
	v_cmp_gt_i32_e32 vcc_lo, 32, v6
	v_mov_b64_e32 v[16:17], 0
	v_mov_b32_e32 v43, 0x7c
	s_mov_b32 s19, 0
	s_mov_b32 s40, 0
	v_cndmask_b32_e32 v14, v10, v6, vcc_lo
	v_cmp_gt_i32_e32 vcc_lo, 32, v11
	s_wait_kmcnt 0x0
	s_add_nc_u64 s[20:21], s[24:25], s[0:1]
	s_add_nc_u64 s[0:1], s[26:27], s[0:1]
	v_add_nc_u64_e32 v[6:7], s[20:21], v[8:9]
	v_add_nc_u64_e32 v[8:9], s[0:1], v[8:9]
	v_cndmask_b32_e32 v11, v10, v11, vcc_lo
	v_cmp_gt_i32_e32 vcc_lo, 32, v12
	v_cmp_eq_u32_e64 s0, 31, v0
	s_lshl_b64 s[20:21], s[22:23], 3
	s_cmp_lg_u32 s18, 0
	v_dual_cndmask_b32 v12, v10, v12 :: v_dual_lshlrev_b32 v39, 2, v11
	v_cmp_gt_i32_e32 vcc_lo, 32, v13
	s_mov_b32 s15, s19
	s_mov_b32 s13, s19
	s_add_nc_u64 s[20:21], s[28:29], s[20:21]
	v_dual_cndmask_b32 v13, v10, v13 :: v_dual_lshlrev_b32 v40, 2, v12
	v_cmp_gt_i32_e32 vcc_lo, 32, v15
	v_lshlrev_b32_e32 v38, 2, v14
	s_cselect_b32 s38, -1, 0
	s_add_nc_u64 s[22:23], s[22:23], -1
	v_dual_cndmask_b32 v10, v10, v15 :: v_dual_lshlrev_b32 v41, 2, v13
	v_mov_b64_e32 v[14:15], 0
	s_lshl_b64 s[24:25], s[8:9], 3
	s_mov_b64 s[26:27], 0xffffffff
	s_lshl_b64 s[28:29], s[8:9], 8
	v_dual_lshlrev_b32 v42, 2, v10 :: v_dual_mov_b32 v10, 0
	v_lshlrev_b32_e32 v12, 3, v0
	s_ashr_i32 s30, s9, 31
	s_sub_co_i32 s39, 0, s8
	s_delay_alu instid0(VALU_DEP_2) | instskip(NEXT) | instid1(VALU_DEP_1)
	v_mov_b32_e32 v13, v10
	v_add_nc_u64_e32 v[12:13], s[2:3], v[12:13]
	s_branch .LBB134_10
.LBB134_9:                              ;   in Loop: Header=BB134_10 Depth=1
	s_wait_dscnt 0x2
	v_add_nc_u64_e32 v[20:21], 1, v[20:21]
	s_delay_alu instid0(VALU_DEP_1) | instskip(SKIP_1) | instid1(SALU_CYCLE_1)
	v_cmp_le_i64_e32 vcc_lo, s[6:7], v[20:21]
	s_or_b32 s40, vcc_lo, s40
	s_and_not1_b32 exec_lo, exec_lo, s40
	s_cbranch_execz .LBB134_52
.LBB134_10:                             ; =>This Loop Header: Depth=1
                                        ;     Child Loop BB134_14 Depth 2
                                        ;       Child Loop BB134_17 Depth 3
                                        ;     Child Loop BB134_33 Depth 2
	v_mov_b64_e32 v[22:23], s[6:7]
	s_and_not1_b32 vcc_lo, exec_lo, s33
	s_cbranch_vccnz .LBB134_23
; %bb.11:                               ;   in Loop: Header=BB134_10 Depth=1
	v_mov_b64_e32 v[22:23], s[6:7]
	s_mov_b64 s[34:35], 0
	s_branch .LBB134_14
.LBB134_12:                             ;   in Loop: Header=BB134_14 Depth=2
	s_wait_xcnt 0x0
	s_or_b32 exec_lo, exec_lo, s18
.LBB134_13:                             ;   in Loop: Header=BB134_14 Depth=2
	s_delay_alu instid0(SALU_CYCLE_1) | instskip(SKIP_1) | instid1(SALU_CYCLE_1)
	s_or_b32 exec_lo, exec_lo, s1
	s_add_nc_u64 s[34:35], s[34:35], 1
	s_cmp_eq_u64 s[34:35], s[10:11]
	s_cbranch_scc1 .LBB134_23
.LBB134_14:                             ;   Parent Loop BB134_10 Depth=1
                                        ; =>  This Loop Header: Depth=2
                                        ;       Child Loop BB134_17 Depth 3
	s_lshl_b64 s[36:37], s[34:35], 2
	v_mov_b64_e32 v[30:31], s[6:7]
	v_add_nc_u64_e32 v[24:25], s[36:37], v[2:3]
	v_add_nc_u64_e32 v[26:27], s[36:37], v[4:5]
	s_lshl_b64 s[36:37], s[34:35], 3
	s_mov_b32 s1, exec_lo
	v_add_nc_u64_e32 v[28:29], s[36:37], v[6:7]
	s_clause 0x1
	global_load_b32 v34, v[24:25], off
	global_load_b32 v11, v[26:27], off
	s_wait_xcnt 0x0
	v_add_nc_u64_e32 v[26:27], s[36:37], v[8:9]
	global_store_b64 v[26:27], v[14:15], off
	global_store_b64 v[28:29], v[30:31], off
	s_wait_loadcnt 0x0
	s_wait_xcnt 0x0
	v_cmpx_lt_i32_e64 v34, v11
	s_cbranch_execz .LBB134_13
; %bb.15:                               ;   in Loop: Header=BB134_14 Depth=2
	v_ashrrev_i32_e32 v35, 31, v34
	s_mov_b32 s18, 0
                                        ; implicit-def: $sgpr31
                                        ; implicit-def: $sgpr37
                                        ; implicit-def: $sgpr36
	s_delay_alu instid0(VALU_DEP_1)
	v_lshl_add_u64 v[36:37], v[34:35], 3, s[4:5]
	s_branch .LBB134_17
.LBB134_16:                             ;   in Loop: Header=BB134_17 Depth=3
	s_or_b32 exec_lo, exec_lo, s41
	s_delay_alu instid0(SALU_CYCLE_1) | instskip(NEXT) | instid1(SALU_CYCLE_1)
	s_and_b32 s41, exec_lo, s37
	s_or_b32 s18, s41, s18
	s_and_not1_b32 s31, s31, exec_lo
	s_and_b32 s41, s36, exec_lo
	s_delay_alu instid0(SALU_CYCLE_1)
	s_or_b32 s31, s31, s41
	s_and_not1_b32 exec_lo, exec_lo, s18
	s_cbranch_execz .LBB134_19
.LBB134_17:                             ;   Parent Loop BB134_10 Depth=1
                                        ;     Parent Loop BB134_14 Depth=2
                                        ; =>    This Inner Loop Header: Depth=3
	global_load_b64 v[30:31], v[36:37], off
	s_or_b32 s36, s36, exec_lo
	s_or_b32 s37, s37, exec_lo
	s_mov_b32 s41, exec_lo
	s_wait_loadcnt 0x0
	v_sub_nc_u64_e64 v[32:33], v[30:31], s[14:15]
	v_mov_b64_e32 v[30:31], v[34:35]
                                        ; implicit-def: $vgpr34_vgpr35
	s_wait_xcnt 0x0
	s_delay_alu instid0(VALU_DEP_2)
	v_cmpx_lt_i64_e64 v[32:33], v[20:21]
	s_cbranch_execz .LBB134_16
; %bb.18:                               ;   in Loop: Header=BB134_17 Depth=3
	s_delay_alu instid0(VALU_DEP_2) | instskip(SKIP_3) | instid1(VALU_DEP_2)
	v_add_nc_u64_e32 v[34:35], 1, v[30:31]
	v_add_nc_u64_e32 v[36:37], 8, v[36:37]
	s_and_not1_b32 s37, s37, exec_lo
	s_and_not1_b32 s36, s36, exec_lo
	v_cmp_ge_i32_e32 vcc_lo, v34, v11
	s_and_b32 s42, vcc_lo, exec_lo
	s_delay_alu instid0(SALU_CYCLE_1)
	s_or_b32 s37, s37, s42
	s_branch .LBB134_16
.LBB134_19:                             ;   in Loop: Header=BB134_14 Depth=2
	s_or_b32 exec_lo, exec_lo, s18
	v_lshl_add_u64 v[34:35], v[30:31], 3, s[16:17]
	s_xor_b32 s18, s31, -1
	s_delay_alu instid0(SALU_CYCLE_1) | instskip(NEXT) | instid1(SALU_CYCLE_1)
	s_and_saveexec_b32 s31, s18
	s_xor_b32 s18, exec_lo, s31
	s_cbranch_execz .LBB134_21
; %bb.20:                               ;   in Loop: Header=BB134_14 Depth=2
	global_load_b64 v[24:25], v[34:35], off
                                        ; implicit-def: $vgpr34_vgpr35
	s_wait_loadcnt 0x0
	global_store_b64 v[26:27], v[24:25], off
	global_store_b64 v[28:29], v[32:33], off
                                        ; implicit-def: $vgpr26_vgpr27
                                        ; implicit-def: $vgpr28_vgpr29
                                        ; implicit-def: $vgpr24_vgpr25
.LBB134_21:                             ;   in Loop: Header=BB134_14 Depth=2
	s_wait_xcnt 0x0
	s_and_not1_saveexec_b32 s18, s18
	s_cbranch_execz .LBB134_12
; %bb.22:                               ;   in Loop: Header=BB134_14 Depth=2
	global_load_b64 v[34:35], v[34:35], off
	v_min_i64 v[22:23], v[32:33], v[22:23]
	global_store_b64 v[28:29], v[32:33], off
	s_wait_loadcnt 0x0
	global_store_b64 v[26:27], v[34:35], off
	global_store_b32 v[24:25], v30, off
	s_branch .LBB134_12
.LBB134_23:                             ;   in Loop: Header=BB134_10 Depth=1
	ds_bpermute_b32 v20, v38, v22
	ds_bpermute_b32 v21, v38, v23
	s_wait_dscnt 0x0
	v_min_i64 v[20:21], v[20:21], v[22:23]
	ds_bpermute_b32 v22, v39, v20
	ds_bpermute_b32 v23, v39, v21
	s_wait_dscnt 0x0
	v_min_i64 v[20:21], v[22:23], v[20:21]
	ds_bpermute_b32 v22, v40, v20
	ds_bpermute_b32 v23, v40, v21
	s_wait_dscnt 0x0
	v_min_i64 v[20:21], v[22:23], v[20:21]
	ds_bpermute_b32 v22, v41, v20
	ds_bpermute_b32 v23, v41, v21
	s_wait_dscnt 0x0
	v_min_i64 v[20:21], v[22:23], v[20:21]
	ds_bpermute_b32 v22, v42, v20
	ds_bpermute_b32 v23, v42, v21
	s_wait_dscnt 0x0
	v_min_i64 v[20:21], v[22:23], v[20:21]
	s_delay_alu instid0(VALU_DEP_1) | instskip(SKIP_1) | instid1(SALU_CYCLE_1)
	v_cmp_gt_i64_e32 vcc_lo, s[6:7], v[20:21]
	s_and_b32 s1, s0, vcc_lo
	s_and_saveexec_b32 s36, s1
	s_cbranch_execz .LBB134_29
; %bb.24:                               ;   in Loop: Header=BB134_10 Depth=1
	v_or_b32_e32 v11, s9, v21
                                        ; implicit-def: $vgpr22_vgpr23
	s_mov_b32 s1, exec_lo
	s_delay_alu instid0(VALU_DEP_1)
	v_cmpx_ne_u64_e32 0, v[10:11]
	s_xor_b32 s37, exec_lo, s1
	s_cbranch_execnz .LBB134_50
; %bb.25:                               ;   in Loop: Header=BB134_10 Depth=1
	s_and_not1_saveexec_b32 s1, s37
	s_cbranch_execnz .LBB134_51
.LBB134_26:                             ;   in Loop: Header=BB134_10 Depth=1
	s_or_b32 exec_lo, exec_lo, s1
	s_delay_alu instid0(SALU_CYCLE_1) | instskip(NEXT) | instid1(VALU_DEP_1)
	s_mov_b32 s1, exec_lo
	v_cmpx_ge_i64_e64 v[22:23], v[18:19]
	s_cbranch_execz .LBB134_28
.LBB134_27:                             ;   in Loop: Header=BB134_10 Depth=1
	v_add_nc_u64_e32 v[24:25], s[12:13], v[22:23]
	v_lshl_add_u64 v[26:27], v[16:17], 3, s[20:21]
	v_add_nc_u64_e32 v[16:17], 1, v[16:17]
	v_add_nc_u64_e32 v[18:19], 1, v[22:23]
	global_store_b64 v[26:27], v[24:25], off
.LBB134_28:                             ;   in Loop: Header=BB134_10 Depth=1
	s_wait_xcnt 0x0
	s_or_b32 exec_lo, exec_lo, s1
.LBB134_29:                             ;   in Loop: Header=BB134_10 Depth=1
	s_delay_alu instid0(SALU_CYCLE_1)
	s_or_b32 exec_lo, exec_lo, s36
	ds_bpermute_b32 v20, v43, v20
	ds_bpermute_b32 v21, v43, v21
	;; [unrolled: 1-line block ×4, first 2 shown]
	s_and_not1_b32 vcc_lo, exec_lo, s33
	s_cbranch_vccnz .LBB134_9
; %bb.30:                               ;   in Loop: Header=BB134_10 Depth=1
	s_wait_dscnt 0x0
	v_dual_mov_b32 v11, v17 :: v_dual_mov_b32 v24, v16
	v_mov_b32_e32 v25, v10
	v_mov_b64_e32 v[30:31], v[12:13]
	s_mov_b64 s[34:35], s[10:11]
	s_delay_alu instid0(VALU_DEP_3) | instskip(NEXT) | instid1(VALU_DEP_1)
	v_add_nc_u64_e32 v[22:23], s[22:23], v[10:11]
	v_add_nc_u64_e32 v[26:27], v[22:23], v[24:25]
	;; [unrolled: 1-line block ×3, first 2 shown]
	s_delay_alu instid0(VALU_DEP_2) | instskip(NEXT) | instid1(VALU_DEP_2)
	v_mad_nc_u64_u32 v[28:29], s8, v26, v[0:1]
	v_mul_u64_e32 v[24:25], s[8:9], v[24:25]
	s_delay_alu instid0(VALU_DEP_2) | instskip(NEXT) | instid1(VALU_DEP_3)
	v_mad_u32 v11, s9, v26, v29
	v_mad_nc_u64_u32 v[22:23], s24, v28, s[2:3]
	s_delay_alu instid0(VALU_DEP_2) | instskip(NEXT) | instid1(VALU_DEP_2)
	v_mad_u32 v11, s8, v27, v11
	v_mad_u32 v23, s25, v28, v23
	v_mov_b64_e32 v[26:27], v[6:7]
	v_mov_b64_e32 v[28:29], v[8:9]
	s_delay_alu instid0(VALU_DEP_3)
	v_mad_u32 v23, s24, v11, v23
	s_branch .LBB134_33
.LBB134_31:                             ;   in Loop: Header=BB134_33 Depth=2
	s_or_b32 exec_lo, exec_lo, s1
	global_load_b64 v[32:33], v[28:29], off
	v_lshl_add_u64 v[34:35], v[34:35], 3, v[22:23]
	s_wait_loadcnt 0x0
	global_store_b64 v[34:35], v[32:33], off
.LBB134_32:                             ;   in Loop: Header=BB134_33 Depth=2
	s_wait_xcnt 0x0
	s_or_b32 exec_lo, exec_lo, s41
	v_add_nc_u64_e32 v[22:23], s[28:29], v[22:23]
	v_add_nc_u64_e32 v[30:31], 0x100, v[30:31]
	;; [unrolled: 1-line block ×4, first 2 shown]
	s_add_nc_u64 s[34:35], s[34:35], -1
	s_delay_alu instid0(SALU_CYCLE_1)
	s_cmp_eq_u64 s[34:35], 0
	s_cbranch_scc1 .LBB134_9
.LBB134_33:                             ;   Parent Loop BB134_10 Depth=1
                                        ; =>  This Inner Loop Header: Depth=2
	global_load_b64 v[32:33], v[26:27], off
	s_mov_b32 s41, exec_lo
	s_wait_loadcnt 0x0
	v_cmpx_gt_i64_e64 s[6:7], v[32:33]
	s_cbranch_execz .LBB134_32
; %bb.34:                               ;   in Loop: Header=BB134_33 Depth=2
	v_or_b32_e32 v44, s9, v33
                                        ; implicit-def: $vgpr34_vgpr35
	s_mov_b32 s1, exec_lo
	s_delay_alu instid0(VALU_DEP_1) | instskip(NEXT) | instid1(VALU_DEP_1)
	v_mov_b32_e32 v11, v44
	v_cmpx_ne_u64_e32 0, v[10:11]
	s_xor_b32 s42, exec_lo, s1
	s_cbranch_execz .LBB134_36
; %bb.35:                               ;   in Loop: Header=BB134_33 Depth=2
	s_mov_b32 s31, s30
	v_dual_mov_b32 v47, v10 :: v_dual_ashrrev_i32 v34, 31, v33
	s_add_nc_u64 s[36:37], s[8:9], s[30:31]
	v_mov_b32_e32 v55, v10
	s_xor_b64 s[36:37], s[36:37], s[30:31]
	s_delay_alu instid0(VALU_DEP_2) | instskip(SKIP_3) | instid1(VALU_DEP_1)
	v_mov_b32_e32 v35, v34
	s_cvt_f32_u32 s1, s36
	s_cvt_f32_u32 s18, s37
	s_sub_nc_u64 s[46:47], 0, s[36:37]
	v_add_nc_u64_e32 v[36:37], v[32:33], v[34:35]
	s_delay_alu instid0(SALU_CYCLE_1) | instskip(SKIP_1) | instid1(SALU_CYCLE_2)
	s_fmamk_f32 s1, s18, 0x4f800000, s1
	v_mov_b32_e32 v51, v10
	v_s_rcp_f32 s1, s1
	s_delay_alu instid0(VALU_DEP_2) | instskip(NEXT) | instid1(VALU_DEP_3)
	v_xor_b32_e32 v46, v36, v34
	v_xor_b32_e32 v50, v37, v34
	;; [unrolled: 1-line block ×3, first 2 shown]
	s_delay_alu instid0(TRANS32_DEP_1) | instskip(NEXT) | instid1(SALU_CYCLE_3)
	s_mul_f32 s1, s1, 0x5f7ffffc
	s_mul_f32 s18, s1, 0x2f800000
	s_delay_alu instid0(SALU_CYCLE_3) | instskip(NEXT) | instid1(SALU_CYCLE_3)
	s_trunc_f32 s18, s18
	s_fmamk_f32 s1, s18, 0xcf800000, s1
	s_cvt_u32_f32 s45, s18
	s_delay_alu instid0(SALU_CYCLE_2) | instskip(NEXT) | instid1(SALU_CYCLE_3)
	s_cvt_u32_f32 s44, s1
	s_mul_u64 s[48:49], s[46:47], s[44:45]
	s_delay_alu instid0(SALU_CYCLE_1)
	s_mul_hi_u32 s51, s44, s49
	s_mul_i32 s50, s44, s49
	s_mul_hi_u32 s18, s44, s48
	s_mul_i32 s31, s45, s48
	s_add_nc_u64 s[50:51], s[18:19], s[50:51]
	s_mul_hi_u32 s1, s45, s48
	s_mul_hi_u32 s43, s45, s49
	s_add_co_u32 s18, s50, s31
	s_add_co_ci_u32 s18, s51, s1
	s_mul_i32 s48, s45, s49
	s_add_co_ci_u32 s49, s43, 0
	s_delay_alu instid0(SALU_CYCLE_1) | instskip(NEXT) | instid1(SALU_CYCLE_1)
	s_add_nc_u64 s[48:49], s[18:19], s[48:49]
	s_add_co_u32 s44, s44, s48
	s_cselect_b32 s1, -1, 0
	s_delay_alu instid0(SALU_CYCLE_1) | instskip(SKIP_1) | instid1(SALU_CYCLE_1)
	s_cmp_lg_u32 s1, 0
	s_add_co_ci_u32 s45, s45, s49
	s_mul_u64 s[46:47], s[46:47], s[44:45]
	s_delay_alu instid0(SALU_CYCLE_1)
	s_mul_hi_u32 s49, s44, s47
	s_mul_i32 s48, s44, s47
	s_mul_hi_u32 s18, s44, s46
	s_mul_i32 s31, s45, s46
	s_add_nc_u64 s[48:49], s[18:19], s[48:49]
	s_mul_hi_u32 s1, s45, s46
	s_mul_hi_u32 s43, s45, s47
	s_add_co_u32 s18, s48, s31
	s_add_co_ci_u32 s18, s49, s1
	s_mul_i32 s46, s45, s47
	s_add_co_ci_u32 s47, s43, 0
	s_delay_alu instid0(SALU_CYCLE_1) | instskip(NEXT) | instid1(SALU_CYCLE_1)
	s_add_nc_u64 s[46:47], s[18:19], s[46:47]
	s_add_co_u32 s44, s44, s46
	s_cselect_b32 s1, -1, 0
	v_mul_hi_u32 v54, v46, s44
	s_cmp_lg_u32 s1, 0
	s_add_co_ci_u32 s18, s45, s47
	s_and_b64 s[46:47], s[44:45], s[26:27]
	v_mul_u64_e32 v[48:49], s[18:19], v[46:47]
	v_mul_u64_e32 v[36:37], s[46:47], v[50:51]
	;; [unrolled: 1-line block ×3, first 2 shown]
	s_delay_alu instid0(VALU_DEP_3) | instskip(NEXT) | instid1(VALU_DEP_1)
	v_add_nc_u64_e32 v[48:49], v[54:55], v[48:49]
	v_add_co_u32 v11, vcc_lo, v48, v36
	s_delay_alu instid0(VALU_DEP_2) | instskip(NEXT) | instid1(VALU_DEP_4)
	v_add_co_ci_u32_e32 v54, vcc_lo, v49, v37, vcc_lo
	v_add_co_ci_u32_e32 v53, vcc_lo, 0, v53, vcc_lo
	s_delay_alu instid0(VALU_DEP_1) | instskip(NEXT) | instid1(VALU_DEP_1)
	v_add_nc_u64_e32 v[36:37], v[54:55], v[52:53]
	v_mul_u64_e32 v[48:49], s[36:37], v[36:37]
	s_delay_alu instid0(VALU_DEP_1) | instskip(NEXT) | instid1(VALU_DEP_2)
	v_sub_nc_u32_e32 v11, v50, v49
	v_sub_co_u32 v35, vcc_lo, v46, v48
	s_delay_alu instid0(VALU_DEP_1) | instskip(NEXT) | instid1(VALU_DEP_3)
	v_sub_co_ci_u32_e64 v50, null, v50, v49, vcc_lo
	v_subrev_co_ci_u32_e64 v11, null, s37, v11, vcc_lo
	s_delay_alu instid0(VALU_DEP_3) | instskip(SKIP_1) | instid1(VALU_DEP_3)
	v_sub_co_u32 v45, s1, v35, s36
	v_add_nc_u64_e32 v[48:49], 1, v[36:37]
	v_subrev_co_ci_u32_e64 v11, null, 0, v11, s1
	s_delay_alu instid0(VALU_DEP_3) | instskip(SKIP_1) | instid1(VALU_DEP_3)
	v_cmp_le_u32_e32 vcc_lo, s36, v45
	v_cndmask_b32_e64 v45, 0, -1, vcc_lo
	v_cmp_le_u32_e32 vcc_lo, s37, v11
	v_cndmask_b32_e64 v46, 0, -1, vcc_lo
	;; [unrolled: 2-line block ×4, first 2 shown]
	v_cmp_eq_u32_e32 vcc_lo, s37, v11
	v_cndmask_b32_e32 v11, v46, v45, vcc_lo
	v_cmp_eq_u32_e32 vcc_lo, s37, v50
	v_add_nc_u64_e32 v[46:47], 2, v[36:37]
	v_cndmask_b32_e32 v35, v51, v35, vcc_lo
	s_delay_alu instid0(VALU_DEP_4) | instskip(NEXT) | instid1(VALU_DEP_2)
	v_cmp_ne_u32_e32 vcc_lo, 0, v11
	v_cmp_ne_u32_e64 s1, 0, v35
	s_delay_alu instid0(VALU_DEP_4) | instskip(NEXT) | instid1(VALU_DEP_1)
	v_dual_cndmask_b32 v11, v49, v47, vcc_lo :: v_dual_cndmask_b32 v35, v48, v46, vcc_lo
	v_dual_cndmask_b32 v36, v36, v35, s1 :: v_dual_mov_b32 v35, v34
	s_delay_alu instid0(VALU_DEP_1) | instskip(NEXT) | instid1(VALU_DEP_1)
	v_dual_cndmask_b32 v11, v37, v11, s1 :: v_dual_bitop2_b32 v36, v36, v34 bitop3:0x14
	v_xor_b32_e32 v37, v11, v34
	s_delay_alu instid0(VALU_DEP_1)
	v_sub_nc_u64_e32 v[34:35], v[36:37], v[34:35]
.LBB134_36:                             ;   in Loop: Header=BB134_33 Depth=2
	s_and_not1_saveexec_b32 s1, s42
	s_cbranch_execz .LBB134_38
; %bb.37:                               ;   in Loop: Header=BB134_33 Depth=2
	v_cvt_f32_u32_e32 v11, s8
	s_delay_alu instid0(VALU_DEP_1) | instskip(SKIP_1) | instid1(TRANS32_DEP_1)
	v_rcp_iflag_f32_e32 v11, v11
	v_nop
	v_mul_f32_e32 v11, 0x4f7ffffe, v11
	s_delay_alu instid0(VALU_DEP_1) | instskip(NEXT) | instid1(VALU_DEP_1)
	v_cvt_u32_f32_e32 v11, v11
	v_mul_lo_u32 v34, s39, v11
	s_delay_alu instid0(VALU_DEP_1) | instskip(NEXT) | instid1(VALU_DEP_1)
	v_mul_hi_u32 v34, v11, v34
	v_add_nc_u32_e32 v11, v11, v34
	s_delay_alu instid0(VALU_DEP_1) | instskip(NEXT) | instid1(VALU_DEP_1)
	v_mul_hi_u32 v11, v32, v11
	v_mul_lo_u32 v34, v11, s8
	s_delay_alu instid0(VALU_DEP_1) | instskip(NEXT) | instid1(VALU_DEP_1)
	v_dual_add_nc_u32 v35, 1, v11 :: v_dual_sub_nc_u32 v34, v32, v34
	v_subrev_nc_u32_e32 v36, s8, v34
	v_cmp_le_u32_e32 vcc_lo, s8, v34
	s_delay_alu instid0(VALU_DEP_2) | instskip(NEXT) | instid1(VALU_DEP_1)
	v_dual_cndmask_b32 v34, v34, v36 :: v_dual_cndmask_b32 v11, v11, v35
	v_cmp_le_u32_e32 vcc_lo, s8, v34
	s_delay_alu instid0(VALU_DEP_2) | instskip(NEXT) | instid1(VALU_DEP_1)
	v_add_nc_u32_e32 v35, 1, v11
	v_dual_cndmask_b32 v34, v11, v35 :: v_dual_mov_b32 v35, v10
.LBB134_38:                             ;   in Loop: Header=BB134_33 Depth=2
	s_or_b32 exec_lo, exec_lo, s1
	v_or_b32_e32 v11, s9, v21
                                        ; implicit-def: $vgpr36_vgpr37
	s_mov_b32 s1, exec_lo
	s_delay_alu instid0(VALU_DEP_1)
	v_cmpx_ne_u64_e32 0, v[10:11]
	s_xor_b32 s42, exec_lo, s1
	s_cbranch_execnz .LBB134_41
; %bb.39:                               ;   in Loop: Header=BB134_33 Depth=2
	s_and_not1_saveexec_b32 s1, s42
	s_cbranch_execnz .LBB134_42
.LBB134_40:                             ;   in Loop: Header=BB134_33 Depth=2
	s_or_b32 exec_lo, exec_lo, s1
	s_delay_alu instid0(VALU_DEP_1)
	v_cmp_eq_u64_e32 vcc_lo, v[34:35], v[36:37]
	s_and_b32 exec_lo, exec_lo, vcc_lo
	s_cbranch_execz .LBB134_32
	s_branch .LBB134_43
.LBB134_41:                             ;   in Loop: Header=BB134_33 Depth=2
	s_mov_b32 s31, s30
	v_dual_mov_b32 v49, v10 :: v_dual_ashrrev_i32 v36, 31, v21
	s_add_nc_u64 s[36:37], s[8:9], s[30:31]
	s_delay_alu instid0(SALU_CYCLE_1) | instskip(NEXT) | instid1(VALU_DEP_1)
	s_xor_b64 s[36:37], s[36:37], s[30:31]
	v_mov_b32_e32 v37, v36
	s_cvt_f32_u32 s1, s36
	s_cvt_f32_u32 s18, s37
	s_sub_nc_u64 s[46:47], 0, s[36:37]
	s_delay_alu instid0(VALU_DEP_1) | instskip(NEXT) | instid1(SALU_CYCLE_1)
	v_add_nc_u64_e32 v[46:47], v[20:21], v[36:37]
	s_fmamk_f32 s1, s18, 0x4f800000, s1
	v_mov_b32_e32 v53, v10
	s_delay_alu instid0(SALU_CYCLE_2) | instskip(NEXT) | instid1(VALU_DEP_2)
	v_s_rcp_f32 s1, s1
	v_xor_b32_e32 v48, v46, v36
	s_delay_alu instid0(VALU_DEP_3) | instskip(SKIP_1) | instid1(TRANS32_DEP_1)
	v_dual_mov_b32 v57, v10 :: v_dual_bitop2_b32 v52, v47, v36 bitop3:0x14
	v_xor_b32_e32 v36, s30, v36
	s_mul_f32 s1, s1, 0x5f7ffffc
	s_delay_alu instid0(SALU_CYCLE_3) | instskip(NEXT) | instid1(SALU_CYCLE_3)
	s_mul_f32 s18, s1, 0x2f800000
	s_trunc_f32 s18, s18
	s_delay_alu instid0(SALU_CYCLE_3) | instskip(SKIP_1) | instid1(SALU_CYCLE_2)
	s_fmamk_f32 s1, s18, 0xcf800000, s1
	s_cvt_u32_f32 s45, s18
	s_cvt_u32_f32 s44, s1
	s_delay_alu instid0(SALU_CYCLE_3) | instskip(NEXT) | instid1(SALU_CYCLE_1)
	s_mul_u64 s[48:49], s[46:47], s[44:45]
	s_mul_hi_u32 s51, s44, s49
	s_mul_i32 s50, s44, s49
	s_mul_hi_u32 s18, s44, s48
	s_mul_i32 s31, s45, s48
	s_add_nc_u64 s[50:51], s[18:19], s[50:51]
	s_mul_hi_u32 s1, s45, s48
	s_mul_hi_u32 s43, s45, s49
	s_add_co_u32 s18, s50, s31
	s_add_co_ci_u32 s18, s51, s1
	s_mul_i32 s48, s45, s49
	s_add_co_ci_u32 s49, s43, 0
	s_delay_alu instid0(SALU_CYCLE_1) | instskip(NEXT) | instid1(SALU_CYCLE_1)
	s_add_nc_u64 s[48:49], s[18:19], s[48:49]
	s_add_co_u32 s44, s44, s48
	s_cselect_b32 s1, -1, 0
	s_delay_alu instid0(SALU_CYCLE_1) | instskip(SKIP_1) | instid1(SALU_CYCLE_1)
	s_cmp_lg_u32 s1, 0
	s_add_co_ci_u32 s45, s45, s49
	s_mul_u64 s[46:47], s[46:47], s[44:45]
	s_delay_alu instid0(SALU_CYCLE_1)
	s_mul_hi_u32 s49, s44, s47
	s_mul_i32 s48, s44, s47
	s_mul_hi_u32 s18, s44, s46
	s_mul_i32 s31, s45, s46
	s_add_nc_u64 s[48:49], s[18:19], s[48:49]
	s_mul_hi_u32 s1, s45, s46
	s_mul_hi_u32 s43, s45, s47
	s_add_co_u32 s18, s48, s31
	s_add_co_ci_u32 s18, s49, s1
	s_mul_i32 s46, s45, s47
	s_add_co_ci_u32 s47, s43, 0
	s_delay_alu instid0(SALU_CYCLE_1) | instskip(NEXT) | instid1(SALU_CYCLE_1)
	s_add_nc_u64 s[46:47], s[18:19], s[46:47]
	s_add_co_u32 s44, s44, s46
	s_cselect_b32 s1, -1, 0
	v_mul_hi_u32 v56, v48, s44
	s_cmp_lg_u32 s1, 0
	s_add_co_ci_u32 s18, s45, s47
	s_and_b64 s[46:47], s[44:45], s[26:27]
	v_mul_u64_e32 v[50:51], s[18:19], v[48:49]
	v_mul_u64_e32 v[46:47], s[46:47], v[52:53]
	;; [unrolled: 1-line block ×3, first 2 shown]
	s_delay_alu instid0(VALU_DEP_3) | instskip(NEXT) | instid1(VALU_DEP_1)
	v_add_nc_u64_e32 v[50:51], v[56:57], v[50:51]
	v_add_co_u32 v11, vcc_lo, v50, v46
	s_delay_alu instid0(VALU_DEP_2) | instskip(NEXT) | instid1(VALU_DEP_4)
	v_add_co_ci_u32_e32 v56, vcc_lo, v51, v47, vcc_lo
	v_add_co_ci_u32_e32 v55, vcc_lo, 0, v55, vcc_lo
	s_delay_alu instid0(VALU_DEP_1) | instskip(NEXT) | instid1(VALU_DEP_1)
	v_add_nc_u64_e32 v[46:47], v[56:57], v[54:55]
	v_mul_u64_e32 v[50:51], s[36:37], v[46:47]
	s_delay_alu instid0(VALU_DEP_1) | instskip(NEXT) | instid1(VALU_DEP_2)
	v_sub_nc_u32_e32 v11, v52, v51
	v_sub_co_u32 v37, vcc_lo, v48, v50
	s_delay_alu instid0(VALU_DEP_1) | instskip(NEXT) | instid1(VALU_DEP_3)
	v_sub_co_ci_u32_e64 v52, null, v52, v51, vcc_lo
	v_subrev_co_ci_u32_e64 v11, null, s37, v11, vcc_lo
	s_delay_alu instid0(VALU_DEP_3) | instskip(SKIP_1) | instid1(VALU_DEP_3)
	v_sub_co_u32 v45, s1, v37, s36
	v_add_nc_u64_e32 v[50:51], 1, v[46:47]
	v_subrev_co_ci_u32_e64 v11, null, 0, v11, s1
	s_delay_alu instid0(VALU_DEP_3) | instskip(SKIP_1) | instid1(VALU_DEP_3)
	v_cmp_le_u32_e32 vcc_lo, s36, v45
	v_cndmask_b32_e64 v45, 0, -1, vcc_lo
	v_cmp_le_u32_e32 vcc_lo, s37, v11
	v_cndmask_b32_e64 v48, 0, -1, vcc_lo
	;; [unrolled: 2-line block ×4, first 2 shown]
	v_cmp_eq_u32_e32 vcc_lo, s37, v11
	v_cndmask_b32_e32 v11, v48, v45, vcc_lo
	v_cmp_eq_u32_e32 vcc_lo, s37, v52
	v_add_nc_u64_e32 v[48:49], 2, v[46:47]
	v_cndmask_b32_e32 v37, v53, v37, vcc_lo
	s_delay_alu instid0(VALU_DEP_4) | instskip(NEXT) | instid1(VALU_DEP_2)
	v_cmp_ne_u32_e32 vcc_lo, 0, v11
	v_cmp_ne_u32_e64 s1, 0, v37
	s_delay_alu instid0(VALU_DEP_4) | instskip(NEXT) | instid1(VALU_DEP_1)
	v_dual_cndmask_b32 v11, v51, v49, vcc_lo :: v_dual_cndmask_b32 v37, v50, v48, vcc_lo
	v_dual_cndmask_b32 v45, v46, v37, s1 :: v_dual_mov_b32 v37, v36
	s_delay_alu instid0(VALU_DEP_1) | instskip(NEXT) | instid1(VALU_DEP_1)
	v_dual_cndmask_b32 v11, v47, v11, s1 :: v_dual_bitop2_b32 v46, v45, v36 bitop3:0x14
	v_xor_b32_e32 v47, v11, v36
	s_delay_alu instid0(VALU_DEP_1)
	v_sub_nc_u64_e32 v[36:37], v[46:47], v[36:37]
	s_and_not1_saveexec_b32 s1, s42
	s_cbranch_execz .LBB134_40
.LBB134_42:                             ;   in Loop: Header=BB134_33 Depth=2
	v_cvt_f32_u32_e32 v11, s8
	s_delay_alu instid0(VALU_DEP_1) | instskip(SKIP_1) | instid1(TRANS32_DEP_1)
	v_rcp_iflag_f32_e32 v11, v11
	v_nop
	v_mul_f32_e32 v11, 0x4f7ffffe, v11
	s_delay_alu instid0(VALU_DEP_1) | instskip(NEXT) | instid1(VALU_DEP_1)
	v_cvt_u32_f32_e32 v11, v11
	v_mul_lo_u32 v36, s39, v11
	s_delay_alu instid0(VALU_DEP_1) | instskip(NEXT) | instid1(VALU_DEP_1)
	v_mul_hi_u32 v36, v11, v36
	v_add_nc_u32_e32 v11, v11, v36
	s_delay_alu instid0(VALU_DEP_1) | instskip(NEXT) | instid1(VALU_DEP_1)
	v_mul_hi_u32 v11, v20, v11
	v_mul_lo_u32 v36, v11, s8
	s_delay_alu instid0(VALU_DEP_1) | instskip(NEXT) | instid1(VALU_DEP_1)
	v_dual_add_nc_u32 v37, 1, v11 :: v_dual_sub_nc_u32 v36, v20, v36
	v_subrev_nc_u32_e32 v45, s8, v36
	v_cmp_le_u32_e32 vcc_lo, s8, v36
	s_delay_alu instid0(VALU_DEP_2) | instskip(NEXT) | instid1(VALU_DEP_4)
	v_cndmask_b32_e32 v36, v36, v45, vcc_lo
	v_cndmask_b32_e32 v11, v11, v37, vcc_lo
	s_delay_alu instid0(VALU_DEP_2) | instskip(NEXT) | instid1(VALU_DEP_2)
	v_cmp_le_u32_e32 vcc_lo, s8, v36
	v_add_nc_u32_e32 v37, 1, v11
	s_delay_alu instid0(VALU_DEP_1) | instskip(SKIP_1) | instid1(VALU_DEP_1)
	v_dual_cndmask_b32 v36, v11, v37 :: v_dual_mov_b32 v37, v10
	s_or_b32 exec_lo, exec_lo, s1
	v_cmp_eq_u64_e32 vcc_lo, v[34:35], v[36:37]
	s_and_b32 exec_lo, exec_lo, vcc_lo
	s_cbranch_execz .LBB134_32
.LBB134_43:                             ;   in Loop: Header=BB134_33 Depth=2
	s_and_b32 vcc_lo, exec_lo, s38
	s_cbranch_vccz .LBB134_45
; %bb.44:                               ;   in Loop: Header=BB134_33 Depth=2
	global_load_b64 v[36:37], v[28:29], off
	v_mul_u64_e32 v[34:35], s[8:9], v[34:35]
	s_delay_alu instid0(VALU_DEP_1) | instskip(NEXT) | instid1(VALU_DEP_1)
	v_sub_nc_u64_e32 v[34:35], v[32:33], v[34:35]
	v_add_nc_u64_e32 v[34:35], v[34:35], v[24:25]
	s_delay_alu instid0(VALU_DEP_1) | instskip(NEXT) | instid1(VALU_DEP_1)
	v_mad_nc_u64_u32 v[46:47], s24, v34, v[30:31]
	v_mad_u32 v11, s25, v34, v47
	s_delay_alu instid0(VALU_DEP_1)
	v_mad_u32 v47, s24, v35, v11
	s_wait_loadcnt 0x0
	global_store_b64 v[46:47], v[36:37], off
	s_cbranch_execnz .LBB134_32
	s_branch .LBB134_46
.LBB134_45:                             ;   in Loop: Header=BB134_33 Depth=2
.LBB134_46:                             ;   in Loop: Header=BB134_33 Depth=2
	v_mov_b32_e32 v11, v44
                                        ; implicit-def: $vgpr34_vgpr35
	s_mov_b32 s1, exec_lo
	s_wait_xcnt 0x0
	s_delay_alu instid0(VALU_DEP_1)
	v_cmpx_ne_u64_e32 0, v[10:11]
	s_xor_b32 s42, exec_lo, s1
	s_cbranch_execz .LBB134_48
; %bb.47:                               ;   in Loop: Header=BB134_33 Depth=2
	s_mov_b32 s31, s30
	v_dual_mov_b32 v37, v10 :: v_dual_ashrrev_i32 v34, 31, v33
	s_add_nc_u64 s[36:37], s[8:9], s[30:31]
	v_mov_b32_e32 v51, v10
	s_xor_b64 s[36:37], s[36:37], s[30:31]
	s_delay_alu instid0(VALU_DEP_2) | instskip(SKIP_3) | instid1(VALU_DEP_1)
	v_mov_b32_e32 v35, v34
	s_cvt_f32_u32 s1, s36
	s_cvt_f32_u32 s18, s37
	s_sub_nc_u64 s[46:47], 0, s[36:37]
	v_add_nc_u64_e32 v[32:33], v[32:33], v[34:35]
	s_delay_alu instid0(SALU_CYCLE_1) | instskip(SKIP_1) | instid1(SALU_CYCLE_2)
	s_fmamk_f32 s1, s18, 0x4f800000, s1
	v_mov_b32_e32 v47, v10
	v_s_rcp_f32 s1, s1
	s_delay_alu instid0(VALU_DEP_2) | instskip(NEXT) | instid1(VALU_DEP_3)
	v_xor_b32_e32 v36, v32, v34
	v_xor_b32_e32 v46, v33, v34
	s_delay_alu instid0(TRANS32_DEP_1) | instskip(NEXT) | instid1(SALU_CYCLE_3)
	s_mul_f32 s1, s1, 0x5f7ffffc
	s_mul_f32 s18, s1, 0x2f800000
	s_delay_alu instid0(SALU_CYCLE_3) | instskip(NEXT) | instid1(SALU_CYCLE_3)
	s_trunc_f32 s18, s18
	s_fmamk_f32 s1, s18, 0xcf800000, s1
	s_cvt_u32_f32 s45, s18
	s_delay_alu instid0(SALU_CYCLE_2) | instskip(NEXT) | instid1(SALU_CYCLE_3)
	s_cvt_u32_f32 s44, s1
	s_mul_u64 s[48:49], s[46:47], s[44:45]
	s_delay_alu instid0(SALU_CYCLE_1)
	s_mul_hi_u32 s51, s44, s49
	s_mul_i32 s50, s44, s49
	s_mul_hi_u32 s18, s44, s48
	s_mul_i32 s31, s45, s48
	s_add_nc_u64 s[50:51], s[18:19], s[50:51]
	s_mul_hi_u32 s1, s45, s48
	s_mul_hi_u32 s43, s45, s49
	s_add_co_u32 s18, s50, s31
	s_add_co_ci_u32 s18, s51, s1
	s_mul_i32 s48, s45, s49
	s_add_co_ci_u32 s49, s43, 0
	s_delay_alu instid0(SALU_CYCLE_1) | instskip(NEXT) | instid1(SALU_CYCLE_1)
	s_add_nc_u64 s[48:49], s[18:19], s[48:49]
	s_add_co_u32 s44, s44, s48
	s_cselect_b32 s1, -1, 0
	s_delay_alu instid0(SALU_CYCLE_1) | instskip(SKIP_1) | instid1(SALU_CYCLE_1)
	s_cmp_lg_u32 s1, 0
	s_add_co_ci_u32 s45, s45, s49
	s_mul_u64 s[46:47], s[46:47], s[44:45]
	s_delay_alu instid0(SALU_CYCLE_1)
	s_mul_hi_u32 s49, s44, s47
	s_mul_i32 s48, s44, s47
	s_mul_hi_u32 s18, s44, s46
	s_mul_i32 s31, s45, s46
	s_add_nc_u64 s[48:49], s[18:19], s[48:49]
	s_mul_hi_u32 s1, s45, s46
	s_mul_hi_u32 s43, s45, s47
	s_add_co_u32 s18, s48, s31
	s_add_co_ci_u32 s18, s49, s1
	s_mul_i32 s46, s45, s47
	s_add_co_ci_u32 s47, s43, 0
	s_delay_alu instid0(SALU_CYCLE_1) | instskip(NEXT) | instid1(SALU_CYCLE_1)
	s_add_nc_u64 s[46:47], s[18:19], s[46:47]
	s_add_co_u32 s44, s44, s46
	s_cselect_b32 s1, -1, 0
	v_mul_hi_u32 v50, v36, s44
	s_cmp_lg_u32 s1, 0
	s_add_co_ci_u32 s18, s45, s47
	s_and_b64 s[46:47], s[44:45], s[26:27]
	v_mul_u64_e32 v[44:45], s[18:19], v[36:37]
	v_mul_u64_e32 v[32:33], s[46:47], v[46:47]
	;; [unrolled: 1-line block ×3, first 2 shown]
	s_delay_alu instid0(VALU_DEP_3) | instskip(NEXT) | instid1(VALU_DEP_1)
	v_add_nc_u64_e32 v[44:45], v[50:51], v[44:45]
	v_add_co_u32 v11, vcc_lo, v44, v32
	s_delay_alu instid0(VALU_DEP_2) | instskip(NEXT) | instid1(VALU_DEP_4)
	v_add_co_ci_u32_e32 v50, vcc_lo, v45, v33, vcc_lo
	v_add_co_ci_u32_e32 v49, vcc_lo, 0, v49, vcc_lo
	s_delay_alu instid0(VALU_DEP_1) | instskip(NEXT) | instid1(VALU_DEP_1)
	v_add_nc_u64_e32 v[32:33], v[50:51], v[48:49]
	v_mul_u64_e32 v[32:33], s[36:37], v[32:33]
	s_delay_alu instid0(VALU_DEP_1) | instskip(NEXT) | instid1(VALU_DEP_2)
	v_sub_nc_u32_e32 v11, v46, v33
	v_sub_co_u32 v32, vcc_lo, v36, v32
	s_delay_alu instid0(VALU_DEP_1) | instskip(NEXT) | instid1(VALU_DEP_3)
	v_sub_co_ci_u32_e64 v33, null, v46, v33, vcc_lo
	v_subrev_co_ci_u32_e64 v11, null, s37, v11, vcc_lo
	s_delay_alu instid0(VALU_DEP_3) | instskip(SKIP_1) | instid1(VALU_DEP_3)
	v_sub_co_u32 v36, vcc_lo, v32, s36
	v_cmp_le_u32_e64 s1, s36, v32
	v_subrev_co_ci_u32_e64 v37, null, 0, v11, vcc_lo
	v_subrev_co_ci_u32_e64 v11, null, s37, v11, vcc_lo
	s_delay_alu instid0(VALU_DEP_3) | instskip(SKIP_2) | instid1(VALU_DEP_2)
	v_cndmask_b32_e64 v44, 0, -1, s1
	v_cmp_le_u32_e64 s1, s36, v36
	v_cmp_le_u32_e32 vcc_lo, s37, v33
	v_cndmask_b32_e64 v45, 0, -1, s1
	v_cmp_le_u32_e64 s1, s37, v37
	v_cndmask_b32_e64 v47, 0, -1, vcc_lo
	v_cmp_eq_u32_e32 vcc_lo, s37, v37
	s_delay_alu instid0(VALU_DEP_3) | instskip(SKIP_1) | instid1(VALU_DEP_2)
	v_cndmask_b32_e64 v46, 0, -1, s1
	v_cmp_eq_u32_e64 s1, s37, v33
	v_cndmask_b32_e32 v45, v46, v45, vcc_lo
	v_sub_co_u32 v46, vcc_lo, v36, s36
	s_delay_alu instid0(VALU_DEP_1) | instskip(NEXT) | instid1(VALU_DEP_3)
	v_subrev_co_ci_u32_e64 v11, null, 0, v11, vcc_lo
	v_cmp_ne_u32_e32 vcc_lo, 0, v45
	s_delay_alu instid0(VALU_DEP_2) | instskip(NEXT) | instid1(VALU_DEP_4)
	v_dual_cndmask_b32 v44, v47, v44, s1 :: v_dual_cndmask_b32 v11, v37, v11, vcc_lo
	v_cndmask_b32_e32 v36, v36, v46, vcc_lo
	s_delay_alu instid0(VALU_DEP_2) | instskip(NEXT) | instid1(VALU_DEP_2)
	v_cmp_ne_u32_e32 vcc_lo, 0, v44
	v_dual_cndmask_b32 v11, v33, v11 :: v_dual_cndmask_b32 v32, v32, v36
	s_delay_alu instid0(VALU_DEP_1) | instskip(NEXT) | instid1(VALU_DEP_2)
	v_xor_b32_e32 v33, v11, v34
	v_xor_b32_e32 v32, v32, v34
	s_delay_alu instid0(VALU_DEP_1)
	v_sub_nc_u64_e32 v[34:35], v[32:33], v[34:35]
                                        ; implicit-def: $vgpr32_vgpr33
.LBB134_48:                             ;   in Loop: Header=BB134_33 Depth=2
	s_and_not1_saveexec_b32 s1, s42
	s_cbranch_execz .LBB134_31
; %bb.49:                               ;   in Loop: Header=BB134_33 Depth=2
	v_cvt_f32_u32_e32 v11, s8
	v_mov_b32_e32 v35, v10
	s_delay_alu instid0(VALU_DEP_2) | instskip(SKIP_1) | instid1(TRANS32_DEP_1)
	v_rcp_iflag_f32_e32 v11, v11
	v_nop
	v_mul_f32_e32 v11, 0x4f7ffffe, v11
	s_delay_alu instid0(VALU_DEP_1) | instskip(NEXT) | instid1(VALU_DEP_1)
	v_cvt_u32_f32_e32 v11, v11
	v_mul_lo_u32 v33, s39, v11
	s_delay_alu instid0(VALU_DEP_1) | instskip(NEXT) | instid1(VALU_DEP_1)
	v_mul_hi_u32 v33, v11, v33
	v_add_nc_u32_e32 v11, v11, v33
	s_delay_alu instid0(VALU_DEP_1) | instskip(NEXT) | instid1(VALU_DEP_1)
	v_mul_hi_u32 v11, v32, v11
	v_mul_lo_u32 v11, v11, s8
	s_delay_alu instid0(VALU_DEP_1) | instskip(NEXT) | instid1(VALU_DEP_1)
	v_sub_nc_u32_e32 v11, v32, v11
	v_subrev_nc_u32_e32 v32, s8, v11
	v_cmp_le_u32_e32 vcc_lo, s8, v11
	s_delay_alu instid0(VALU_DEP_2) | instskip(NEXT) | instid1(VALU_DEP_1)
	v_cndmask_b32_e32 v11, v11, v32, vcc_lo
	v_subrev_nc_u32_e32 v32, s8, v11
	v_cmp_le_u32_e32 vcc_lo, s8, v11
	s_delay_alu instid0(VALU_DEP_2)
	v_cndmask_b32_e32 v34, v11, v32, vcc_lo
	s_branch .LBB134_31
.LBB134_50:                             ;   in Loop: Header=BB134_10 Depth=1
	s_mov_b32 s31, s30
	v_dual_mov_b32 v27, v10 :: v_dual_ashrrev_i32 v22, 31, v21
	s_add_nc_u64 s[34:35], s[8:9], s[30:31]
	v_mov_b32_e32 v35, v10
	s_xor_b64 s[34:35], s[34:35], s[30:31]
	s_delay_alu instid0(VALU_DEP_2) | instskip(SKIP_3) | instid1(VALU_DEP_1)
	v_mov_b32_e32 v23, v22
	s_cvt_f32_u32 s1, s34
	s_cvt_f32_u32 s18, s35
	s_sub_nc_u64 s[44:45], 0, s[34:35]
	v_add_nc_u64_e32 v[24:25], v[20:21], v[22:23]
	s_delay_alu instid0(SALU_CYCLE_1) | instskip(SKIP_1) | instid1(SALU_CYCLE_2)
	s_fmamk_f32 s1, s18, 0x4f800000, s1
	v_mov_b32_e32 v31, v10
	v_s_rcp_f32 s1, s1
	s_delay_alu instid0(VALU_DEP_2) | instskip(NEXT) | instid1(VALU_DEP_3)
	v_xor_b32_e32 v26, v24, v22
	v_xor_b32_e32 v30, v25, v22
	s_delay_alu instid0(TRANS32_DEP_1) | instskip(NEXT) | instid1(SALU_CYCLE_3)
	s_mul_f32 s1, s1, 0x5f7ffffc
	s_mul_f32 s18, s1, 0x2f800000
	s_delay_alu instid0(SALU_CYCLE_3) | instskip(NEXT) | instid1(SALU_CYCLE_3)
	s_trunc_f32 s18, s18
	s_fmamk_f32 s1, s18, 0xcf800000, s1
	s_cvt_u32_f32 s43, s18
	s_delay_alu instid0(SALU_CYCLE_2) | instskip(NEXT) | instid1(SALU_CYCLE_3)
	s_cvt_u32_f32 s42, s1
	s_mul_u64 s[46:47], s[44:45], s[42:43]
	s_delay_alu instid0(SALU_CYCLE_1)
	s_mul_hi_u32 s49, s42, s47
	s_mul_i32 s48, s42, s47
	s_mul_hi_u32 s18, s42, s46
	s_mul_i32 s31, s43, s46
	s_add_nc_u64 s[48:49], s[18:19], s[48:49]
	s_mul_hi_u32 s1, s43, s46
	s_mul_hi_u32 s41, s43, s47
	s_add_co_u32 s18, s48, s31
	s_add_co_ci_u32 s18, s49, s1
	s_mul_i32 s46, s43, s47
	s_add_co_ci_u32 s47, s41, 0
	s_delay_alu instid0(SALU_CYCLE_1) | instskip(NEXT) | instid1(SALU_CYCLE_1)
	s_add_nc_u64 s[46:47], s[18:19], s[46:47]
	s_add_co_u32 s42, s42, s46
	s_cselect_b32 s1, -1, 0
	s_delay_alu instid0(SALU_CYCLE_1) | instskip(SKIP_1) | instid1(SALU_CYCLE_1)
	s_cmp_lg_u32 s1, 0
	s_add_co_ci_u32 s43, s43, s47
	s_mul_u64 s[44:45], s[44:45], s[42:43]
	s_delay_alu instid0(SALU_CYCLE_1)
	s_mul_hi_u32 s47, s42, s45
	s_mul_i32 s46, s42, s45
	s_mul_hi_u32 s18, s42, s44
	s_mul_i32 s31, s43, s44
	s_add_nc_u64 s[46:47], s[18:19], s[46:47]
	s_mul_hi_u32 s1, s43, s44
	s_mul_hi_u32 s41, s43, s45
	s_add_co_u32 s18, s46, s31
	s_add_co_ci_u32 s18, s47, s1
	s_mul_i32 s44, s43, s45
	s_add_co_ci_u32 s45, s41, 0
	s_delay_alu instid0(SALU_CYCLE_1) | instskip(NEXT) | instid1(SALU_CYCLE_1)
	s_add_nc_u64 s[44:45], s[18:19], s[44:45]
	s_add_co_u32 s42, s42, s44
	s_cselect_b32 s1, -1, 0
	v_mul_hi_u32 v34, v26, s42
	s_cmp_lg_u32 s1, 0
	s_add_co_ci_u32 s18, s43, s45
	s_and_b64 s[44:45], s[42:43], s[26:27]
	v_mul_u64_e32 v[28:29], s[18:19], v[26:27]
	v_mul_u64_e32 v[24:25], s[44:45], v[30:31]
	;; [unrolled: 1-line block ×3, first 2 shown]
	s_delay_alu instid0(VALU_DEP_3) | instskip(NEXT) | instid1(VALU_DEP_1)
	v_add_nc_u64_e32 v[28:29], v[34:35], v[28:29]
	v_add_co_u32 v11, vcc_lo, v28, v24
	s_delay_alu instid0(VALU_DEP_2) | instskip(NEXT) | instid1(VALU_DEP_4)
	v_add_co_ci_u32_e32 v34, vcc_lo, v29, v25, vcc_lo
	v_add_co_ci_u32_e32 v33, vcc_lo, 0, v33, vcc_lo
	s_delay_alu instid0(VALU_DEP_1) | instskip(NEXT) | instid1(VALU_DEP_1)
	v_add_nc_u64_e32 v[24:25], v[34:35], v[32:33]
	v_mul_u64_e32 v[28:29], s[34:35], v[24:25]
	s_delay_alu instid0(VALU_DEP_1) | instskip(NEXT) | instid1(VALU_DEP_2)
	v_sub_nc_u32_e32 v11, v30, v29
	v_sub_co_u32 v23, vcc_lo, v26, v28
	s_delay_alu instid0(VALU_DEP_1) | instskip(NEXT) | instid1(VALU_DEP_3)
	v_sub_co_ci_u32_e64 v30, null, v30, v29, vcc_lo
	v_subrev_co_ci_u32_e64 v11, null, s35, v11, vcc_lo
	s_delay_alu instid0(VALU_DEP_3) | instskip(SKIP_1) | instid1(VALU_DEP_3)
	v_sub_co_u32 v26, s1, v23, s34
	v_add_nc_u64_e32 v[28:29], 1, v[24:25]
	v_subrev_co_ci_u32_e64 v11, null, 0, v11, s1
	s_delay_alu instid0(VALU_DEP_3) | instskip(SKIP_1) | instid1(VALU_DEP_3)
	v_cmp_le_u32_e32 vcc_lo, s34, v26
	v_cndmask_b32_e64 v26, 0, -1, vcc_lo
	v_cmp_le_u32_e32 vcc_lo, s35, v11
	v_cndmask_b32_e64 v27, 0, -1, vcc_lo
	;; [unrolled: 2-line block ×4, first 2 shown]
	v_cmp_eq_u32_e32 vcc_lo, s35, v11
	v_cndmask_b32_e32 v11, v27, v26, vcc_lo
	v_cmp_eq_u32_e32 vcc_lo, s35, v30
	v_add_nc_u64_e32 v[26:27], 2, v[24:25]
	v_cndmask_b32_e32 v23, v31, v23, vcc_lo
	s_delay_alu instid0(VALU_DEP_4) | instskip(NEXT) | instid1(VALU_DEP_2)
	v_cmp_ne_u32_e32 vcc_lo, 0, v11
	v_cmp_ne_u32_e64 s1, 0, v23
	s_delay_alu instid0(VALU_DEP_4) | instskip(NEXT) | instid1(VALU_DEP_1)
	v_dual_cndmask_b32 v11, v29, v27, vcc_lo :: v_dual_cndmask_b32 v23, v28, v26, vcc_lo
	v_dual_cndmask_b32 v11, v25, v11, s1 :: v_dual_bitop2_b32 v22, s30, v22 bitop3:0x14
	s_delay_alu instid0(VALU_DEP_1) | instskip(NEXT) | instid1(VALU_DEP_2)
	v_dual_cndmask_b32 v24, v24, v23, s1 :: v_dual_mov_b32 v23, v22
	v_xor_b32_e32 v25, v11, v22
	s_delay_alu instid0(VALU_DEP_2) | instskip(NEXT) | instid1(VALU_DEP_1)
	v_xor_b32_e32 v24, v24, v22
	v_sub_nc_u64_e32 v[22:23], v[24:25], v[22:23]
	s_and_not1_saveexec_b32 s1, s37
	s_cbranch_execz .LBB134_26
.LBB134_51:                             ;   in Loop: Header=BB134_10 Depth=1
	v_cvt_f32_u32_e32 v11, s8
	s_delay_alu instid0(VALU_DEP_1) | instskip(SKIP_1) | instid1(TRANS32_DEP_1)
	v_rcp_iflag_f32_e32 v11, v11
	v_nop
	v_mul_f32_e32 v11, 0x4f7ffffe, v11
	s_delay_alu instid0(VALU_DEP_1) | instskip(NEXT) | instid1(VALU_DEP_1)
	v_cvt_u32_f32_e32 v11, v11
	v_mul_lo_u32 v22, s39, v11
	s_delay_alu instid0(VALU_DEP_1) | instskip(NEXT) | instid1(VALU_DEP_1)
	v_mul_hi_u32 v22, v11, v22
	v_add_nc_u32_e32 v11, v11, v22
	s_delay_alu instid0(VALU_DEP_1) | instskip(NEXT) | instid1(VALU_DEP_1)
	v_mul_hi_u32 v11, v20, v11
	v_mul_lo_u32 v22, v11, s8
	s_delay_alu instid0(VALU_DEP_1) | instskip(NEXT) | instid1(VALU_DEP_1)
	v_dual_add_nc_u32 v23, 1, v11 :: v_dual_sub_nc_u32 v22, v20, v22
	v_subrev_nc_u32_e32 v24, s8, v22
	v_cmp_le_u32_e32 vcc_lo, s8, v22
	s_delay_alu instid0(VALU_DEP_2) | instskip(NEXT) | instid1(VALU_DEP_1)
	v_dual_cndmask_b32 v22, v22, v24 :: v_dual_cndmask_b32 v11, v11, v23
	v_cmp_le_u32_e32 vcc_lo, s8, v22
	s_delay_alu instid0(VALU_DEP_2) | instskip(NEXT) | instid1(VALU_DEP_1)
	v_add_nc_u32_e32 v23, 1, v11
	v_dual_cndmask_b32 v22, v11, v23 :: v_dual_mov_b32 v23, v10
	s_or_b32 exec_lo, exec_lo, s1
	s_delay_alu instid0(SALU_CYCLE_1) | instskip(NEXT) | instid1(VALU_DEP_1)
	s_mov_b32 s1, exec_lo
	v_cmpx_ge_i64_e64 v[22:23], v[18:19]
	s_cbranch_execnz .LBB134_27
	s_branch .LBB134_28
.LBB134_52:
	s_endpgm
	.section	.rodata,"a",@progbits
	.p2align	6, 0x0
	.amdhsa_kernel _ZN9rocsparseL21csr2bsr_65_inf_kernelILj32EdilEEv20rocsparse_direction_T2_S2_S2_S2_S2_S2_21rocsparse_index_base_PKT0_PKT1_PKS2_S3_PS4_PS7_PS2_SD_SE_SC_
		.amdhsa_group_segment_fixed_size 0
		.amdhsa_private_segment_fixed_size 0
		.amdhsa_kernarg_size 144
		.amdhsa_user_sgpr_count 2
		.amdhsa_user_sgpr_dispatch_ptr 0
		.amdhsa_user_sgpr_queue_ptr 0
		.amdhsa_user_sgpr_kernarg_segment_ptr 1
		.amdhsa_user_sgpr_dispatch_id 0
		.amdhsa_user_sgpr_kernarg_preload_length 0
		.amdhsa_user_sgpr_kernarg_preload_offset 0
		.amdhsa_user_sgpr_private_segment_size 0
		.amdhsa_wavefront_size32 1
		.amdhsa_uses_dynamic_stack 0
		.amdhsa_enable_private_segment 0
		.amdhsa_system_sgpr_workgroup_id_x 1
		.amdhsa_system_sgpr_workgroup_id_y 0
		.amdhsa_system_sgpr_workgroup_id_z 0
		.amdhsa_system_sgpr_workgroup_info 0
		.amdhsa_system_vgpr_workitem_id 0
		.amdhsa_next_free_vgpr 58
		.amdhsa_next_free_sgpr 52
		.amdhsa_named_barrier_count 0
		.amdhsa_reserve_vcc 1
		.amdhsa_float_round_mode_32 0
		.amdhsa_float_round_mode_16_64 0
		.amdhsa_float_denorm_mode_32 3
		.amdhsa_float_denorm_mode_16_64 3
		.amdhsa_fp16_overflow 0
		.amdhsa_memory_ordered 1
		.amdhsa_forward_progress 1
		.amdhsa_inst_pref_size 39
		.amdhsa_round_robin_scheduling 0
		.amdhsa_exception_fp_ieee_invalid_op 0
		.amdhsa_exception_fp_denorm_src 0
		.amdhsa_exception_fp_ieee_div_zero 0
		.amdhsa_exception_fp_ieee_overflow 0
		.amdhsa_exception_fp_ieee_underflow 0
		.amdhsa_exception_fp_ieee_inexact 0
		.amdhsa_exception_int_div_zero 0
	.end_amdhsa_kernel
	.section	.text._ZN9rocsparseL21csr2bsr_65_inf_kernelILj32EdilEEv20rocsparse_direction_T2_S2_S2_S2_S2_S2_21rocsparse_index_base_PKT0_PKT1_PKS2_S3_PS4_PS7_PS2_SD_SE_SC_,"axG",@progbits,_ZN9rocsparseL21csr2bsr_65_inf_kernelILj32EdilEEv20rocsparse_direction_T2_S2_S2_S2_S2_S2_21rocsparse_index_base_PKT0_PKT1_PKS2_S3_PS4_PS7_PS2_SD_SE_SC_,comdat
.Lfunc_end134:
	.size	_ZN9rocsparseL21csr2bsr_65_inf_kernelILj32EdilEEv20rocsparse_direction_T2_S2_S2_S2_S2_S2_21rocsparse_index_base_PKT0_PKT1_PKS2_S3_PS4_PS7_PS2_SD_SE_SC_, .Lfunc_end134-_ZN9rocsparseL21csr2bsr_65_inf_kernelILj32EdilEEv20rocsparse_direction_T2_S2_S2_S2_S2_S2_21rocsparse_index_base_PKT0_PKT1_PKS2_S3_PS4_PS7_PS2_SD_SE_SC_
                                        ; -- End function
	.set _ZN9rocsparseL21csr2bsr_65_inf_kernelILj32EdilEEv20rocsparse_direction_T2_S2_S2_S2_S2_S2_21rocsparse_index_base_PKT0_PKT1_PKS2_S3_PS4_PS7_PS2_SD_SE_SC_.num_vgpr, 58
	.set _ZN9rocsparseL21csr2bsr_65_inf_kernelILj32EdilEEv20rocsparse_direction_T2_S2_S2_S2_S2_S2_21rocsparse_index_base_PKT0_PKT1_PKS2_S3_PS4_PS7_PS2_SD_SE_SC_.num_agpr, 0
	.set _ZN9rocsparseL21csr2bsr_65_inf_kernelILj32EdilEEv20rocsparse_direction_T2_S2_S2_S2_S2_S2_21rocsparse_index_base_PKT0_PKT1_PKS2_S3_PS4_PS7_PS2_SD_SE_SC_.numbered_sgpr, 52
	.set _ZN9rocsparseL21csr2bsr_65_inf_kernelILj32EdilEEv20rocsparse_direction_T2_S2_S2_S2_S2_S2_21rocsparse_index_base_PKT0_PKT1_PKS2_S3_PS4_PS7_PS2_SD_SE_SC_.num_named_barrier, 0
	.set _ZN9rocsparseL21csr2bsr_65_inf_kernelILj32EdilEEv20rocsparse_direction_T2_S2_S2_S2_S2_S2_21rocsparse_index_base_PKT0_PKT1_PKS2_S3_PS4_PS7_PS2_SD_SE_SC_.private_seg_size, 0
	.set _ZN9rocsparseL21csr2bsr_65_inf_kernelILj32EdilEEv20rocsparse_direction_T2_S2_S2_S2_S2_S2_21rocsparse_index_base_PKT0_PKT1_PKS2_S3_PS4_PS7_PS2_SD_SE_SC_.uses_vcc, 1
	.set _ZN9rocsparseL21csr2bsr_65_inf_kernelILj32EdilEEv20rocsparse_direction_T2_S2_S2_S2_S2_S2_21rocsparse_index_base_PKT0_PKT1_PKS2_S3_PS4_PS7_PS2_SD_SE_SC_.uses_flat_scratch, 0
	.set _ZN9rocsparseL21csr2bsr_65_inf_kernelILj32EdilEEv20rocsparse_direction_T2_S2_S2_S2_S2_S2_21rocsparse_index_base_PKT0_PKT1_PKS2_S3_PS4_PS7_PS2_SD_SE_SC_.has_dyn_sized_stack, 0
	.set _ZN9rocsparseL21csr2bsr_65_inf_kernelILj32EdilEEv20rocsparse_direction_T2_S2_S2_S2_S2_S2_21rocsparse_index_base_PKT0_PKT1_PKS2_S3_PS4_PS7_PS2_SD_SE_SC_.has_recursion, 0
	.set _ZN9rocsparseL21csr2bsr_65_inf_kernelILj32EdilEEv20rocsparse_direction_T2_S2_S2_S2_S2_S2_21rocsparse_index_base_PKT0_PKT1_PKS2_S3_PS4_PS7_PS2_SD_SE_SC_.has_indirect_call, 0
	.section	.AMDGPU.csdata,"",@progbits
; Kernel info:
; codeLenInByte = 4892
; TotalNumSgprs: 54
; NumVgprs: 58
; ScratchSize: 0
; MemoryBound: 0
; FloatMode: 240
; IeeeMode: 1
; LDSByteSize: 0 bytes/workgroup (compile time only)
; SGPRBlocks: 0
; VGPRBlocks: 3
; NumSGPRsForWavesPerEU: 54
; NumVGPRsForWavesPerEU: 58
; NamedBarCnt: 0
; Occupancy: 16
; WaveLimiterHint : 1
; COMPUTE_PGM_RSRC2:SCRATCH_EN: 0
; COMPUTE_PGM_RSRC2:USER_SGPR: 2
; COMPUTE_PGM_RSRC2:TRAP_HANDLER: 0
; COMPUTE_PGM_RSRC2:TGID_X_EN: 1
; COMPUTE_PGM_RSRC2:TGID_Y_EN: 0
; COMPUTE_PGM_RSRC2:TGID_Z_EN: 0
; COMPUTE_PGM_RSRC2:TIDIG_COMP_CNT: 0
	.section	.text._ZN9rocsparseL35csr2bsr_block_dim_equals_one_kernelILj256EdllEEvT2_S1_S1_S1_21rocsparse_index_base_PKT0_PKT1_PKS1_S2_PS3_PS6_PS1_,"axG",@progbits,_ZN9rocsparseL35csr2bsr_block_dim_equals_one_kernelILj256EdllEEvT2_S1_S1_S1_21rocsparse_index_base_PKT0_PKT1_PKS1_S2_PS3_PS6_PS1_,comdat
	.globl	_ZN9rocsparseL35csr2bsr_block_dim_equals_one_kernelILj256EdllEEvT2_S1_S1_S1_21rocsparse_index_base_PKT0_PKT1_PKS1_S2_PS3_PS6_PS1_ ; -- Begin function _ZN9rocsparseL35csr2bsr_block_dim_equals_one_kernelILj256EdllEEvT2_S1_S1_S1_21rocsparse_index_base_PKT0_PKT1_PKS1_S2_PS3_PS6_PS1_
	.p2align	8
	.type	_ZN9rocsparseL35csr2bsr_block_dim_equals_one_kernelILj256EdllEEvT2_S1_S1_S1_21rocsparse_index_base_PKT0_PKT1_PKS1_S2_PS3_PS6_PS1_,@function
_ZN9rocsparseL35csr2bsr_block_dim_equals_one_kernelILj256EdllEEvT2_S1_S1_S1_21rocsparse_index_base_PKT0_PKT1_PKS1_S2_PS3_PS6_PS1_: ; @_ZN9rocsparseL35csr2bsr_block_dim_equals_one_kernelILj256EdllEEvT2_S1_S1_S1_21rocsparse_index_base_PKT0_PKT1_PKS1_S2_PS3_PS6_PS1_
; %bb.0:
	s_clause 0x1
	s_load_b64 s[2:3], s[0:1], 0x0
	s_load_b128 s[4:7], s[0:1], 0x28
	s_bfe_u32 s8, ttmp6, 0x4000c
	s_and_b32 s9, ttmp6, 15
	s_add_co_i32 s8, s8, 1
	s_getreg_b32 s10, hwreg(HW_REG_IB_STS2, 6, 4)
	s_mul_i32 s8, ttmp9, s8
	v_mov_b32_e32 v1, 0
	s_add_co_i32 s9, s9, s8
	s_cmp_eq_u32 s10, 0
	s_cselect_b32 s12, ttmp9, s9
	s_delay_alu instid0(SALU_CYCLE_1) | instskip(SKIP_2) | instid1(SALU_CYCLE_1)
	v_lshl_or_b32 v0, s12, 8, v0
	s_wait_kmcnt 0x0
	s_lshl_b64 s[2:3], s[2:3], 3
	s_add_nc_u64 s[2:3], s[6:7], s[2:3]
	s_clause 0x1
	s_load_b64 s[8:9], s[2:3], 0x0
	s_load_b64 s[10:11], s[6:7], 0x0
	s_wait_xcnt 0x0
	s_mov_b32 s7, 0
	s_mov_b32 s6, exec_lo
	s_wait_kmcnt 0x0
	s_sub_nc_u64 s[2:3], s[8:9], s[10:11]
	s_delay_alu instid0(SALU_CYCLE_1)
	v_cmpx_gt_i64_e64 s[2:3], v[0:1]
	s_cbranch_execz .LBB135_3
; %bb.1:
	s_clause 0x3
	s_load_b96 s[8:10], s[0:1], 0x38
	s_load_b64 s[16:17], s[0:1], 0x48
	s_load_b32 s6, s[0:1], 0x20
	s_load_b96 s[12:14], s[0:1], 0x58
	v_lshlrev_b64_e32 v[2:3], 3, v[0:1]
	s_wait_xcnt 0x0
	s_mov_b32 s1, s7
	s_wait_kmcnt 0x0
	s_mov_b32 s0, s10
	s_delay_alu instid0(SALU_CYCLE_1)
	s_sub_nc_u64 s[0:1], s[0:1], s[6:7]
	s_lshl_b32 s6, s14, 8
	s_mov_b32 s14, s7
	s_lshl_b64 s[10:11], s[6:7], 3
.LBB135_2:                              ; =>This Inner Loop Header: Depth=1
	v_add_nc_u64_e32 v[4:5], s[8:9], v[2:3]
	v_add_nc_u64_e32 v[6:7], s[4:5], v[2:3]
	;; [unrolled: 1-line block ×3, first 2 shown]
	global_load_b64 v[8:9], v[4:5], off
	global_load_b64 v[10:11], v[6:7], off
	s_wait_xcnt 0x1
	v_add_nc_u64_e32 v[4:5], s[12:13], v[2:3]
	v_cmp_le_i64_e32 vcc_lo, s[2:3], v[0:1]
	s_wait_xcnt 0x0
	v_add_nc_u64_e32 v[6:7], s[16:17], v[2:3]
	v_add_nc_u64_e32 v[2:3], s[10:11], v[2:3]
	s_or_b32 s14, vcc_lo, s14
	s_wait_loadcnt 0x1
	v_add_nc_u64_e32 v[8:9], s[0:1], v[8:9]
	s_wait_loadcnt 0x0
	global_store_b64 v[6:7], v[10:11], off
	global_store_b64 v[4:5], v[8:9], off
	s_wait_xcnt 0x0
	s_and_not1_b32 exec_lo, exec_lo, s14
	s_cbranch_execnz .LBB135_2
.LBB135_3:
	s_endpgm
	.section	.rodata,"a",@progbits
	.p2align	6, 0x0
	.amdhsa_kernel _ZN9rocsparseL35csr2bsr_block_dim_equals_one_kernelILj256EdllEEvT2_S1_S1_S1_21rocsparse_index_base_PKT0_PKT1_PKS1_S2_PS3_PS6_PS1_
		.amdhsa_group_segment_fixed_size 0
		.amdhsa_private_segment_fixed_size 0
		.amdhsa_kernarg_size 352
		.amdhsa_user_sgpr_count 2
		.amdhsa_user_sgpr_dispatch_ptr 0
		.amdhsa_user_sgpr_queue_ptr 0
		.amdhsa_user_sgpr_kernarg_segment_ptr 1
		.amdhsa_user_sgpr_dispatch_id 0
		.amdhsa_user_sgpr_kernarg_preload_length 0
		.amdhsa_user_sgpr_kernarg_preload_offset 0
		.amdhsa_user_sgpr_private_segment_size 0
		.amdhsa_wavefront_size32 1
		.amdhsa_uses_dynamic_stack 0
		.amdhsa_enable_private_segment 0
		.amdhsa_system_sgpr_workgroup_id_x 1
		.amdhsa_system_sgpr_workgroup_id_y 0
		.amdhsa_system_sgpr_workgroup_id_z 0
		.amdhsa_system_sgpr_workgroup_info 0
		.amdhsa_system_vgpr_workitem_id 0
		.amdhsa_next_free_vgpr 12
		.amdhsa_next_free_sgpr 18
		.amdhsa_named_barrier_count 0
		.amdhsa_reserve_vcc 1
		.amdhsa_float_round_mode_32 0
		.amdhsa_float_round_mode_16_64 0
		.amdhsa_float_denorm_mode_32 3
		.amdhsa_float_denorm_mode_16_64 3
		.amdhsa_fp16_overflow 0
		.amdhsa_memory_ordered 1
		.amdhsa_forward_progress 1
		.amdhsa_inst_pref_size 3
		.amdhsa_round_robin_scheduling 0
		.amdhsa_exception_fp_ieee_invalid_op 0
		.amdhsa_exception_fp_denorm_src 0
		.amdhsa_exception_fp_ieee_div_zero 0
		.amdhsa_exception_fp_ieee_overflow 0
		.amdhsa_exception_fp_ieee_underflow 0
		.amdhsa_exception_fp_ieee_inexact 0
		.amdhsa_exception_int_div_zero 0
	.end_amdhsa_kernel
	.section	.text._ZN9rocsparseL35csr2bsr_block_dim_equals_one_kernelILj256EdllEEvT2_S1_S1_S1_21rocsparse_index_base_PKT0_PKT1_PKS1_S2_PS3_PS6_PS1_,"axG",@progbits,_ZN9rocsparseL35csr2bsr_block_dim_equals_one_kernelILj256EdllEEvT2_S1_S1_S1_21rocsparse_index_base_PKT0_PKT1_PKS1_S2_PS3_PS6_PS1_,comdat
.Lfunc_end135:
	.size	_ZN9rocsparseL35csr2bsr_block_dim_equals_one_kernelILj256EdllEEvT2_S1_S1_S1_21rocsparse_index_base_PKT0_PKT1_PKS1_S2_PS3_PS6_PS1_, .Lfunc_end135-_ZN9rocsparseL35csr2bsr_block_dim_equals_one_kernelILj256EdllEEvT2_S1_S1_S1_21rocsparse_index_base_PKT0_PKT1_PKS1_S2_PS3_PS6_PS1_
                                        ; -- End function
	.set _ZN9rocsparseL35csr2bsr_block_dim_equals_one_kernelILj256EdllEEvT2_S1_S1_S1_21rocsparse_index_base_PKT0_PKT1_PKS1_S2_PS3_PS6_PS1_.num_vgpr, 12
	.set _ZN9rocsparseL35csr2bsr_block_dim_equals_one_kernelILj256EdllEEvT2_S1_S1_S1_21rocsparse_index_base_PKT0_PKT1_PKS1_S2_PS3_PS6_PS1_.num_agpr, 0
	.set _ZN9rocsparseL35csr2bsr_block_dim_equals_one_kernelILj256EdllEEvT2_S1_S1_S1_21rocsparse_index_base_PKT0_PKT1_PKS1_S2_PS3_PS6_PS1_.numbered_sgpr, 18
	.set _ZN9rocsparseL35csr2bsr_block_dim_equals_one_kernelILj256EdllEEvT2_S1_S1_S1_21rocsparse_index_base_PKT0_PKT1_PKS1_S2_PS3_PS6_PS1_.num_named_barrier, 0
	.set _ZN9rocsparseL35csr2bsr_block_dim_equals_one_kernelILj256EdllEEvT2_S1_S1_S1_21rocsparse_index_base_PKT0_PKT1_PKS1_S2_PS3_PS6_PS1_.private_seg_size, 0
	.set _ZN9rocsparseL35csr2bsr_block_dim_equals_one_kernelILj256EdllEEvT2_S1_S1_S1_21rocsparse_index_base_PKT0_PKT1_PKS1_S2_PS3_PS6_PS1_.uses_vcc, 1
	.set _ZN9rocsparseL35csr2bsr_block_dim_equals_one_kernelILj256EdllEEvT2_S1_S1_S1_21rocsparse_index_base_PKT0_PKT1_PKS1_S2_PS3_PS6_PS1_.uses_flat_scratch, 0
	.set _ZN9rocsparseL35csr2bsr_block_dim_equals_one_kernelILj256EdllEEvT2_S1_S1_S1_21rocsparse_index_base_PKT0_PKT1_PKS1_S2_PS3_PS6_PS1_.has_dyn_sized_stack, 0
	.set _ZN9rocsparseL35csr2bsr_block_dim_equals_one_kernelILj256EdllEEvT2_S1_S1_S1_21rocsparse_index_base_PKT0_PKT1_PKS1_S2_PS3_PS6_PS1_.has_recursion, 0
	.set _ZN9rocsparseL35csr2bsr_block_dim_equals_one_kernelILj256EdllEEvT2_S1_S1_S1_21rocsparse_index_base_PKT0_PKT1_PKS1_S2_PS3_PS6_PS1_.has_indirect_call, 0
	.section	.AMDGPU.csdata,"",@progbits
; Kernel info:
; codeLenInByte = 332
; TotalNumSgprs: 20
; NumVgprs: 12
; ScratchSize: 0
; MemoryBound: 0
; FloatMode: 240
; IeeeMode: 1
; LDSByteSize: 0 bytes/workgroup (compile time only)
; SGPRBlocks: 0
; VGPRBlocks: 0
; NumSGPRsForWavesPerEU: 20
; NumVGPRsForWavesPerEU: 12
; NamedBarCnt: 0
; Occupancy: 16
; WaveLimiterHint : 0
; COMPUTE_PGM_RSRC2:SCRATCH_EN: 0
; COMPUTE_PGM_RSRC2:USER_SGPR: 2
; COMPUTE_PGM_RSRC2:TRAP_HANDLER: 0
; COMPUTE_PGM_RSRC2:TGID_X_EN: 1
; COMPUTE_PGM_RSRC2:TGID_Y_EN: 0
; COMPUTE_PGM_RSRC2:TGID_Z_EN: 0
; COMPUTE_PGM_RSRC2:TIDIG_COMP_CNT: 0
	.section	.text._ZN9rocsparseL42csr2bsr_wavefront_per_row_multipass_kernelILj256ELj16ELj4EdllEEv20rocsparse_direction_T4_S2_S2_S2_S2_21rocsparse_index_base_PKT2_PKT3_PKS2_S3_PS4_PS7_PS2_,"axG",@progbits,_ZN9rocsparseL42csr2bsr_wavefront_per_row_multipass_kernelILj256ELj16ELj4EdllEEv20rocsparse_direction_T4_S2_S2_S2_S2_21rocsparse_index_base_PKT2_PKT3_PKS2_S3_PS4_PS7_PS2_,comdat
	.globl	_ZN9rocsparseL42csr2bsr_wavefront_per_row_multipass_kernelILj256ELj16ELj4EdllEEv20rocsparse_direction_T4_S2_S2_S2_S2_21rocsparse_index_base_PKT2_PKT3_PKS2_S3_PS4_PS7_PS2_ ; -- Begin function _ZN9rocsparseL42csr2bsr_wavefront_per_row_multipass_kernelILj256ELj16ELj4EdllEEv20rocsparse_direction_T4_S2_S2_S2_S2_21rocsparse_index_base_PKT2_PKT3_PKS2_S3_PS4_PS7_PS2_
	.p2align	8
	.type	_ZN9rocsparseL42csr2bsr_wavefront_per_row_multipass_kernelILj256ELj16ELj4EdllEEv20rocsparse_direction_T4_S2_S2_S2_S2_21rocsparse_index_base_PKT2_PKT3_PKS2_S3_PS4_PS7_PS2_,@function
_ZN9rocsparseL42csr2bsr_wavefront_per_row_multipass_kernelILj256ELj16ELj4EdllEEv20rocsparse_direction_T4_S2_S2_S2_S2_21rocsparse_index_base_PKT2_PKT3_PKS2_S3_PS4_PS7_PS2_: ; @_ZN9rocsparseL42csr2bsr_wavefront_per_row_multipass_kernelILj256ELj16ELj4EdllEEv20rocsparse_direction_T4_S2_S2_S2_S2_21rocsparse_index_base_PKT2_PKT3_PKS2_S3_PS4_PS7_PS2_
; %bb.0:
	s_bfe_u32 s2, ttmp6, 0x4000c
	s_clause 0x1
	s_load_b96 s[8:10], s[0:1], 0x28
	s_load_b64 s[12:13], s[0:1], 0x40
	s_add_co_i32 s2, s2, 1
	s_and_b32 s3, ttmp6, 15
	s_mul_i32 s2, ttmp9, s2
	s_getreg_b32 s4, hwreg(HW_REG_IB_STS2, 6, 4)
	s_add_co_i32 s3, s3, s2
	s_cmp_eq_u32 s4, 0
	v_dual_mov_b32 v11, 0 :: v_dual_lshrrev_b32 v32, 4, v0
	s_cselect_b32 s14, ttmp9, s3
	v_bfe_u32 v10, v0, 2, 2
	s_ashr_i32 s15, s14, 31
	v_mov_b64_e32 v[18:19], 0
	s_lshl_b64 s[2:3], s[14:15], 4
	s_mov_b32 s11, 0
	v_or_b32_e32 v1, s2, v32
	s_load_b128 s[4:7], s[0:1], 0x18
	s_wait_kmcnt 0x0
	s_delay_alu instid0(VALU_DEP_1) | instskip(NEXT) | instid1(VALU_DEP_1)
	v_mad_nc_u64_u32 v[4:5], v1, s8, v[10:11]
	v_mad_u32 v2, s3, s8, v5
	s_load_b64 s[2:3], s[0:1], 0x8
	s_delay_alu instid0(VALU_DEP_1) | instskip(SKIP_2) | instid1(VALU_DEP_2)
	v_mad_u32 v5, v1, s9, v2
	v_mov_b64_e32 v[2:3], 0
	s_wait_kmcnt 0x0
	v_cmp_gt_i64_e32 vcc_lo, s[2:3], v[4:5]
	v_cmp_gt_i64_e64 s2, s[8:9], v[10:11]
	s_and_b32 s3, s2, vcc_lo
	s_delay_alu instid0(SALU_CYCLE_1)
	s_and_saveexec_b32 s15, s3
	s_cbranch_execz .LBB136_2
; %bb.1:
	v_lshl_add_u64 v[6:7], v[4:5], 3, s[12:13]
	global_load_b64 v[6:7], v[6:7], off
	s_wait_loadcnt 0x0
	v_sub_nc_u64_e64 v[18:19], v[6:7], s[10:11]
.LBB136_2:
	s_or_b32 exec_lo, exec_lo, s15
	s_and_saveexec_b32 s15, s3
	s_cbranch_execz .LBB136_4
; %bb.3:
	v_lshl_add_u64 v[2:3], v[4:5], 3, s[12:13]
	global_load_b64 v[2:3], v[2:3], off offset:8
	s_wait_loadcnt 0x0
	v_sub_nc_u64_e64 v[2:3], v[2:3], s[10:11]
.LBB136_4:
	s_or_b32 exec_lo, exec_lo, s15
	s_load_b32 s12, s[0:1], 0x50
	v_mov_b64_e32 v[4:5], 0
	v_lshl_or_b32 v6, s14, 4, v32
	v_mov_b32_e32 v7, 0
	s_mov_b32 s3, exec_lo
	s_delay_alu instid0(VALU_DEP_1)
	v_cmpx_gt_i64_e64 s[4:5], v[6:7]
	s_cbranch_execz .LBB136_6
; %bb.5:
	s_load_b64 s[4:5], s[0:1], 0x60
	s_mov_b32 s13, 0
	s_wait_kmcnt 0x0
	v_lshl_add_u64 v[4:5], v[6:7], 3, s[4:5]
	global_load_b64 v[4:5], v[4:5], off
	s_wait_loadcnt 0x0
	v_sub_nc_u64_e64 v[4:5], v[4:5], s[12:13]
.LBB136_6:
	s_or_b32 exec_lo, exec_lo, s3
	v_cmp_lt_i64_e64 s3, s[6:7], 1
	s_and_b32 vcc_lo, exec_lo, s3
	s_cbranch_vccnz .LBB136_28
; %bb.7:
	v_dual_mov_b32 v6, 0 :: v_dual_bitop2_b32 v8, 3, v0 bitop3:0x40
	v_mul_u64_e32 v[12:13], s[8:9], v[10:11]
	v_mbcnt_lo_u32_b32 v7, -1, 0
	v_and_b32_e32 v0, 0x3f0, v0
	s_delay_alu instid0(VALU_DEP_4)
	v_dual_mov_b32 v9, v6 :: v_dual_lshlrev_b32 v1, 5, v10
	s_clause 0x3
	s_load_b64 s[20:21], s[0:1], 0x58
	s_load_b64 s[16:17], s[0:1], 0x48
	;; [unrolled: 1-line block ×3, first 2 shown]
	s_load_b32 s3, s[0:1], 0x0
	v_dual_lshlrev_b32 v20, 2, v7 :: v_dual_bitop2_b32 v16, 2, v7 bitop3:0x14
	v_mul_u64_e32 v[14:15], s[8:9], v[8:9]
	v_lshl_or_b32 v33, v0, 3, v1
	v_dual_mov_b32 v1, v6 :: v_dual_bitop2_b32 v21, 8, v7 bitop3:0x14
	v_dual_mov_b32 v11, v6 :: v_dual_bitop2_b32 v17, 1, v7 bitop3:0x14
	v_cmp_gt_i32_e32 vcc_lo, 32, v16
	s_load_b64 s[4:5], s[0:1], 0x68
	v_xor_b32_e32 v22, 4, v7
	s_wait_xcnt 0x0
	v_cmp_gt_i32_e64 s0, 32, v21
	v_dual_lshlrev_b32 v10, 3, v10 :: v_dual_lshlrev_b32 v0, 3, v8
	v_cndmask_b32_e32 v16, v7, v16, vcc_lo
	v_cmp_gt_i32_e32 vcc_lo, 32, v17
	s_delay_alu instid0(VALU_DEP_4) | instskip(SKIP_3) | instid1(VALU_DEP_3)
	v_dual_cndmask_b32 v21, v7, v21, s0 :: v_dual_bitop2_b32 v35, 12, v20 bitop3:0x54
	v_cmp_gt_i32_e64 s0, 32, v22
	v_dual_cndmask_b32 v17, v7, v17, vcc_lo :: v_dual_bitop2_b32 v34, v33, v0 bitop3:0x54
	v_cmp_gt_i64_e32 vcc_lo, s[8:9], v[8:9]
	v_dual_lshlrev_b32 v36, 2, v16 :: v_dual_cndmask_b32 v7, v7, v22, s0
	v_dual_lshlrev_b32 v38, 2, v21 :: v_dual_bitop2_b32 v40, 60, v20 bitop3:0x54
	s_wait_kmcnt 0x0
	v_lshl_add_u64 v[12:13], v[12:13], 3, s[20:21]
	s_delay_alu instid0(VALU_DEP_3) | instskip(SKIP_2) | instid1(VALU_DEP_3)
	v_dual_lshlrev_b32 v37, 2, v17 :: v_dual_lshlrev_b32 v39, 2, v7
	v_mov_b64_e32 v[16:17], 0
	s_and_b32 s24, s2, vcc_lo
	v_add_nc_u64_e32 v[0:1], v[12:13], v[0:1]
	v_mov_b64_e32 v[12:13], 0
	v_mov_b32_e32 v41, 1
	v_lshl_add_u64 v[14:15], v[14:15], 3, s[20:21]
	s_mov_b32 s1, 0
	s_cmp_lg_u32 s3, 0
	s_mul_u64 s[14:15], s[8:9], s[8:9]
	s_mov_b32 s11, s1
	v_add_nc_u64_e32 v[10:11], v[14:15], v[10:11]
	s_mov_b32 s13, s1
	s_cselect_b32 s25, -1, 0
	s_mov_b64 s[2:3], 0xffffffff
	s_ashr_i32 s20, s9, 31
	s_sub_co_i32 s26, 0, s8
	s_mov_b32 s27, 0
	s_branch .LBB136_10
.LBB136_8:                              ;   in Loop: Header=BB136_10 Depth=1
	s_wait_xcnt 0x0
	s_or_b32 exec_lo, exec_lo, s21
	s_wait_dscnt 0x0
	v_mov_b64_e32 v[20:21], 1
.LBB136_9:                              ;   in Loop: Header=BB136_10 Depth=1
	s_or_b32 exec_lo, exec_lo, s0
	ds_bpermute_b32 v16, v38, v14
	ds_bpermute_b32 v17, v38, v15
	v_add_nc_u64_e32 v[4:5], v[20:21], v[4:5]
	s_wait_storecnt_dscnt 0x0
	v_min_i64 v[14:15], v[16:17], v[14:15]
	ds_bpermute_b32 v16, v39, v14
	ds_bpermute_b32 v17, v39, v15
	s_wait_dscnt 0x0
	v_min_i64 v[14:15], v[16:17], v[14:15]
	ds_bpermute_b32 v16, v36, v14
	ds_bpermute_b32 v17, v36, v15
	s_wait_dscnt 0x0
	;; [unrolled: 4-line block ×4, first 2 shown]
	v_cmp_le_i64_e32 vcc_lo, s[6:7], v[16:17]
	s_or_b32 s27, vcc_lo, s27
	s_delay_alu instid0(SALU_CYCLE_1)
	s_and_not1_b32 exec_lo, exec_lo, s27
	s_cbranch_execz .LBB136_28
.LBB136_10:                             ; =>This Loop Header: Depth=1
                                        ;     Child Loop BB136_13 Depth 2
	v_add_nc_u64_e32 v[18:19], v[18:19], v[8:9]
	v_mov_b64_e32 v[14:15], s[6:7]
	v_mov_b64_e32 v[30:31], v[2:3]
	s_mov_b32 s28, exec_lo
	ds_store_b8 v32, v6 offset:2048
	ds_store_b64 v34, v[12:13]
	s_wait_dscnt 0x0
	v_cmpx_lt_i64_e64 v[18:19], v[2:3]
	s_cbranch_execz .LBB136_22
; %bb.11:                               ;   in Loop: Header=BB136_10 Depth=1
	v_mul_u64_e32 v[20:21], s[8:9], v[16:17]
	v_lshlrev_b64_e32 v[14:15], 3, v[18:19]
	v_mov_b64_e32 v[26:27], v[2:3]
	s_mov_b32 s29, 0
	s_delay_alu instid0(VALU_DEP_2)
	v_add_nc_u64_e32 v[22:23], s[18:19], v[14:15]
	v_add_nc_u64_e32 v[24:25], s[16:17], v[14:15]
	v_mov_b64_e32 v[14:15], s[6:7]
	s_branch .LBB136_13
.LBB136_12:                             ;   in Loop: Header=BB136_13 Depth=2
	s_wait_xcnt 0x0
	s_or_b32 exec_lo, exec_lo, s0
	v_add_nc_u64_e32 v[18:19], 4, v[18:19]
	s_xor_b32 s21, vcc_lo, -1
	v_add_nc_u64_e32 v[22:23], 32, v[22:23]
	v_add_nc_u64_e32 v[24:25], 32, v[24:25]
	v_mov_b64_e32 v[26:27], v[30:31]
	s_delay_alu instid0(VALU_DEP_4) | instskip(SKIP_1) | instid1(SALU_CYCLE_1)
	v_cmp_ge_i64_e64 s0, v[18:19], v[2:3]
	s_or_b32 s0, s21, s0
	s_and_b32 s0, exec_lo, s0
	s_delay_alu instid0(SALU_CYCLE_1) | instskip(NEXT) | instid1(SALU_CYCLE_1)
	s_or_b32 s29, s0, s29
	s_and_not1_b32 exec_lo, exec_lo, s29
	s_cbranch_execz .LBB136_21
.LBB136_13:                             ;   Parent Loop BB136_10 Depth=1
                                        ; =>  This Inner Loop Header: Depth=2
	global_load_b64 v[28:29], v[24:25], off
                                        ; implicit-def: $vgpr30_vgpr31
	s_mov_b32 s0, exec_lo
	s_wait_loadcnt 0x0
	v_sub_nc_u64_e64 v[28:29], v[28:29], s[10:11]
	s_delay_alu instid0(VALU_DEP_1) | instskip(SKIP_1) | instid1(VALU_DEP_1)
	v_or_b32_e32 v7, s9, v29
	s_wait_xcnt 0x0
	v_cmpx_ne_u64_e32 0, v[6:7]
	s_xor_b32 s30, exec_lo, s0
	s_cbranch_execz .LBB136_15
; %bb.14:                               ;   in Loop: Header=BB136_13 Depth=2
	s_mov_b32 s21, s20
	v_dual_mov_b32 v45, v6 :: v_dual_ashrrev_i32 v30, 31, v29
	s_add_nc_u64 s[22:23], s[8:9], s[20:21]
	v_mov_b32_e32 v49, v6
	s_xor_b64 s[22:23], s[22:23], s[20:21]
	s_delay_alu instid0(VALU_DEP_2)
	v_mov_b32_e32 v31, v30
	s_cvt_f32_u32 s0, s22
	s_cvt_f32_u32 s21, s23
	s_sub_nc_u64 s[36:37], 0, s[22:23]
	v_mov_b32_e32 v53, v6
	v_add_nc_u64_e32 v[42:43], v[28:29], v[30:31]
	s_fmamk_f32 s0, s21, 0x4f800000, s0
	s_delay_alu instid0(SALU_CYCLE_3) | instskip(NEXT) | instid1(VALU_DEP_1)
	v_s_rcp_f32 s0, s0
	v_xor_b32_e32 v48, v43, v30
	s_delay_alu instid0(VALU_DEP_2) | instskip(SKIP_1) | instid1(TRANS32_DEP_1)
	v_xor_b32_e32 v44, v42, v30
	v_xor_b32_e32 v30, s20, v30
	s_mul_f32 s0, s0, 0x5f7ffffc
	s_delay_alu instid0(SALU_CYCLE_3) | instskip(NEXT) | instid1(SALU_CYCLE_3)
	s_mul_f32 s21, s0, 0x2f800000
	s_trunc_f32 s21, s21
	s_delay_alu instid0(SALU_CYCLE_3) | instskip(SKIP_1) | instid1(SALU_CYCLE_2)
	s_fmamk_f32 s0, s21, 0xcf800000, s0
	s_cvt_u32_f32 s35, s21
	s_cvt_u32_f32 s34, s0
	s_delay_alu instid0(SALU_CYCLE_3) | instskip(NEXT) | instid1(SALU_CYCLE_1)
	s_mul_u64 s[38:39], s[36:37], s[34:35]
	s_mul_hi_u32 s41, s34, s39
	s_mul_i32 s40, s34, s39
	s_mul_hi_u32 s0, s34, s38
	s_mul_i32 s31, s35, s38
	s_add_nc_u64 s[40:41], s[0:1], s[40:41]
	s_mul_hi_u32 s21, s35, s38
	s_mul_hi_u32 s33, s35, s39
	s_add_co_u32 s0, s40, s31
	s_add_co_ci_u32 s0, s41, s21
	s_mul_i32 s38, s35, s39
	s_add_co_ci_u32 s39, s33, 0
	s_delay_alu instid0(SALU_CYCLE_1) | instskip(NEXT) | instid1(SALU_CYCLE_1)
	s_add_nc_u64 s[38:39], s[0:1], s[38:39]
	s_add_co_u32 s34, s34, s38
	s_cselect_b32 s0, -1, 0
	s_delay_alu instid0(SALU_CYCLE_1) | instskip(SKIP_1) | instid1(SALU_CYCLE_1)
	s_cmp_lg_u32 s0, 0
	s_add_co_ci_u32 s35, s35, s39
	s_mul_u64 s[36:37], s[36:37], s[34:35]
	s_delay_alu instid0(SALU_CYCLE_1)
	s_mul_hi_u32 s39, s34, s37
	s_mul_i32 s38, s34, s37
	s_mul_hi_u32 s0, s34, s36
	s_mul_i32 s31, s35, s36
	s_add_nc_u64 s[38:39], s[0:1], s[38:39]
	s_mul_hi_u32 s21, s35, s36
	s_mul_hi_u32 s33, s35, s37
	s_add_co_u32 s0, s38, s31
	s_add_co_ci_u32 s0, s39, s21
	s_mul_i32 s36, s35, s37
	s_add_co_ci_u32 s37, s33, 0
	s_delay_alu instid0(SALU_CYCLE_1) | instskip(NEXT) | instid1(SALU_CYCLE_1)
	s_add_nc_u64 s[36:37], s[0:1], s[36:37]
	s_add_co_u32 s34, s34, s36
	s_cselect_b32 s0, -1, 0
	v_mul_hi_u32 v52, v44, s34
	s_cmp_lg_u32 s0, 0
	s_add_co_ci_u32 s0, s35, s37
	s_and_b64 s[36:37], s[34:35], s[2:3]
	v_mul_u64_e32 v[46:47], s[0:1], v[44:45]
	v_mul_u64_e32 v[42:43], s[36:37], v[48:49]
	;; [unrolled: 1-line block ×3, first 2 shown]
	s_delay_alu instid0(VALU_DEP_3) | instskip(NEXT) | instid1(VALU_DEP_1)
	v_add_nc_u64_e32 v[46:47], v[52:53], v[46:47]
	v_add_co_u32 v7, vcc_lo, v46, v42
	s_delay_alu instid0(VALU_DEP_2) | instskip(NEXT) | instid1(VALU_DEP_4)
	v_add_co_ci_u32_e32 v52, vcc_lo, v47, v43, vcc_lo
	v_add_co_ci_u32_e32 v51, vcc_lo, 0, v51, vcc_lo
	s_delay_alu instid0(VALU_DEP_1) | instskip(NEXT) | instid1(VALU_DEP_1)
	v_add_nc_u64_e32 v[42:43], v[52:53], v[50:51]
	v_mul_u64_e32 v[46:47], s[22:23], v[42:43]
	s_delay_alu instid0(VALU_DEP_1) | instskip(NEXT) | instid1(VALU_DEP_2)
	v_sub_nc_u32_e32 v7, v48, v47
	v_sub_co_u32 v21, vcc_lo, v44, v46
	s_delay_alu instid0(VALU_DEP_1) | instskip(NEXT) | instid1(VALU_DEP_3)
	v_sub_co_ci_u32_e64 v31, null, v48, v47, vcc_lo
	v_subrev_co_ci_u32_e64 v7, null, s23, v7, vcc_lo
	s_delay_alu instid0(VALU_DEP_3) | instskip(SKIP_1) | instid1(VALU_DEP_3)
	v_sub_co_u32 v29, s0, v21, s22
	v_add_nc_u64_e32 v[46:47], 1, v[42:43]
	v_subrev_co_ci_u32_e64 v7, null, 0, v7, s0
	s_delay_alu instid0(VALU_DEP_3) | instskip(SKIP_1) | instid1(VALU_DEP_3)
	v_cmp_le_u32_e32 vcc_lo, s22, v29
	v_cndmask_b32_e64 v29, 0, -1, vcc_lo
	v_cmp_le_u32_e32 vcc_lo, s23, v7
	v_cndmask_b32_e64 v44, 0, -1, vcc_lo
	v_cmp_le_u32_e32 vcc_lo, s22, v21
	v_cndmask_b32_e64 v21, 0, -1, vcc_lo
	v_cmp_le_u32_e32 vcc_lo, s23, v31
	v_cndmask_b32_e64 v48, 0, -1, vcc_lo
	v_cmp_eq_u32_e32 vcc_lo, s23, v7
	v_cndmask_b32_e32 v7, v44, v29, vcc_lo
	v_cmp_eq_u32_e32 vcc_lo, s23, v31
	v_add_nc_u64_e32 v[44:45], 2, v[42:43]
	v_dual_mov_b32 v31, v30 :: v_dual_cndmask_b32 v21, v48, v21, vcc_lo
	s_delay_alu instid0(VALU_DEP_4) | instskip(NEXT) | instid1(VALU_DEP_2)
	v_cmp_ne_u32_e32 vcc_lo, 0, v7
	v_cmp_ne_u32_e64 s0, 0, v21
	s_delay_alu instid0(VALU_DEP_4) | instskip(NEXT) | instid1(VALU_DEP_1)
	v_dual_cndmask_b32 v7, v47, v45, vcc_lo :: v_dual_cndmask_b32 v21, v46, v44, vcc_lo
	v_dual_cndmask_b32 v7, v43, v7, s0 :: v_dual_cndmask_b32 v21, v42, v21, s0
	s_delay_alu instid0(VALU_DEP_1) | instskip(NEXT) | instid1(VALU_DEP_2)
	v_xor_b32_e32 v43, v7, v30
	v_xor_b32_e32 v42, v21, v30
	s_delay_alu instid0(VALU_DEP_1)
	v_sub_nc_u64_e32 v[30:31], v[42:43], v[30:31]
.LBB136_15:                             ;   in Loop: Header=BB136_13 Depth=2
	s_and_not1_saveexec_b32 s0, s30
	s_cbranch_execz .LBB136_17
; %bb.16:                               ;   in Loop: Header=BB136_13 Depth=2
	v_cvt_f32_u32_e32 v7, s8
	v_mov_b32_e32 v31, v6
	s_delay_alu instid0(VALU_DEP_2) | instskip(SKIP_1) | instid1(TRANS32_DEP_1)
	v_rcp_iflag_f32_e32 v7, v7
	v_nop
	v_mul_f32_e32 v7, 0x4f7ffffe, v7
	s_delay_alu instid0(VALU_DEP_1) | instskip(NEXT) | instid1(VALU_DEP_1)
	v_cvt_u32_f32_e32 v7, v7
	v_mul_lo_u32 v21, s26, v7
	s_delay_alu instid0(VALU_DEP_1) | instskip(NEXT) | instid1(VALU_DEP_1)
	v_mul_hi_u32 v21, v7, v21
	v_add_nc_u32_e32 v7, v7, v21
	s_delay_alu instid0(VALU_DEP_1) | instskip(NEXT) | instid1(VALU_DEP_1)
	v_mul_hi_u32 v7, v28, v7
	v_mul_lo_u32 v21, v7, s8
	s_delay_alu instid0(VALU_DEP_1) | instskip(NEXT) | instid1(VALU_DEP_1)
	v_sub_nc_u32_e32 v21, v28, v21
	v_subrev_nc_u32_e32 v30, s8, v21
	v_cmp_le_u32_e32 vcc_lo, s8, v21
	s_delay_alu instid0(VALU_DEP_2) | instskip(NEXT) | instid1(VALU_DEP_1)
	v_dual_add_nc_u32 v29, 1, v7 :: v_dual_cndmask_b32 v21, v21, v30, vcc_lo
	v_cndmask_b32_e32 v7, v7, v29, vcc_lo
	s_delay_alu instid0(VALU_DEP_2) | instskip(NEXT) | instid1(VALU_DEP_2)
	v_cmp_le_u32_e32 vcc_lo, s8, v21
	v_add_nc_u32_e32 v29, 1, v7
	s_delay_alu instid0(VALU_DEP_1)
	v_cndmask_b32_e32 v30, v7, v29, vcc_lo
.LBB136_17:                             ;   in Loop: Header=BB136_13 Depth=2
	s_or_b32 exec_lo, exec_lo, s0
	s_delay_alu instid0(VALU_DEP_1) | instskip(SKIP_2) | instid1(SALU_CYCLE_1)
	v_cmp_ne_u64_e64 s0, v[30:31], v[16:17]
	v_cmp_eq_u64_e32 vcc_lo, v[30:31], v[16:17]
	s_and_saveexec_b32 s21, s0
	s_xor_b32 s0, exec_lo, s21
; %bb.18:                               ;   in Loop: Header=BB136_13 Depth=2
	v_min_i64 v[14:15], v[30:31], v[14:15]
                                        ; implicit-def: $vgpr28_vgpr29
                                        ; implicit-def: $vgpr26_vgpr27
; %bb.19:                               ;   in Loop: Header=BB136_13 Depth=2
	s_or_saveexec_b32 s0, s0
	v_mov_b64_e32 v[30:31], v[18:19]
	s_xor_b32 exec_lo, exec_lo, s0
	s_cbranch_execz .LBB136_12
; %bb.20:                               ;   in Loop: Header=BB136_13 Depth=2
	global_load_b64 v[42:43], v[22:23], off
	v_sub_nc_u32_e32 v7, v28, v20
	v_mov_b64_e32 v[30:31], v[26:27]
	s_delay_alu instid0(VALU_DEP_2)
	v_lshl_add_u32 v7, v7, 3, v33
	ds_store_b8 v32, v41 offset:2048
	s_wait_loadcnt 0x0
	ds_store_b64 v7, v[42:43]
	s_branch .LBB136_12
.LBB136_21:                             ;   in Loop: Header=BB136_10 Depth=1
	s_or_b32 exec_lo, exec_lo, s29
.LBB136_22:                             ;   in Loop: Header=BB136_10 Depth=1
	s_delay_alu instid0(SALU_CYCLE_1)
	s_or_b32 exec_lo, exec_lo, s28
	ds_bpermute_b32 v18, v36, v30
	ds_bpermute_b32 v19, v36, v31
	s_wait_dscnt 0x0
	ds_load_u8 v7, v32 offset:2048
	s_mov_b32 s0, exec_lo
	v_min_i64 v[18:19], v[18:19], v[30:31]
	s_wait_dscnt 0x0
	v_and_b32_e32 v7, 1, v7
	ds_bpermute_b32 v20, v37, v18
	ds_bpermute_b32 v21, v37, v19
	s_wait_dscnt 0x0
	v_min_i64 v[18:19], v[20:21], v[18:19]
	v_mov_b64_e32 v[20:21], 0
	ds_bpermute_b32 v18, v35, v18
	ds_bpermute_b32 v19, v35, v19
	v_cmpx_eq_u32_e32 1, v7
	s_cbranch_execz .LBB136_9
; %bb.23:                               ;   in Loop: Header=BB136_10 Depth=1
	v_add_nc_u64_e32 v[16:17], s[12:13], v[16:17]
	v_lshl_add_u64 v[20:21], v[4:5], 3, s[4:5]
	global_store_b64 v[20:21], v[16:17], off
	s_wait_xcnt 0x0
	s_and_saveexec_b32 s21, s24
	s_cbranch_execz .LBB136_8
; %bb.24:                               ;   in Loop: Header=BB136_10 Depth=1
	v_mul_u64_e32 v[16:17], s[14:15], v[4:5]
	ds_load_b64 v[20:21], v34
	s_and_b32 vcc_lo, exec_lo, s25
	s_cbranch_vccz .LBB136_26
; %bb.25:                               ;   in Loop: Header=BB136_10 Depth=1
	v_lshl_add_u64 v[22:23], v[16:17], 3, v[10:11]
	s_wait_dscnt 0x0
	global_store_b64 v[22:23], v[20:21], off
	s_cbranch_execnz .LBB136_8
	s_branch .LBB136_27
.LBB136_26:                             ;   in Loop: Header=BB136_10 Depth=1
.LBB136_27:                             ;   in Loop: Header=BB136_10 Depth=1
	v_lshl_add_u64 v[16:17], v[16:17], 3, v[0:1]
	s_wait_dscnt 0x0
	global_store_b64 v[16:17], v[20:21], off
	s_branch .LBB136_8
.LBB136_28:
	s_endpgm
	.section	.rodata,"a",@progbits
	.p2align	6, 0x0
	.amdhsa_kernel _ZN9rocsparseL42csr2bsr_wavefront_per_row_multipass_kernelILj256ELj16ELj4EdllEEv20rocsparse_direction_T4_S2_S2_S2_S2_21rocsparse_index_base_PKT2_PKT3_PKS2_S3_PS4_PS7_PS2_
		.amdhsa_group_segment_fixed_size 2064
		.amdhsa_private_segment_fixed_size 0
		.amdhsa_kernarg_size 112
		.amdhsa_user_sgpr_count 2
		.amdhsa_user_sgpr_dispatch_ptr 0
		.amdhsa_user_sgpr_queue_ptr 0
		.amdhsa_user_sgpr_kernarg_segment_ptr 1
		.amdhsa_user_sgpr_dispatch_id 0
		.amdhsa_user_sgpr_kernarg_preload_length 0
		.amdhsa_user_sgpr_kernarg_preload_offset 0
		.amdhsa_user_sgpr_private_segment_size 0
		.amdhsa_wavefront_size32 1
		.amdhsa_uses_dynamic_stack 0
		.amdhsa_enable_private_segment 0
		.amdhsa_system_sgpr_workgroup_id_x 1
		.amdhsa_system_sgpr_workgroup_id_y 0
		.amdhsa_system_sgpr_workgroup_id_z 0
		.amdhsa_system_sgpr_workgroup_info 0
		.amdhsa_system_vgpr_workitem_id 0
		.amdhsa_next_free_vgpr 54
		.amdhsa_next_free_sgpr 42
		.amdhsa_named_barrier_count 0
		.amdhsa_reserve_vcc 1
		.amdhsa_float_round_mode_32 0
		.amdhsa_float_round_mode_16_64 0
		.amdhsa_float_denorm_mode_32 3
		.amdhsa_float_denorm_mode_16_64 3
		.amdhsa_fp16_overflow 0
		.amdhsa_memory_ordered 1
		.amdhsa_forward_progress 1
		.amdhsa_inst_pref_size 17
		.amdhsa_round_robin_scheduling 0
		.amdhsa_exception_fp_ieee_invalid_op 0
		.amdhsa_exception_fp_denorm_src 0
		.amdhsa_exception_fp_ieee_div_zero 0
		.amdhsa_exception_fp_ieee_overflow 0
		.amdhsa_exception_fp_ieee_underflow 0
		.amdhsa_exception_fp_ieee_inexact 0
		.amdhsa_exception_int_div_zero 0
	.end_amdhsa_kernel
	.section	.text._ZN9rocsparseL42csr2bsr_wavefront_per_row_multipass_kernelILj256ELj16ELj4EdllEEv20rocsparse_direction_T4_S2_S2_S2_S2_21rocsparse_index_base_PKT2_PKT3_PKS2_S3_PS4_PS7_PS2_,"axG",@progbits,_ZN9rocsparseL42csr2bsr_wavefront_per_row_multipass_kernelILj256ELj16ELj4EdllEEv20rocsparse_direction_T4_S2_S2_S2_S2_21rocsparse_index_base_PKT2_PKT3_PKS2_S3_PS4_PS7_PS2_,comdat
.Lfunc_end136:
	.size	_ZN9rocsparseL42csr2bsr_wavefront_per_row_multipass_kernelILj256ELj16ELj4EdllEEv20rocsparse_direction_T4_S2_S2_S2_S2_21rocsparse_index_base_PKT2_PKT3_PKS2_S3_PS4_PS7_PS2_, .Lfunc_end136-_ZN9rocsparseL42csr2bsr_wavefront_per_row_multipass_kernelILj256ELj16ELj4EdllEEv20rocsparse_direction_T4_S2_S2_S2_S2_21rocsparse_index_base_PKT2_PKT3_PKS2_S3_PS4_PS7_PS2_
                                        ; -- End function
	.set _ZN9rocsparseL42csr2bsr_wavefront_per_row_multipass_kernelILj256ELj16ELj4EdllEEv20rocsparse_direction_T4_S2_S2_S2_S2_21rocsparse_index_base_PKT2_PKT3_PKS2_S3_PS4_PS7_PS2_.num_vgpr, 54
	.set _ZN9rocsparseL42csr2bsr_wavefront_per_row_multipass_kernelILj256ELj16ELj4EdllEEv20rocsparse_direction_T4_S2_S2_S2_S2_21rocsparse_index_base_PKT2_PKT3_PKS2_S3_PS4_PS7_PS2_.num_agpr, 0
	.set _ZN9rocsparseL42csr2bsr_wavefront_per_row_multipass_kernelILj256ELj16ELj4EdllEEv20rocsparse_direction_T4_S2_S2_S2_S2_21rocsparse_index_base_PKT2_PKT3_PKS2_S3_PS4_PS7_PS2_.numbered_sgpr, 42
	.set _ZN9rocsparseL42csr2bsr_wavefront_per_row_multipass_kernelILj256ELj16ELj4EdllEEv20rocsparse_direction_T4_S2_S2_S2_S2_21rocsparse_index_base_PKT2_PKT3_PKS2_S3_PS4_PS7_PS2_.num_named_barrier, 0
	.set _ZN9rocsparseL42csr2bsr_wavefront_per_row_multipass_kernelILj256ELj16ELj4EdllEEv20rocsparse_direction_T4_S2_S2_S2_S2_21rocsparse_index_base_PKT2_PKT3_PKS2_S3_PS4_PS7_PS2_.private_seg_size, 0
	.set _ZN9rocsparseL42csr2bsr_wavefront_per_row_multipass_kernelILj256ELj16ELj4EdllEEv20rocsparse_direction_T4_S2_S2_S2_S2_21rocsparse_index_base_PKT2_PKT3_PKS2_S3_PS4_PS7_PS2_.uses_vcc, 1
	.set _ZN9rocsparseL42csr2bsr_wavefront_per_row_multipass_kernelILj256ELj16ELj4EdllEEv20rocsparse_direction_T4_S2_S2_S2_S2_21rocsparse_index_base_PKT2_PKT3_PKS2_S3_PS4_PS7_PS2_.uses_flat_scratch, 0
	.set _ZN9rocsparseL42csr2bsr_wavefront_per_row_multipass_kernelILj256ELj16ELj4EdllEEv20rocsparse_direction_T4_S2_S2_S2_S2_21rocsparse_index_base_PKT2_PKT3_PKS2_S3_PS4_PS7_PS2_.has_dyn_sized_stack, 0
	.set _ZN9rocsparseL42csr2bsr_wavefront_per_row_multipass_kernelILj256ELj16ELj4EdllEEv20rocsparse_direction_T4_S2_S2_S2_S2_21rocsparse_index_base_PKT2_PKT3_PKS2_S3_PS4_PS7_PS2_.has_recursion, 0
	.set _ZN9rocsparseL42csr2bsr_wavefront_per_row_multipass_kernelILj256ELj16ELj4EdllEEv20rocsparse_direction_T4_S2_S2_S2_S2_21rocsparse_index_base_PKT2_PKT3_PKS2_S3_PS4_PS7_PS2_.has_indirect_call, 0
	.section	.AMDGPU.csdata,"",@progbits
; Kernel info:
; codeLenInByte = 2144
; TotalNumSgprs: 44
; NumVgprs: 54
; ScratchSize: 0
; MemoryBound: 0
; FloatMode: 240
; IeeeMode: 1
; LDSByteSize: 2064 bytes/workgroup (compile time only)
; SGPRBlocks: 0
; VGPRBlocks: 3
; NumSGPRsForWavesPerEU: 44
; NumVGPRsForWavesPerEU: 54
; NamedBarCnt: 0
; Occupancy: 16
; WaveLimiterHint : 0
; COMPUTE_PGM_RSRC2:SCRATCH_EN: 0
; COMPUTE_PGM_RSRC2:USER_SGPR: 2
; COMPUTE_PGM_RSRC2:TRAP_HANDLER: 0
; COMPUTE_PGM_RSRC2:TGID_X_EN: 1
; COMPUTE_PGM_RSRC2:TGID_Y_EN: 0
; COMPUTE_PGM_RSRC2:TGID_Z_EN: 0
; COMPUTE_PGM_RSRC2:TIDIG_COMP_CNT: 0
	.section	.text._ZN9rocsparseL42csr2bsr_wavefront_per_row_multipass_kernelILj256ELj64ELj8EdllEEv20rocsparse_direction_T4_S2_S2_S2_S2_21rocsparse_index_base_PKT2_PKT3_PKS2_S3_PS4_PS7_PS2_,"axG",@progbits,_ZN9rocsparseL42csr2bsr_wavefront_per_row_multipass_kernelILj256ELj64ELj8EdllEEv20rocsparse_direction_T4_S2_S2_S2_S2_21rocsparse_index_base_PKT2_PKT3_PKS2_S3_PS4_PS7_PS2_,comdat
	.globl	_ZN9rocsparseL42csr2bsr_wavefront_per_row_multipass_kernelILj256ELj64ELj8EdllEEv20rocsparse_direction_T4_S2_S2_S2_S2_21rocsparse_index_base_PKT2_PKT3_PKS2_S3_PS4_PS7_PS2_ ; -- Begin function _ZN9rocsparseL42csr2bsr_wavefront_per_row_multipass_kernelILj256ELj64ELj8EdllEEv20rocsparse_direction_T4_S2_S2_S2_S2_21rocsparse_index_base_PKT2_PKT3_PKS2_S3_PS4_PS7_PS2_
	.p2align	8
	.type	_ZN9rocsparseL42csr2bsr_wavefront_per_row_multipass_kernelILj256ELj64ELj8EdllEEv20rocsparse_direction_T4_S2_S2_S2_S2_21rocsparse_index_base_PKT2_PKT3_PKS2_S3_PS4_PS7_PS2_,@function
_ZN9rocsparseL42csr2bsr_wavefront_per_row_multipass_kernelILj256ELj64ELj8EdllEEv20rocsparse_direction_T4_S2_S2_S2_S2_21rocsparse_index_base_PKT2_PKT3_PKS2_S3_PS4_PS7_PS2_: ; @_ZN9rocsparseL42csr2bsr_wavefront_per_row_multipass_kernelILj256ELj64ELj8EdllEEv20rocsparse_direction_T4_S2_S2_S2_S2_21rocsparse_index_base_PKT2_PKT3_PKS2_S3_PS4_PS7_PS2_
; %bb.0:
	s_bfe_u32 s2, ttmp6, 0x4000c
	s_clause 0x1
	s_load_b96 s[8:10], s[0:1], 0x28
	s_load_b64 s[12:13], s[0:1], 0x40
	s_add_co_i32 s2, s2, 1
	s_and_b32 s3, ttmp6, 15
	s_mul_i32 s2, ttmp9, s2
	s_getreg_b32 s4, hwreg(HW_REG_IB_STS2, 6, 4)
	s_add_co_i32 s3, s3, s2
	s_cmp_eq_u32 s4, 0
	v_dual_mov_b32 v11, 0 :: v_dual_lshrrev_b32 v32, 6, v0
	s_cselect_b32 s14, ttmp9, s3
	v_bfe_u32 v10, v0, 3, 3
	s_ashr_i32 s15, s14, 31
	v_mov_b64_e32 v[18:19], 0
	s_lshl_b64 s[2:3], s[14:15], 2
	s_mov_b32 s11, 0
	v_or_b32_e32 v1, s2, v32
	s_load_b128 s[4:7], s[0:1], 0x18
	s_wait_kmcnt 0x0
	s_delay_alu instid0(VALU_DEP_1) | instskip(NEXT) | instid1(VALU_DEP_1)
	v_mad_nc_u64_u32 v[4:5], v1, s8, v[10:11]
	v_mad_u32 v2, s3, s8, v5
	s_load_b64 s[2:3], s[0:1], 0x8
	s_delay_alu instid0(VALU_DEP_1) | instskip(SKIP_2) | instid1(VALU_DEP_2)
	v_mad_u32 v5, v1, s9, v2
	v_mov_b64_e32 v[2:3], 0
	s_wait_kmcnt 0x0
	v_cmp_gt_i64_e32 vcc_lo, s[2:3], v[4:5]
	v_cmp_gt_i64_e64 s2, s[8:9], v[10:11]
	s_and_b32 s3, s2, vcc_lo
	s_delay_alu instid0(SALU_CYCLE_1)
	s_and_saveexec_b32 s15, s3
	s_cbranch_execz .LBB137_2
; %bb.1:
	v_lshl_add_u64 v[6:7], v[4:5], 3, s[12:13]
	global_load_b64 v[6:7], v[6:7], off
	s_wait_loadcnt 0x0
	v_sub_nc_u64_e64 v[18:19], v[6:7], s[10:11]
.LBB137_2:
	s_or_b32 exec_lo, exec_lo, s15
	s_and_saveexec_b32 s15, s3
	s_cbranch_execz .LBB137_4
; %bb.3:
	v_lshl_add_u64 v[2:3], v[4:5], 3, s[12:13]
	global_load_b64 v[2:3], v[2:3], off offset:8
	s_wait_loadcnt 0x0
	v_sub_nc_u64_e64 v[2:3], v[2:3], s[10:11]
.LBB137_4:
	s_or_b32 exec_lo, exec_lo, s15
	s_load_b32 s12, s[0:1], 0x50
	v_mov_b64_e32 v[4:5], 0
	v_lshl_or_b32 v6, s14, 2, v32
	v_mov_b32_e32 v7, 0
	s_mov_b32 s3, exec_lo
	s_delay_alu instid0(VALU_DEP_1)
	v_cmpx_gt_i64_e64 s[4:5], v[6:7]
	s_cbranch_execz .LBB137_6
; %bb.5:
	s_load_b64 s[4:5], s[0:1], 0x60
	s_mov_b32 s13, 0
	s_wait_kmcnt 0x0
	v_lshl_add_u64 v[4:5], v[6:7], 3, s[4:5]
	global_load_b64 v[4:5], v[4:5], off
	s_wait_loadcnt 0x0
	v_sub_nc_u64_e64 v[4:5], v[4:5], s[12:13]
.LBB137_6:
	s_or_b32 exec_lo, exec_lo, s3
	v_cmp_lt_i64_e64 s3, s[6:7], 1
	s_and_b32 vcc_lo, exec_lo, s3
	s_cbranch_vccnz .LBB137_28
; %bb.7:
	v_dual_mov_b32 v6, 0 :: v_dual_bitop2_b32 v8, 7, v0 bitop3:0x40
	v_and_b32_e32 v1, 0x3c0, v0
	v_mbcnt_lo_u32_b32 v16, -1, 0
	v_mul_u64_e32 v[12:13], s[8:9], v[10:11]
	s_delay_alu instid0(VALU_DEP_4)
	v_dual_mov_b32 v9, v6 :: v_dual_lshlrev_b32 v7, 6, v10
	s_clause 0x4
	s_load_b64 s[4:5], s[0:1], 0x68
	s_load_b64 s[20:21], s[0:1], 0x58
	;; [unrolled: 1-line block ×4, first 2 shown]
	s_load_b32 s3, s[0:1], 0x0
	v_dual_lshlrev_b32 v0, 3, v10 :: v_dual_lshlrev_b32 v10, 3, v8
	v_lshl_or_b32 v33, v1, 3, v7
	v_dual_mov_b32 v1, v6 :: v_dual_bitop2_b32 v7, 4, v16 bitop3:0x14
	v_mul_u64_e32 v[14:15], s[8:9], v[8:9]
	v_lshl_or_b32 v34, v16, 2, 28
	v_bfrev_b32_e32 v42, 0.5
	s_delay_alu instid0(VALU_DEP_4)
	v_cmp_gt_i32_e32 vcc_lo, 32, v7
	v_xor_b32_e32 v11, 2, v16
	s_wait_xcnt 0x0
	s_mov_b32 s1, 0
	s_mul_u64 s[14:15], s[8:9], s[8:9]
	s_mov_b32 s11, s1
	v_cndmask_b32_e32 v7, v16, v7, vcc_lo
	v_cmp_gt_i32_e64 s0, 32, v11
	v_xor_b32_e32 v17, 1, v16
	v_cmp_gt_i64_e32 vcc_lo, s[8:9], v[8:9]
	s_delay_alu instid0(VALU_DEP_4) | instskip(NEXT) | instid1(VALU_DEP_4)
	v_dual_lshlrev_b32 v36, 2, v7 :: v_dual_bitop2_b32 v21, 16, v16 bitop3:0x14
	v_cndmask_b32_e64 v11, v16, v11, s0
	s_delay_alu instid0(VALU_DEP_4) | instskip(SKIP_4) | instid1(VALU_DEP_3)
	v_cmp_gt_i32_e64 s0, 32, v17
	v_or_b32_e32 v20, 32, v16
	v_or_b32_e32 v35, v33, v10
	s_and_b32 s24, s2, vcc_lo
	v_dual_lshlrev_b32 v37, 2, v11 :: v_dual_cndmask_b32 v17, v16, v17, s0
	v_cmp_gt_i32_e32 vcc_lo, 32, v20
	s_wait_kmcnt 0x0
	v_lshl_add_u64 v[12:13], v[12:13], 3, s[20:21]
	v_mov_b32_e32 v11, v6
	s_cmp_lg_u32 s3, 0
	v_dual_cndmask_b32 v17, v16, v20 :: v_dual_lshlrev_b32 v38, 2, v17
	v_cmp_gt_i32_e32 vcc_lo, 32, v21
	v_xor_b32_e32 v7, 8, v16
	v_add_nc_u64_e32 v[10:11], v[12:13], v[10:11]
	v_mov_b64_e32 v[12:13], 0
	s_mov_b32 s13, s1
	v_cndmask_b32_e32 v20, v16, v21, vcc_lo
	v_cmp_gt_i32_e32 vcc_lo, 32, v7
	v_lshl_add_u64 v[14:15], v[14:15], 3, s[20:21]
	s_cselect_b32 s25, -1, 0
	s_delay_alu instid0(VALU_DEP_3) | instskip(SKIP_1) | instid1(VALU_DEP_3)
	v_dual_mov_b32 v43, 1 :: v_dual_lshlrev_b32 v40, 2, v20
	v_cndmask_b32_e32 v7, v16, v7, vcc_lo
	v_add_nc_u64_e32 v[0:1], v[14:15], v[0:1]
	v_lshlrev_b32_e32 v39, 2, v17
	v_mov_b64_e32 v[16:17], 0
	s_mov_b64 s[2:3], 0xffffffff
	v_lshlrev_b32_e32 v41, 2, v7
	s_ashr_i32 s20, s9, 31
	s_sub_co_i32 s26, 0, s8
	s_mov_b32 s27, 0
	s_branch .LBB137_10
.LBB137_8:                              ;   in Loop: Header=BB137_10 Depth=1
	s_wait_xcnt 0x0
	s_or_b32 exec_lo, exec_lo, s21
	s_wait_dscnt 0x0
	v_mov_b64_e32 v[20:21], 1
.LBB137_9:                              ;   in Loop: Header=BB137_10 Depth=1
	s_or_b32 exec_lo, exec_lo, s0
	ds_bpermute_b32 v16, v39, v14
	ds_bpermute_b32 v17, v39, v15
	v_add_nc_u64_e32 v[4:5], v[20:21], v[4:5]
	s_wait_storecnt_dscnt 0x0
	v_min_i64 v[14:15], v[16:17], v[14:15]
	ds_bpermute_b32 v16, v40, v14
	ds_bpermute_b32 v17, v40, v15
	s_wait_dscnt 0x0
	v_min_i64 v[14:15], v[16:17], v[14:15]
	ds_bpermute_b32 v16, v41, v14
	ds_bpermute_b32 v17, v41, v15
	s_wait_dscnt 0x0
	;; [unrolled: 4-line block ×6, first 2 shown]
	v_cmp_le_i64_e32 vcc_lo, s[6:7], v[16:17]
	s_or_b32 s27, vcc_lo, s27
	s_delay_alu instid0(SALU_CYCLE_1)
	s_and_not1_b32 exec_lo, exec_lo, s27
	s_cbranch_execz .LBB137_28
.LBB137_10:                             ; =>This Loop Header: Depth=1
                                        ;     Child Loop BB137_13 Depth 2
	v_add_nc_u64_e32 v[18:19], v[18:19], v[8:9]
	v_mov_b64_e32 v[14:15], s[6:7]
	v_mov_b64_e32 v[30:31], v[2:3]
	s_mov_b32 s28, exec_lo
	ds_store_b8 v32, v6 offset:2048
	ds_store_b64 v35, v[12:13]
	s_wait_dscnt 0x0
	v_cmpx_lt_i64_e64 v[18:19], v[2:3]
	s_cbranch_execz .LBB137_22
; %bb.11:                               ;   in Loop: Header=BB137_10 Depth=1
	v_mul_u64_e32 v[20:21], s[8:9], v[16:17]
	v_lshlrev_b64_e32 v[14:15], 3, v[18:19]
	v_mov_b64_e32 v[26:27], v[2:3]
	s_mov_b32 s29, 0
	s_delay_alu instid0(VALU_DEP_2)
	v_add_nc_u64_e32 v[22:23], s[18:19], v[14:15]
	v_add_nc_u64_e32 v[24:25], s[16:17], v[14:15]
	v_mov_b64_e32 v[14:15], s[6:7]
	s_branch .LBB137_13
.LBB137_12:                             ;   in Loop: Header=BB137_13 Depth=2
	s_wait_xcnt 0x0
	s_or_b32 exec_lo, exec_lo, s0
	v_add_nc_u64_e32 v[18:19], 8, v[18:19]
	s_xor_b32 s21, vcc_lo, -1
	v_add_nc_u64_e32 v[22:23], 64, v[22:23]
	v_add_nc_u64_e32 v[24:25], 64, v[24:25]
	v_mov_b64_e32 v[26:27], v[30:31]
	s_delay_alu instid0(VALU_DEP_4) | instskip(SKIP_1) | instid1(SALU_CYCLE_1)
	v_cmp_ge_i64_e64 s0, v[18:19], v[2:3]
	s_or_b32 s0, s21, s0
	s_and_b32 s0, exec_lo, s0
	s_delay_alu instid0(SALU_CYCLE_1) | instskip(NEXT) | instid1(SALU_CYCLE_1)
	s_or_b32 s29, s0, s29
	s_and_not1_b32 exec_lo, exec_lo, s29
	s_cbranch_execz .LBB137_21
.LBB137_13:                             ;   Parent Loop BB137_10 Depth=1
                                        ; =>  This Inner Loop Header: Depth=2
	global_load_b64 v[28:29], v[24:25], off
                                        ; implicit-def: $vgpr30_vgpr31
	s_mov_b32 s0, exec_lo
	s_wait_loadcnt 0x0
	v_sub_nc_u64_e64 v[28:29], v[28:29], s[10:11]
	s_delay_alu instid0(VALU_DEP_1) | instskip(SKIP_1) | instid1(VALU_DEP_1)
	v_or_b32_e32 v7, s9, v29
	s_wait_xcnt 0x0
	v_cmpx_ne_u64_e32 0, v[6:7]
	s_xor_b32 s30, exec_lo, s0
	s_cbranch_execz .LBB137_15
; %bb.14:                               ;   in Loop: Header=BB137_13 Depth=2
	s_mov_b32 s21, s20
	v_dual_mov_b32 v47, v6 :: v_dual_ashrrev_i32 v30, 31, v29
	s_add_nc_u64 s[22:23], s[8:9], s[20:21]
	v_mov_b32_e32 v55, v6
	s_xor_b64 s[22:23], s[22:23], s[20:21]
	s_delay_alu instid0(VALU_DEP_2) | instskip(SKIP_3) | instid1(VALU_DEP_1)
	v_mov_b32_e32 v31, v30
	s_cvt_f32_u32 s0, s22
	s_cvt_f32_u32 s21, s23
	s_sub_nc_u64 s[36:37], 0, s[22:23]
	v_add_nc_u64_e32 v[44:45], v[28:29], v[30:31]
	s_delay_alu instid0(SALU_CYCLE_1) | instskip(SKIP_1) | instid1(SALU_CYCLE_2)
	s_fmamk_f32 s0, s21, 0x4f800000, s0
	v_mov_b32_e32 v51, v6
	v_s_rcp_f32 s0, s0
	s_delay_alu instid0(VALU_DEP_2) | instskip(NEXT) | instid1(VALU_DEP_3)
	v_xor_b32_e32 v46, v44, v30
	v_xor_b32_e32 v50, v45, v30
	;; [unrolled: 1-line block ×3, first 2 shown]
	s_delay_alu instid0(TRANS32_DEP_1) | instskip(NEXT) | instid1(SALU_CYCLE_3)
	s_mul_f32 s0, s0, 0x5f7ffffc
	s_mul_f32 s21, s0, 0x2f800000
	s_delay_alu instid0(SALU_CYCLE_3) | instskip(NEXT) | instid1(SALU_CYCLE_3)
	s_trunc_f32 s21, s21
	s_fmamk_f32 s0, s21, 0xcf800000, s0
	s_cvt_u32_f32 s35, s21
	s_delay_alu instid0(SALU_CYCLE_2) | instskip(NEXT) | instid1(SALU_CYCLE_3)
	s_cvt_u32_f32 s34, s0
	s_mul_u64 s[38:39], s[36:37], s[34:35]
	s_delay_alu instid0(SALU_CYCLE_1)
	s_mul_hi_u32 s41, s34, s39
	s_mul_i32 s40, s34, s39
	s_mul_hi_u32 s0, s34, s38
	s_mul_i32 s31, s35, s38
	s_add_nc_u64 s[40:41], s[0:1], s[40:41]
	s_mul_hi_u32 s21, s35, s38
	s_mul_hi_u32 s33, s35, s39
	s_add_co_u32 s0, s40, s31
	s_add_co_ci_u32 s0, s41, s21
	s_mul_i32 s38, s35, s39
	s_add_co_ci_u32 s39, s33, 0
	s_delay_alu instid0(SALU_CYCLE_1) | instskip(NEXT) | instid1(SALU_CYCLE_1)
	s_add_nc_u64 s[38:39], s[0:1], s[38:39]
	s_add_co_u32 s34, s34, s38
	s_cselect_b32 s0, -1, 0
	s_delay_alu instid0(SALU_CYCLE_1) | instskip(SKIP_1) | instid1(SALU_CYCLE_1)
	s_cmp_lg_u32 s0, 0
	s_add_co_ci_u32 s35, s35, s39
	s_mul_u64 s[36:37], s[36:37], s[34:35]
	s_delay_alu instid0(SALU_CYCLE_1)
	s_mul_hi_u32 s39, s34, s37
	s_mul_i32 s38, s34, s37
	s_mul_hi_u32 s0, s34, s36
	s_mul_i32 s31, s35, s36
	s_add_nc_u64 s[38:39], s[0:1], s[38:39]
	s_mul_hi_u32 s21, s35, s36
	s_mul_hi_u32 s33, s35, s37
	s_add_co_u32 s0, s38, s31
	s_add_co_ci_u32 s0, s39, s21
	s_mul_i32 s36, s35, s37
	s_add_co_ci_u32 s37, s33, 0
	s_delay_alu instid0(SALU_CYCLE_1) | instskip(NEXT) | instid1(SALU_CYCLE_1)
	s_add_nc_u64 s[36:37], s[0:1], s[36:37]
	s_add_co_u32 s34, s34, s36
	s_cselect_b32 s0, -1, 0
	v_mul_hi_u32 v54, v46, s34
	s_cmp_lg_u32 s0, 0
	s_add_co_ci_u32 s0, s35, s37
	s_and_b64 s[36:37], s[34:35], s[2:3]
	v_mul_u64_e32 v[48:49], s[0:1], v[46:47]
	v_mul_u64_e32 v[44:45], s[36:37], v[50:51]
	;; [unrolled: 1-line block ×3, first 2 shown]
	s_delay_alu instid0(VALU_DEP_3) | instskip(NEXT) | instid1(VALU_DEP_1)
	v_add_nc_u64_e32 v[48:49], v[54:55], v[48:49]
	v_add_co_u32 v7, vcc_lo, v48, v44
	s_delay_alu instid0(VALU_DEP_2) | instskip(NEXT) | instid1(VALU_DEP_4)
	v_add_co_ci_u32_e32 v54, vcc_lo, v49, v45, vcc_lo
	v_add_co_ci_u32_e32 v53, vcc_lo, 0, v53, vcc_lo
	s_delay_alu instid0(VALU_DEP_1) | instskip(NEXT) | instid1(VALU_DEP_1)
	v_add_nc_u64_e32 v[44:45], v[54:55], v[52:53]
	v_mul_u64_e32 v[48:49], s[22:23], v[44:45]
	s_delay_alu instid0(VALU_DEP_1) | instskip(NEXT) | instid1(VALU_DEP_2)
	v_sub_nc_u32_e32 v7, v50, v49
	v_sub_co_u32 v21, vcc_lo, v46, v48
	s_delay_alu instid0(VALU_DEP_1) | instskip(NEXT) | instid1(VALU_DEP_3)
	v_sub_co_ci_u32_e64 v31, null, v50, v49, vcc_lo
	v_subrev_co_ci_u32_e64 v7, null, s23, v7, vcc_lo
	s_delay_alu instid0(VALU_DEP_3) | instskip(SKIP_1) | instid1(VALU_DEP_3)
	v_sub_co_u32 v29, s0, v21, s22
	v_add_nc_u64_e32 v[48:49], 1, v[44:45]
	v_subrev_co_ci_u32_e64 v7, null, 0, v7, s0
	s_delay_alu instid0(VALU_DEP_3) | instskip(SKIP_1) | instid1(VALU_DEP_3)
	v_cmp_le_u32_e32 vcc_lo, s22, v29
	v_cndmask_b32_e64 v29, 0, -1, vcc_lo
	v_cmp_le_u32_e32 vcc_lo, s23, v7
	v_cndmask_b32_e64 v46, 0, -1, vcc_lo
	;; [unrolled: 2-line block ×4, first 2 shown]
	v_cmp_eq_u32_e32 vcc_lo, s23, v7
	v_cndmask_b32_e32 v7, v46, v29, vcc_lo
	v_cmp_eq_u32_e32 vcc_lo, s23, v31
	v_add_nc_u64_e32 v[46:47], 2, v[44:45]
	v_mov_b32_e32 v31, v30
	v_cndmask_b32_e32 v21, v50, v21, vcc_lo
	v_cmp_ne_u32_e32 vcc_lo, 0, v7
	s_delay_alu instid0(VALU_DEP_2) | instskip(SKIP_1) | instid1(VALU_DEP_1)
	v_cmp_ne_u32_e64 s0, 0, v21
	v_dual_cndmask_b32 v7, v49, v47, vcc_lo :: v_dual_cndmask_b32 v21, v48, v46, vcc_lo
	v_dual_cndmask_b32 v7, v45, v7, s0 :: v_dual_cndmask_b32 v21, v44, v21, s0
	s_delay_alu instid0(VALU_DEP_1) | instskip(NEXT) | instid1(VALU_DEP_2)
	v_xor_b32_e32 v45, v7, v30
	v_xor_b32_e32 v44, v21, v30
	s_delay_alu instid0(VALU_DEP_1)
	v_sub_nc_u64_e32 v[30:31], v[44:45], v[30:31]
.LBB137_15:                             ;   in Loop: Header=BB137_13 Depth=2
	s_and_not1_saveexec_b32 s0, s30
	s_cbranch_execz .LBB137_17
; %bb.16:                               ;   in Loop: Header=BB137_13 Depth=2
	v_cvt_f32_u32_e32 v7, s8
	v_mov_b32_e32 v31, v6
	s_delay_alu instid0(VALU_DEP_2) | instskip(SKIP_1) | instid1(TRANS32_DEP_1)
	v_rcp_iflag_f32_e32 v7, v7
	v_nop
	v_mul_f32_e32 v7, 0x4f7ffffe, v7
	s_delay_alu instid0(VALU_DEP_1) | instskip(NEXT) | instid1(VALU_DEP_1)
	v_cvt_u32_f32_e32 v7, v7
	v_mul_lo_u32 v21, s26, v7
	s_delay_alu instid0(VALU_DEP_1) | instskip(NEXT) | instid1(VALU_DEP_1)
	v_mul_hi_u32 v21, v7, v21
	v_add_nc_u32_e32 v7, v7, v21
	s_delay_alu instid0(VALU_DEP_1) | instskip(NEXT) | instid1(VALU_DEP_1)
	v_mul_hi_u32 v7, v28, v7
	v_mul_lo_u32 v21, v7, s8
	s_delay_alu instid0(VALU_DEP_1) | instskip(NEXT) | instid1(VALU_DEP_1)
	v_sub_nc_u32_e32 v21, v28, v21
	v_subrev_nc_u32_e32 v30, s8, v21
	v_cmp_le_u32_e32 vcc_lo, s8, v21
	s_delay_alu instid0(VALU_DEP_2) | instskip(NEXT) | instid1(VALU_DEP_1)
	v_dual_add_nc_u32 v29, 1, v7 :: v_dual_cndmask_b32 v21, v21, v30, vcc_lo
	v_cndmask_b32_e32 v7, v7, v29, vcc_lo
	s_delay_alu instid0(VALU_DEP_2) | instskip(NEXT) | instid1(VALU_DEP_2)
	v_cmp_le_u32_e32 vcc_lo, s8, v21
	v_add_nc_u32_e32 v29, 1, v7
	s_delay_alu instid0(VALU_DEP_1)
	v_cndmask_b32_e32 v30, v7, v29, vcc_lo
.LBB137_17:                             ;   in Loop: Header=BB137_13 Depth=2
	s_or_b32 exec_lo, exec_lo, s0
	s_delay_alu instid0(VALU_DEP_1) | instskip(SKIP_2) | instid1(SALU_CYCLE_1)
	v_cmp_ne_u64_e64 s0, v[30:31], v[16:17]
	v_cmp_eq_u64_e32 vcc_lo, v[30:31], v[16:17]
	s_and_saveexec_b32 s21, s0
	s_xor_b32 s0, exec_lo, s21
; %bb.18:                               ;   in Loop: Header=BB137_13 Depth=2
	v_min_i64 v[14:15], v[30:31], v[14:15]
                                        ; implicit-def: $vgpr28_vgpr29
                                        ; implicit-def: $vgpr26_vgpr27
; %bb.19:                               ;   in Loop: Header=BB137_13 Depth=2
	s_or_saveexec_b32 s0, s0
	v_mov_b64_e32 v[30:31], v[18:19]
	s_xor_b32 exec_lo, exec_lo, s0
	s_cbranch_execz .LBB137_12
; %bb.20:                               ;   in Loop: Header=BB137_13 Depth=2
	global_load_b64 v[44:45], v[22:23], off
	v_sub_nc_u32_e32 v7, v28, v20
	v_mov_b64_e32 v[30:31], v[26:27]
	s_delay_alu instid0(VALU_DEP_2)
	v_lshl_add_u32 v7, v7, 3, v33
	ds_store_b8 v32, v43 offset:2048
	s_wait_loadcnt 0x0
	ds_store_b64 v7, v[44:45]
	s_branch .LBB137_12
.LBB137_21:                             ;   in Loop: Header=BB137_10 Depth=1
	s_or_b32 exec_lo, exec_lo, s29
.LBB137_22:                             ;   in Loop: Header=BB137_10 Depth=1
	s_delay_alu instid0(SALU_CYCLE_1)
	s_or_b32 exec_lo, exec_lo, s28
	ds_bpermute_b32 v18, v36, v30
	ds_bpermute_b32 v19, v36, v31
	s_wait_dscnt 0x0
	ds_load_u8 v7, v32 offset:2048
	s_mov_b32 s0, exec_lo
	v_min_i64 v[18:19], v[18:19], v[30:31]
	s_wait_dscnt 0x0
	v_and_b32_e32 v7, 1, v7
	ds_bpermute_b32 v20, v37, v18
	ds_bpermute_b32 v21, v37, v19
	s_wait_dscnt 0x0
	v_min_i64 v[18:19], v[20:21], v[18:19]
	ds_bpermute_b32 v20, v38, v18
	ds_bpermute_b32 v21, v38, v19
	s_wait_dscnt 0x0
	v_min_i64 v[18:19], v[20:21], v[18:19]
	v_mov_b64_e32 v[20:21], 0
	ds_bpermute_b32 v18, v34, v18
	ds_bpermute_b32 v19, v34, v19
	v_cmpx_eq_u32_e32 1, v7
	s_cbranch_execz .LBB137_9
; %bb.23:                               ;   in Loop: Header=BB137_10 Depth=1
	v_add_nc_u64_e32 v[16:17], s[12:13], v[16:17]
	v_lshl_add_u64 v[20:21], v[4:5], 3, s[4:5]
	global_store_b64 v[20:21], v[16:17], off
	s_wait_xcnt 0x0
	s_and_saveexec_b32 s21, s24
	s_cbranch_execz .LBB137_8
; %bb.24:                               ;   in Loop: Header=BB137_10 Depth=1
	v_mul_u64_e32 v[16:17], s[14:15], v[4:5]
	ds_load_b64 v[20:21], v35
	s_and_b32 vcc_lo, exec_lo, s25
	s_cbranch_vccz .LBB137_26
; %bb.25:                               ;   in Loop: Header=BB137_10 Depth=1
	v_lshl_add_u64 v[22:23], v[16:17], 3, v[0:1]
	s_wait_dscnt 0x0
	global_store_b64 v[22:23], v[20:21], off
	s_cbranch_execnz .LBB137_8
	s_branch .LBB137_27
.LBB137_26:                             ;   in Loop: Header=BB137_10 Depth=1
.LBB137_27:                             ;   in Loop: Header=BB137_10 Depth=1
	v_lshl_add_u64 v[16:17], v[16:17], 3, v[10:11]
	s_wait_dscnt 0x0
	global_store_b64 v[16:17], v[20:21], off
	s_branch .LBB137_8
.LBB137_28:
	s_endpgm
	.section	.rodata,"a",@progbits
	.p2align	6, 0x0
	.amdhsa_kernel _ZN9rocsparseL42csr2bsr_wavefront_per_row_multipass_kernelILj256ELj64ELj8EdllEEv20rocsparse_direction_T4_S2_S2_S2_S2_21rocsparse_index_base_PKT2_PKT3_PKS2_S3_PS4_PS7_PS2_
		.amdhsa_group_segment_fixed_size 2056
		.amdhsa_private_segment_fixed_size 0
		.amdhsa_kernarg_size 112
		.amdhsa_user_sgpr_count 2
		.amdhsa_user_sgpr_dispatch_ptr 0
		.amdhsa_user_sgpr_queue_ptr 0
		.amdhsa_user_sgpr_kernarg_segment_ptr 1
		.amdhsa_user_sgpr_dispatch_id 0
		.amdhsa_user_sgpr_kernarg_preload_length 0
		.amdhsa_user_sgpr_kernarg_preload_offset 0
		.amdhsa_user_sgpr_private_segment_size 0
		.amdhsa_wavefront_size32 1
		.amdhsa_uses_dynamic_stack 0
		.amdhsa_enable_private_segment 0
		.amdhsa_system_sgpr_workgroup_id_x 1
		.amdhsa_system_sgpr_workgroup_id_y 0
		.amdhsa_system_sgpr_workgroup_id_z 0
		.amdhsa_system_sgpr_workgroup_info 0
		.amdhsa_system_vgpr_workitem_id 0
		.amdhsa_next_free_vgpr 56
		.amdhsa_next_free_sgpr 42
		.amdhsa_named_barrier_count 0
		.amdhsa_reserve_vcc 1
		.amdhsa_float_round_mode_32 0
		.amdhsa_float_round_mode_16_64 0
		.amdhsa_float_denorm_mode_32 3
		.amdhsa_float_denorm_mode_16_64 3
		.amdhsa_fp16_overflow 0
		.amdhsa_memory_ordered 1
		.amdhsa_forward_progress 1
		.amdhsa_inst_pref_size 18
		.amdhsa_round_robin_scheduling 0
		.amdhsa_exception_fp_ieee_invalid_op 0
		.amdhsa_exception_fp_denorm_src 0
		.amdhsa_exception_fp_ieee_div_zero 0
		.amdhsa_exception_fp_ieee_overflow 0
		.amdhsa_exception_fp_ieee_underflow 0
		.amdhsa_exception_fp_ieee_inexact 0
		.amdhsa_exception_int_div_zero 0
	.end_amdhsa_kernel
	.section	.text._ZN9rocsparseL42csr2bsr_wavefront_per_row_multipass_kernelILj256ELj64ELj8EdllEEv20rocsparse_direction_T4_S2_S2_S2_S2_21rocsparse_index_base_PKT2_PKT3_PKS2_S3_PS4_PS7_PS2_,"axG",@progbits,_ZN9rocsparseL42csr2bsr_wavefront_per_row_multipass_kernelILj256ELj64ELj8EdllEEv20rocsparse_direction_T4_S2_S2_S2_S2_21rocsparse_index_base_PKT2_PKT3_PKS2_S3_PS4_PS7_PS2_,comdat
.Lfunc_end137:
	.size	_ZN9rocsparseL42csr2bsr_wavefront_per_row_multipass_kernelILj256ELj64ELj8EdllEEv20rocsparse_direction_T4_S2_S2_S2_S2_21rocsparse_index_base_PKT2_PKT3_PKS2_S3_PS4_PS7_PS2_, .Lfunc_end137-_ZN9rocsparseL42csr2bsr_wavefront_per_row_multipass_kernelILj256ELj64ELj8EdllEEv20rocsparse_direction_T4_S2_S2_S2_S2_21rocsparse_index_base_PKT2_PKT3_PKS2_S3_PS4_PS7_PS2_
                                        ; -- End function
	.set _ZN9rocsparseL42csr2bsr_wavefront_per_row_multipass_kernelILj256ELj64ELj8EdllEEv20rocsparse_direction_T4_S2_S2_S2_S2_21rocsparse_index_base_PKT2_PKT3_PKS2_S3_PS4_PS7_PS2_.num_vgpr, 56
	.set _ZN9rocsparseL42csr2bsr_wavefront_per_row_multipass_kernelILj256ELj64ELj8EdllEEv20rocsparse_direction_T4_S2_S2_S2_S2_21rocsparse_index_base_PKT2_PKT3_PKS2_S3_PS4_PS7_PS2_.num_agpr, 0
	.set _ZN9rocsparseL42csr2bsr_wavefront_per_row_multipass_kernelILj256ELj64ELj8EdllEEv20rocsparse_direction_T4_S2_S2_S2_S2_21rocsparse_index_base_PKT2_PKT3_PKS2_S3_PS4_PS7_PS2_.numbered_sgpr, 42
	.set _ZN9rocsparseL42csr2bsr_wavefront_per_row_multipass_kernelILj256ELj64ELj8EdllEEv20rocsparse_direction_T4_S2_S2_S2_S2_21rocsparse_index_base_PKT2_PKT3_PKS2_S3_PS4_PS7_PS2_.num_named_barrier, 0
	.set _ZN9rocsparseL42csr2bsr_wavefront_per_row_multipass_kernelILj256ELj64ELj8EdllEEv20rocsparse_direction_T4_S2_S2_S2_S2_21rocsparse_index_base_PKT2_PKT3_PKS2_S3_PS4_PS7_PS2_.private_seg_size, 0
	.set _ZN9rocsparseL42csr2bsr_wavefront_per_row_multipass_kernelILj256ELj64ELj8EdllEEv20rocsparse_direction_T4_S2_S2_S2_S2_21rocsparse_index_base_PKT2_PKT3_PKS2_S3_PS4_PS7_PS2_.uses_vcc, 1
	.set _ZN9rocsparseL42csr2bsr_wavefront_per_row_multipass_kernelILj256ELj64ELj8EdllEEv20rocsparse_direction_T4_S2_S2_S2_S2_21rocsparse_index_base_PKT2_PKT3_PKS2_S3_PS4_PS7_PS2_.uses_flat_scratch, 0
	.set _ZN9rocsparseL42csr2bsr_wavefront_per_row_multipass_kernelILj256ELj64ELj8EdllEEv20rocsparse_direction_T4_S2_S2_S2_S2_21rocsparse_index_base_PKT2_PKT3_PKS2_S3_PS4_PS7_PS2_.has_dyn_sized_stack, 0
	.set _ZN9rocsparseL42csr2bsr_wavefront_per_row_multipass_kernelILj256ELj64ELj8EdllEEv20rocsparse_direction_T4_S2_S2_S2_S2_21rocsparse_index_base_PKT2_PKT3_PKS2_S3_PS4_PS7_PS2_.has_recursion, 0
	.set _ZN9rocsparseL42csr2bsr_wavefront_per_row_multipass_kernelILj256ELj64ELj8EdllEEv20rocsparse_direction_T4_S2_S2_S2_S2_21rocsparse_index_base_PKT2_PKT3_PKS2_S3_PS4_PS7_PS2_.has_indirect_call, 0
	.section	.AMDGPU.csdata,"",@progbits
; Kernel info:
; codeLenInByte = 2248
; TotalNumSgprs: 44
; NumVgprs: 56
; ScratchSize: 0
; MemoryBound: 0
; FloatMode: 240
; IeeeMode: 1
; LDSByteSize: 2056 bytes/workgroup (compile time only)
; SGPRBlocks: 0
; VGPRBlocks: 3
; NumSGPRsForWavesPerEU: 44
; NumVGPRsForWavesPerEU: 56
; NamedBarCnt: 0
; Occupancy: 16
; WaveLimiterHint : 0
; COMPUTE_PGM_RSRC2:SCRATCH_EN: 0
; COMPUTE_PGM_RSRC2:USER_SGPR: 2
; COMPUTE_PGM_RSRC2:TRAP_HANDLER: 0
; COMPUTE_PGM_RSRC2:TGID_X_EN: 1
; COMPUTE_PGM_RSRC2:TGID_Y_EN: 0
; COMPUTE_PGM_RSRC2:TGID_Z_EN: 0
; COMPUTE_PGM_RSRC2:TIDIG_COMP_CNT: 0
	.section	.text._ZN9rocsparseL42csr2bsr_wavefront_per_row_multipass_kernelILj256ELj32ELj8EdllEEv20rocsparse_direction_T4_S2_S2_S2_S2_21rocsparse_index_base_PKT2_PKT3_PKS2_S3_PS4_PS7_PS2_,"axG",@progbits,_ZN9rocsparseL42csr2bsr_wavefront_per_row_multipass_kernelILj256ELj32ELj8EdllEEv20rocsparse_direction_T4_S2_S2_S2_S2_21rocsparse_index_base_PKT2_PKT3_PKS2_S3_PS4_PS7_PS2_,comdat
	.globl	_ZN9rocsparseL42csr2bsr_wavefront_per_row_multipass_kernelILj256ELj32ELj8EdllEEv20rocsparse_direction_T4_S2_S2_S2_S2_21rocsparse_index_base_PKT2_PKT3_PKS2_S3_PS4_PS7_PS2_ ; -- Begin function _ZN9rocsparseL42csr2bsr_wavefront_per_row_multipass_kernelILj256ELj32ELj8EdllEEv20rocsparse_direction_T4_S2_S2_S2_S2_21rocsparse_index_base_PKT2_PKT3_PKS2_S3_PS4_PS7_PS2_
	.p2align	8
	.type	_ZN9rocsparseL42csr2bsr_wavefront_per_row_multipass_kernelILj256ELj32ELj8EdllEEv20rocsparse_direction_T4_S2_S2_S2_S2_21rocsparse_index_base_PKT2_PKT3_PKS2_S3_PS4_PS7_PS2_,@function
_ZN9rocsparseL42csr2bsr_wavefront_per_row_multipass_kernelILj256ELj32ELj8EdllEEv20rocsparse_direction_T4_S2_S2_S2_S2_21rocsparse_index_base_PKT2_PKT3_PKS2_S3_PS4_PS7_PS2_: ; @_ZN9rocsparseL42csr2bsr_wavefront_per_row_multipass_kernelILj256ELj32ELj8EdllEEv20rocsparse_direction_T4_S2_S2_S2_S2_21rocsparse_index_base_PKT2_PKT3_PKS2_S3_PS4_PS7_PS2_
; %bb.0:
	s_bfe_u32 s2, ttmp6, 0x4000c
	s_clause 0x1
	s_load_b96 s[8:10], s[0:1], 0x28
	s_load_b64 s[12:13], s[0:1], 0x40
	s_add_co_i32 s2, s2, 1
	s_and_b32 s3, ttmp6, 15
	s_mul_i32 s2, ttmp9, s2
	s_getreg_b32 s4, hwreg(HW_REG_IB_STS2, 6, 4)
	s_add_co_i32 s3, s3, s2
	s_cmp_eq_u32 s4, 0
	v_dual_mov_b32 v9, 0 :: v_dual_lshrrev_b32 v36, 5, v0
	s_cselect_b32 s14, ttmp9, s3
	v_bfe_u32 v8, v0, 2, 3
	s_ashr_i32 s15, s14, 31
	v_mov_b64_e32 v[22:23], 0
	s_lshl_b64 s[2:3], s[14:15], 3
	s_mov_b32 s11, 0
	v_or_b32_e32 v1, s2, v36
	s_load_b128 s[4:7], s[0:1], 0x18
	s_wait_kmcnt 0x0
	s_delay_alu instid0(VALU_DEP_1) | instskip(NEXT) | instid1(VALU_DEP_1)
	v_mad_nc_u64_u32 v[4:5], v1, s8, v[8:9]
	v_mad_u32 v2, s3, s8, v5
	s_load_b64 s[2:3], s[0:1], 0x8
	s_delay_alu instid0(VALU_DEP_1) | instskip(SKIP_2) | instid1(VALU_DEP_2)
	v_mad_u32 v5, v1, s9, v2
	v_mov_b64_e32 v[2:3], 0
	s_wait_kmcnt 0x0
	v_cmp_gt_i64_e32 vcc_lo, s[2:3], v[4:5]
	v_cmp_gt_i64_e64 s2, s[8:9], v[8:9]
	s_and_b32 s3, s2, vcc_lo
	s_delay_alu instid0(SALU_CYCLE_1)
	s_and_saveexec_b32 s15, s3
	s_cbranch_execz .LBB138_2
; %bb.1:
	v_lshl_add_u64 v[6:7], v[4:5], 3, s[12:13]
	global_load_b64 v[6:7], v[6:7], off
	s_wait_loadcnt 0x0
	v_sub_nc_u64_e64 v[22:23], v[6:7], s[10:11]
.LBB138_2:
	s_or_b32 exec_lo, exec_lo, s15
	s_and_saveexec_b32 s15, s3
	s_cbranch_execz .LBB138_4
; %bb.3:
	v_lshl_add_u64 v[2:3], v[4:5], 3, s[12:13]
	global_load_b64 v[2:3], v[2:3], off offset:8
	s_wait_loadcnt 0x0
	v_sub_nc_u64_e64 v[2:3], v[2:3], s[10:11]
.LBB138_4:
	s_or_b32 exec_lo, exec_lo, s15
	s_load_b32 s12, s[0:1], 0x50
	v_mov_b64_e32 v[4:5], 0
	v_lshl_or_b32 v6, s14, 3, v36
	v_mov_b32_e32 v7, 0
	s_mov_b32 s3, exec_lo
	s_delay_alu instid0(VALU_DEP_1)
	v_cmpx_gt_i64_e64 s[4:5], v[6:7]
	s_cbranch_execz .LBB138_6
; %bb.5:
	s_load_b64 s[4:5], s[0:1], 0x60
	s_mov_b32 s13, 0
	s_wait_kmcnt 0x0
	v_lshl_add_u64 v[4:5], v[6:7], 3, s[4:5]
	global_load_b64 v[4:5], v[4:5], off
	s_wait_loadcnt 0x0
	v_sub_nc_u64_e64 v[4:5], v[4:5], s[12:13]
.LBB138_6:
	s_or_b32 exec_lo, exec_lo, s3
	v_cmp_lt_i64_e64 s3, s[6:7], 1
	s_and_b32 vcc_lo, exec_lo, s3
	s_cbranch_vccnz .LBB138_33
; %bb.7:
	s_clause 0x1
	s_load_b64 s[20:21], s[0:1], 0x58
	s_load_b64 s[4:5], s[0:1], 0x68
	v_mbcnt_lo_u32_b32 v7, -1, 0
	v_dual_lshlrev_b32 v10, 3, v8 :: v_dual_mov_b32 v6, 0
	v_lshlrev_b32_e32 v1, 6, v8
	v_and_b32_e32 v0, 3, v0
	s_delay_alu instid0(VALU_DEP_4) | instskip(NEXT) | instid1(VALU_DEP_4)
	v_xor_b32_e32 v13, 1, v7
	v_dual_mov_b32 v11, v6 :: v_dual_bitop2_b32 v12, 2, v7 bitop3:0x14
	v_mul_u64_e32 v[14:15], s[8:9], v[8:9]
	v_lshl_or_b32 v37, v36, 9, v1
	v_mov_b32_e32 v1, v6
	s_delay_alu instid0(VALU_DEP_4)
	v_cmp_gt_i32_e32 vcc_lo, 32, v12
	v_dual_mov_b32 v17, v6 :: v_dual_bitop2_b32 v16, 4, v0 bitop3:0x54
	v_xor_b32_e32 v20, 4, v7
	v_xor_b32_e32 v18, 16, v7
	s_clause 0x2
	s_load_b64 s[16:17], s[0:1], 0x48
	s_load_b64 s[18:19], s[0:1], 0x38
	s_load_b32 s22, s[0:1], 0x0
	v_lshl_or_b32 v41, v7, 2, 12
	s_wait_kmcnt 0x0
	v_add_nc_u64_e32 v[8:9], s[20:21], v[10:11]
	v_cndmask_b32_e32 v10, v7, v12, vcc_lo
	v_cmp_gt_i32_e32 vcc_lo, 32, v13
	v_cmp_gt_u64_e64 s0, s[8:9], v[16:17]
	v_lshl_or_b32 v38, v0, 3, v37
	s_mov_b32 s3, 0
	s_mul_u64 s[14:15], s[8:9], s[8:9]
	v_dual_cndmask_b32 v11, v7, v13, vcc_lo :: v_dual_lshlrev_b32 v39, 2, v10
	v_mul_u64_e32 v[12:13], s[8:9], v[16:17]
	v_cmp_gt_i32_e32 vcc_lo, 32, v18
	v_xor_b32_e32 v19, 8, v7
	s_delay_alu instid0(VALU_DEP_4)
	v_lshlrev_b32_e32 v40, 2, v11
	v_mul_u64_e32 v[10:11], s[8:9], v[0:1]
	v_mov_b64_e32 v[16:17], 0
	v_cndmask_b32_e32 v18, v7, v18, vcc_lo
	v_cmp_gt_i32_e32 vcc_lo, 32, v19
	v_mov_b32_e32 v46, 1
	s_cmp_lg_u32 s22, 0
	s_mov_b32 s11, s3
	v_dual_cndmask_b32 v19, v7, v19 :: v_dual_lshlrev_b32 v42, 2, v18
	v_cmp_gt_i32_e32 vcc_lo, 32, v20
	v_lshl_add_u64 v[14:15], v[14:15], 3, s[20:21]
	s_mov_b32 s13, s3
	v_mov_b32_e32 v45, 0x7c
	v_dual_lshlrev_b32 v43, 2, v19 :: v_dual_cndmask_b32 v7, v7, v20, vcc_lo
	v_cmp_gt_u64_e32 vcc_lo, s[8:9], v[0:1]
	v_mov_b64_e32 v[20:21], 0
	s_cselect_b32 s1, -1, 0
	s_mov_b64 s[20:21], 0xffffffff
	v_lshlrev_b32_e32 v44, 2, v7
	s_and_b32 s27, s2, s0
	s_ashr_i32 s22, s9, 31
	s_and_b32 s26, s2, vcc_lo
	s_sub_co_i32 s28, 0, s8
	s_mov_b32 s29, 0
	s_branch .LBB138_10
.LBB138_8:                              ;   in Loop: Header=BB138_10 Depth=1
	s_wait_xcnt 0x0
	s_or_b32 exec_lo, exec_lo, s2
	v_mov_b64_e32 v[24:25], 1
.LBB138_9:                              ;   in Loop: Header=BB138_10 Depth=1
	s_or_b32 exec_lo, exec_lo, s0
	ds_bpermute_b32 v20, v42, v18
	ds_bpermute_b32 v21, v42, v19
	v_add_nc_u64_e32 v[4:5], v[24:25], v[4:5]
	s_wait_storecnt_dscnt 0x0
	v_min_i64 v[18:19], v[20:21], v[18:19]
	ds_bpermute_b32 v20, v43, v18
	ds_bpermute_b32 v21, v43, v19
	s_wait_dscnt 0x0
	v_min_i64 v[18:19], v[20:21], v[18:19]
	ds_bpermute_b32 v20, v44, v18
	ds_bpermute_b32 v21, v44, v19
	s_wait_dscnt 0x0
	;; [unrolled: 4-line block ×5, first 2 shown]
	v_cmp_le_i64_e32 vcc_lo, s[6:7], v[20:21]
	s_or_b32 s29, vcc_lo, s29
	s_delay_alu instid0(SALU_CYCLE_1)
	s_and_not1_b32 exec_lo, exec_lo, s29
	s_cbranch_execz .LBB138_33
.LBB138_10:                             ; =>This Loop Header: Depth=1
                                        ;     Child Loop BB138_13 Depth 2
	v_add_nc_u64_e32 v[22:23], v[22:23], v[0:1]
	v_mov_b64_e32 v[18:19], s[6:7]
	v_mov_b64_e32 v[34:35], v[2:3]
	s_mov_b32 s30, exec_lo
	ds_store_b8 v36, v6 offset:4096
	ds_store_2addr_b64 v38, v[16:17], v[16:17] offset1:4
	s_wait_dscnt 0x0
	v_cmpx_lt_i64_e64 v[22:23], v[2:3]
	s_cbranch_execz .LBB138_22
; %bb.11:                               ;   in Loop: Header=BB138_10 Depth=1
	v_mul_u64_e32 v[24:25], s[8:9], v[20:21]
	v_lshlrev_b64_e32 v[18:19], 3, v[22:23]
	v_mov_b64_e32 v[30:31], v[2:3]
	s_mov_b32 s31, 0
	s_delay_alu instid0(VALU_DEP_2)
	v_add_nc_u64_e32 v[26:27], s[18:19], v[18:19]
	v_add_nc_u64_e32 v[28:29], s[16:17], v[18:19]
	v_mov_b64_e32 v[18:19], s[6:7]
	s_branch .LBB138_13
.LBB138_12:                             ;   in Loop: Header=BB138_13 Depth=2
	s_wait_xcnt 0x0
	s_or_b32 exec_lo, exec_lo, s0
	v_add_nc_u64_e32 v[22:23], 4, v[22:23]
	s_xor_b32 s2, vcc_lo, -1
	v_add_nc_u64_e32 v[26:27], 32, v[26:27]
	v_add_nc_u64_e32 v[28:29], 32, v[28:29]
	v_mov_b64_e32 v[30:31], v[34:35]
	s_delay_alu instid0(VALU_DEP_4) | instskip(SKIP_1) | instid1(SALU_CYCLE_1)
	v_cmp_ge_i64_e64 s0, v[22:23], v[2:3]
	s_or_b32 s0, s2, s0
	s_and_b32 s0, exec_lo, s0
	s_delay_alu instid0(SALU_CYCLE_1) | instskip(NEXT) | instid1(SALU_CYCLE_1)
	s_or_b32 s31, s0, s31
	s_and_not1_b32 exec_lo, exec_lo, s31
	s_cbranch_execz .LBB138_21
.LBB138_13:                             ;   Parent Loop BB138_10 Depth=1
                                        ; =>  This Inner Loop Header: Depth=2
	global_load_b64 v[32:33], v[28:29], off
                                        ; implicit-def: $vgpr34_vgpr35
	s_mov_b32 s0, exec_lo
	s_wait_loadcnt 0x0
	v_sub_nc_u64_e64 v[32:33], v[32:33], s[10:11]
	s_delay_alu instid0(VALU_DEP_1) | instskip(SKIP_1) | instid1(VALU_DEP_1)
	v_or_b32_e32 v7, s9, v33
	s_wait_xcnt 0x0
	v_cmpx_ne_u64_e32 0, v[6:7]
	s_xor_b32 s33, exec_lo, s0
	s_cbranch_execz .LBB138_15
; %bb.14:                               ;   in Loop: Header=BB138_13 Depth=2
	s_mov_b32 s23, s22
	v_dual_mov_b32 v51, v6 :: v_dual_ashrrev_i32 v34, 31, v33
	s_add_nc_u64 s[24:25], s[8:9], s[22:23]
	v_mov_b32_e32 v59, v6
	s_xor_b64 s[24:25], s[24:25], s[22:23]
	s_delay_alu instid0(VALU_DEP_2) | instskip(SKIP_3) | instid1(VALU_DEP_1)
	v_mov_b32_e32 v35, v34
	s_cvt_f32_u32 s0, s24
	s_cvt_f32_u32 s2, s25
	s_sub_nc_u64 s[36:37], 0, s[24:25]
	v_add_nc_u64_e32 v[48:49], v[32:33], v[34:35]
	s_delay_alu instid0(SALU_CYCLE_1) | instskip(SKIP_1) | instid1(SALU_CYCLE_2)
	s_fmamk_f32 s0, s2, 0x4f800000, s0
	v_mov_b32_e32 v55, v6
	v_s_rcp_f32 s0, s0
	s_delay_alu instid0(VALU_DEP_2) | instskip(NEXT) | instid1(VALU_DEP_3)
	v_xor_b32_e32 v50, v48, v34
	v_xor_b32_e32 v54, v49, v34
	s_delay_alu instid0(TRANS32_DEP_1) | instskip(NEXT) | instid1(SALU_CYCLE_3)
	s_mul_f32 s0, s0, 0x5f7ffffc
	s_mul_f32 s2, s0, 0x2f800000
	s_delay_alu instid0(SALU_CYCLE_3) | instskip(NEXT) | instid1(SALU_CYCLE_3)
	s_trunc_f32 s2, s2
	s_fmamk_f32 s0, s2, 0xcf800000, s0
	s_cvt_u32_f32 s35, s2
	s_delay_alu instid0(SALU_CYCLE_2) | instskip(NEXT) | instid1(SALU_CYCLE_3)
	s_cvt_u32_f32 s34, s0
	s_mul_u64 s[38:39], s[36:37], s[34:35]
	s_delay_alu instid0(SALU_CYCLE_1)
	s_mul_hi_u32 s41, s34, s39
	s_mul_i32 s40, s34, s39
	s_mul_hi_u32 s2, s34, s38
	s_mul_i32 s23, s35, s38
	s_add_nc_u64 s[40:41], s[2:3], s[40:41]
	s_mul_hi_u32 s0, s35, s38
	s_mul_hi_u32 s42, s35, s39
	s_add_co_u32 s2, s40, s23
	s_add_co_ci_u32 s2, s41, s0
	s_mul_i32 s38, s35, s39
	s_add_co_ci_u32 s39, s42, 0
	s_delay_alu instid0(SALU_CYCLE_1) | instskip(NEXT) | instid1(SALU_CYCLE_1)
	s_add_nc_u64 s[38:39], s[2:3], s[38:39]
	s_add_co_u32 s34, s34, s38
	s_cselect_b32 s0, -1, 0
	s_delay_alu instid0(SALU_CYCLE_1) | instskip(SKIP_1) | instid1(SALU_CYCLE_1)
	s_cmp_lg_u32 s0, 0
	s_add_co_ci_u32 s35, s35, s39
	s_mul_u64 s[36:37], s[36:37], s[34:35]
	s_delay_alu instid0(SALU_CYCLE_1)
	s_mul_hi_u32 s39, s34, s37
	s_mul_i32 s38, s34, s37
	s_mul_hi_u32 s2, s34, s36
	s_mul_i32 s23, s35, s36
	s_add_nc_u64 s[38:39], s[2:3], s[38:39]
	s_mul_hi_u32 s0, s35, s36
	s_mul_hi_u32 s40, s35, s37
	s_add_co_u32 s2, s38, s23
	s_add_co_ci_u32 s2, s39, s0
	s_mul_i32 s36, s35, s37
	s_add_co_ci_u32 s37, s40, 0
	s_delay_alu instid0(SALU_CYCLE_1) | instskip(NEXT) | instid1(SALU_CYCLE_1)
	s_add_nc_u64 s[36:37], s[2:3], s[36:37]
	s_add_co_u32 s0, s34, s36
	s_cselect_b32 s2, -1, 0
	v_mul_hi_u32 v58, v50, s0
	s_cmp_lg_u32 s2, 0
	s_add_co_ci_u32 s2, s35, s37
	s_and_b64 s[34:35], s[0:1], s[20:21]
	v_mul_u64_e32 v[52:53], s[2:3], v[50:51]
	v_mul_u64_e32 v[48:49], s[34:35], v[54:55]
	;; [unrolled: 1-line block ×3, first 2 shown]
	s_delay_alu instid0(VALU_DEP_3) | instskip(NEXT) | instid1(VALU_DEP_1)
	v_add_nc_u64_e32 v[52:53], v[58:59], v[52:53]
	v_add_co_u32 v7, vcc_lo, v52, v48
	s_delay_alu instid0(VALU_DEP_2) | instskip(NEXT) | instid1(VALU_DEP_4)
	v_add_co_ci_u32_e32 v58, vcc_lo, v53, v49, vcc_lo
	v_add_co_ci_u32_e32 v57, vcc_lo, 0, v57, vcc_lo
	s_delay_alu instid0(VALU_DEP_1) | instskip(NEXT) | instid1(VALU_DEP_1)
	v_add_nc_u64_e32 v[48:49], v[58:59], v[56:57]
	v_mul_u64_e32 v[52:53], s[24:25], v[48:49]
	s_delay_alu instid0(VALU_DEP_1) | instskip(SKIP_1) | instid1(VALU_DEP_3)
	v_sub_co_u32 v25, vcc_lo, v50, v52
	v_add_nc_u64_e32 v[50:51], 2, v[48:49]
	v_sub_nc_u32_e32 v7, v54, v53
	v_sub_co_ci_u32_e64 v35, null, v54, v53, vcc_lo
	s_delay_alu instid0(VALU_DEP_4) | instskip(NEXT) | instid1(VALU_DEP_3)
	v_sub_co_u32 v33, s0, v25, s24
	v_subrev_co_ci_u32_e64 v7, null, s25, v7, vcc_lo
	v_add_nc_u64_e32 v[52:53], 1, v[48:49]
	s_delay_alu instid0(VALU_DEP_3) | instskip(NEXT) | instid1(VALU_DEP_3)
	v_cmp_le_u32_e32 vcc_lo, s24, v33
	v_subrev_co_ci_u32_e64 v7, null, 0, v7, s0
	v_cndmask_b32_e64 v33, 0, -1, vcc_lo
	s_delay_alu instid0(VALU_DEP_2)
	v_cmp_le_u32_e32 vcc_lo, s25, v7
	v_cndmask_b32_e64 v47, 0, -1, vcc_lo
	v_cmp_le_u32_e32 vcc_lo, s24, v25
	v_cndmask_b32_e64 v25, 0, -1, vcc_lo
	;; [unrolled: 2-line block ×3, first 2 shown]
	v_cmp_eq_u32_e32 vcc_lo, s25, v7
	v_cndmask_b32_e32 v7, v47, v33, vcc_lo
	v_cmp_eq_u32_e32 vcc_lo, s25, v35
	s_delay_alu instid0(VALU_DEP_4) | instskip(NEXT) | instid1(VALU_DEP_3)
	v_cndmask_b32_e32 v25, v54, v25, vcc_lo
	v_cmp_ne_u32_e32 vcc_lo, 0, v7
	v_cndmask_b32_e32 v7, v53, v51, vcc_lo
	s_delay_alu instid0(VALU_DEP_3) | instskip(SKIP_1) | instid1(VALU_DEP_2)
	v_cmp_ne_u32_e64 s0, 0, v25
	v_cndmask_b32_e32 v25, v52, v50, vcc_lo
	v_dual_cndmask_b32 v7, v49, v7, s0 :: v_dual_bitop2_b32 v34, s22, v34 bitop3:0x14
	s_delay_alu instid0(VALU_DEP_1) | instskip(NEXT) | instid1(VALU_DEP_2)
	v_dual_cndmask_b32 v25, v48, v25, s0 :: v_dual_mov_b32 v35, v34
	v_xor_b32_e32 v49, v7, v34
	s_delay_alu instid0(VALU_DEP_2) | instskip(NEXT) | instid1(VALU_DEP_1)
	v_xor_b32_e32 v48, v25, v34
	v_sub_nc_u64_e32 v[34:35], v[48:49], v[34:35]
.LBB138_15:                             ;   in Loop: Header=BB138_13 Depth=2
	s_and_not1_saveexec_b32 s0, s33
	s_cbranch_execz .LBB138_17
; %bb.16:                               ;   in Loop: Header=BB138_13 Depth=2
	v_cvt_f32_u32_e32 v7, s8
	v_mov_b32_e32 v35, v6
	s_delay_alu instid0(VALU_DEP_2) | instskip(SKIP_1) | instid1(TRANS32_DEP_1)
	v_rcp_iflag_f32_e32 v7, v7
	v_nop
	v_mul_f32_e32 v7, 0x4f7ffffe, v7
	s_delay_alu instid0(VALU_DEP_1) | instskip(NEXT) | instid1(VALU_DEP_1)
	v_cvt_u32_f32_e32 v7, v7
	v_mul_lo_u32 v25, s28, v7
	s_delay_alu instid0(VALU_DEP_1) | instskip(NEXT) | instid1(VALU_DEP_1)
	v_mul_hi_u32 v25, v7, v25
	v_add_nc_u32_e32 v7, v7, v25
	s_delay_alu instid0(VALU_DEP_1) | instskip(NEXT) | instid1(VALU_DEP_1)
	v_mul_hi_u32 v7, v32, v7
	v_mul_lo_u32 v25, v7, s8
	s_delay_alu instid0(VALU_DEP_1) | instskip(NEXT) | instid1(VALU_DEP_1)
	v_sub_nc_u32_e32 v25, v32, v25
	v_subrev_nc_u32_e32 v34, s8, v25
	v_cmp_le_u32_e32 vcc_lo, s8, v25
	s_delay_alu instid0(VALU_DEP_2) | instskip(NEXT) | instid1(VALU_DEP_1)
	v_dual_add_nc_u32 v33, 1, v7 :: v_dual_cndmask_b32 v25, v25, v34, vcc_lo
	v_cndmask_b32_e32 v7, v7, v33, vcc_lo
	s_delay_alu instid0(VALU_DEP_2) | instskip(NEXT) | instid1(VALU_DEP_2)
	v_cmp_le_u32_e32 vcc_lo, s8, v25
	v_add_nc_u32_e32 v33, 1, v7
	s_delay_alu instid0(VALU_DEP_1)
	v_cndmask_b32_e32 v34, v7, v33, vcc_lo
.LBB138_17:                             ;   in Loop: Header=BB138_13 Depth=2
	s_or_b32 exec_lo, exec_lo, s0
	s_delay_alu instid0(VALU_DEP_1) | instskip(SKIP_2) | instid1(SALU_CYCLE_1)
	v_cmp_ne_u64_e64 s0, v[34:35], v[20:21]
	v_cmp_eq_u64_e32 vcc_lo, v[34:35], v[20:21]
	s_and_saveexec_b32 s2, s0
	s_xor_b32 s0, exec_lo, s2
; %bb.18:                               ;   in Loop: Header=BB138_13 Depth=2
	v_min_i64 v[18:19], v[34:35], v[18:19]
                                        ; implicit-def: $vgpr32_vgpr33
                                        ; implicit-def: $vgpr30_vgpr31
; %bb.19:                               ;   in Loop: Header=BB138_13 Depth=2
	s_or_saveexec_b32 s0, s0
	v_mov_b64_e32 v[34:35], v[22:23]
	s_xor_b32 exec_lo, exec_lo, s0
	s_cbranch_execz .LBB138_12
; %bb.20:                               ;   in Loop: Header=BB138_13 Depth=2
	global_load_b64 v[48:49], v[26:27], off
	v_sub_nc_u32_e32 v7, v32, v24
	v_mov_b64_e32 v[34:35], v[30:31]
	s_delay_alu instid0(VALU_DEP_2)
	v_lshl_add_u32 v7, v7, 3, v37
	ds_store_b8 v36, v46 offset:4096
	s_wait_loadcnt 0x0
	ds_store_b64 v7, v[48:49]
	s_branch .LBB138_12
.LBB138_21:                             ;   in Loop: Header=BB138_10 Depth=1
	s_or_b32 exec_lo, exec_lo, s31
.LBB138_22:                             ;   in Loop: Header=BB138_10 Depth=1
	s_delay_alu instid0(SALU_CYCLE_1)
	s_or_b32 exec_lo, exec_lo, s30
	ds_bpermute_b32 v22, v39, v34
	ds_bpermute_b32 v23, v39, v35
	s_wait_dscnt 0x0
	ds_load_u8 v7, v36 offset:4096
	s_mov_b32 s0, exec_lo
	v_min_i64 v[22:23], v[22:23], v[34:35]
	s_wait_dscnt 0x0
	v_and_b32_e32 v7, 1, v7
	ds_bpermute_b32 v24, v40, v22
	ds_bpermute_b32 v25, v40, v23
	s_wait_dscnt 0x0
	v_min_i64 v[22:23], v[24:25], v[22:23]
	v_mov_b64_e32 v[24:25], 0
	ds_bpermute_b32 v22, v41, v22
	ds_bpermute_b32 v23, v41, v23
	v_cmpx_eq_u32_e32 1, v7
	s_cbranch_execz .LBB138_9
; %bb.23:                               ;   in Loop: Header=BB138_10 Depth=1
	v_mul_u64_e32 v[24:25], s[14:15], v[4:5]
	v_add_nc_u64_e32 v[28:29], s[12:13], v[20:21]
	s_delay_alu instid0(VALU_DEP_2) | instskip(NEXT) | instid1(VALU_DEP_1)
	v_lshlrev_b64_e32 v[26:27], 3, v[24:25]
	v_add_nc_u64_e32 v[24:25], v[8:9], v[26:27]
	v_add_nc_u64_e32 v[20:21], v[14:15], v[26:27]
	v_lshl_add_u64 v[26:27], v[4:5], 3, s[4:5]
	global_store_b64 v[26:27], v[28:29], off
	s_wait_xcnt 0x0
	s_and_saveexec_b32 s2, s26
	s_cbranch_execz .LBB138_27
; %bb.24:                               ;   in Loop: Header=BB138_10 Depth=1
	ds_load_b64 v[26:27], v38
	s_and_b32 vcc_lo, exec_lo, s1
	s_cbranch_vccz .LBB138_30
; %bb.25:                               ;   in Loop: Header=BB138_10 Depth=1
	v_lshl_add_u64 v[28:29], v[10:11], 3, v[24:25]
	s_wait_dscnt 0x0
	global_store_b64 v[28:29], v[26:27], off
	s_cbranch_execnz .LBB138_27
.LBB138_26:                             ;   in Loop: Header=BB138_10 Depth=1
	s_wait_xcnt 0x0
	v_dual_mov_b32 v29, v6 :: v_dual_lshlrev_b32 v28, 3, v0
	s_delay_alu instid0(VALU_DEP_1)
	v_add_nc_u64_e32 v[28:29], v[20:21], v[28:29]
	s_wait_dscnt 0x0
	global_store_b64 v[28:29], v[26:27], off
.LBB138_27:                             ;   in Loop: Header=BB138_10 Depth=1
	s_wait_xcnt 0x0
	s_or_b32 exec_lo, exec_lo, s2
	s_and_saveexec_b32 s2, s27
	s_cbranch_execz .LBB138_8
; %bb.28:                               ;   in Loop: Header=BB138_10 Depth=1
	s_and_not1_b32 vcc_lo, exec_lo, s1
	s_cbranch_vccnz .LBB138_31
; %bb.29:                               ;   in Loop: Header=BB138_10 Depth=1
	s_wait_dscnt 0x0
	ds_load_b64 v[26:27], v38 offset:32
	v_lshl_add_u64 v[24:25], v[12:13], 3, v[24:25]
	s_wait_dscnt 0x0
	global_store_b64 v[24:25], v[26:27], off
	s_cbranch_execnz .LBB138_8
	s_branch .LBB138_32
.LBB138_30:                             ;   in Loop: Header=BB138_10 Depth=1
	s_branch .LBB138_26
.LBB138_31:                             ;   in Loop: Header=BB138_10 Depth=1
.LBB138_32:                             ;   in Loop: Header=BB138_10 Depth=1
	s_wait_xcnt 0x0
	ds_load_b64 v[24:25], v38 offset:32
	s_wait_dscnt 0x1
	v_dual_mov_b32 v27, v6 :: v_dual_lshlrev_b32 v26, 3, v0
	s_delay_alu instid0(VALU_DEP_1)
	v_add_nc_u64_e32 v[20:21], v[20:21], v[26:27]
	s_wait_dscnt 0x0
	global_store_b64 v[20:21], v[24:25], off offset:32
	s_branch .LBB138_8
.LBB138_33:
	s_endpgm
	.section	.rodata,"a",@progbits
	.p2align	6, 0x0
	.amdhsa_kernel _ZN9rocsparseL42csr2bsr_wavefront_per_row_multipass_kernelILj256ELj32ELj8EdllEEv20rocsparse_direction_T4_S2_S2_S2_S2_21rocsparse_index_base_PKT2_PKT3_PKS2_S3_PS4_PS7_PS2_
		.amdhsa_group_segment_fixed_size 4104
		.amdhsa_private_segment_fixed_size 0
		.amdhsa_kernarg_size 112
		.amdhsa_user_sgpr_count 2
		.amdhsa_user_sgpr_dispatch_ptr 0
		.amdhsa_user_sgpr_queue_ptr 0
		.amdhsa_user_sgpr_kernarg_segment_ptr 1
		.amdhsa_user_sgpr_dispatch_id 0
		.amdhsa_user_sgpr_kernarg_preload_length 0
		.amdhsa_user_sgpr_kernarg_preload_offset 0
		.amdhsa_user_sgpr_private_segment_size 0
		.amdhsa_wavefront_size32 1
		.amdhsa_uses_dynamic_stack 0
		.amdhsa_enable_private_segment 0
		.amdhsa_system_sgpr_workgroup_id_x 1
		.amdhsa_system_sgpr_workgroup_id_y 0
		.amdhsa_system_sgpr_workgroup_id_z 0
		.amdhsa_system_sgpr_workgroup_info 0
		.amdhsa_system_vgpr_workitem_id 0
		.amdhsa_next_free_vgpr 60
		.amdhsa_next_free_sgpr 43
		.amdhsa_named_barrier_count 0
		.amdhsa_reserve_vcc 1
		.amdhsa_float_round_mode_32 0
		.amdhsa_float_round_mode_16_64 0
		.amdhsa_float_denorm_mode_32 3
		.amdhsa_float_denorm_mode_16_64 3
		.amdhsa_fp16_overflow 0
		.amdhsa_memory_ordered 1
		.amdhsa_forward_progress 1
		.amdhsa_inst_pref_size 18
		.amdhsa_round_robin_scheduling 0
		.amdhsa_exception_fp_ieee_invalid_op 0
		.amdhsa_exception_fp_denorm_src 0
		.amdhsa_exception_fp_ieee_div_zero 0
		.amdhsa_exception_fp_ieee_overflow 0
		.amdhsa_exception_fp_ieee_underflow 0
		.amdhsa_exception_fp_ieee_inexact 0
		.amdhsa_exception_int_div_zero 0
	.end_amdhsa_kernel
	.section	.text._ZN9rocsparseL42csr2bsr_wavefront_per_row_multipass_kernelILj256ELj32ELj8EdllEEv20rocsparse_direction_T4_S2_S2_S2_S2_21rocsparse_index_base_PKT2_PKT3_PKS2_S3_PS4_PS7_PS2_,"axG",@progbits,_ZN9rocsparseL42csr2bsr_wavefront_per_row_multipass_kernelILj256ELj32ELj8EdllEEv20rocsparse_direction_T4_S2_S2_S2_S2_21rocsparse_index_base_PKT2_PKT3_PKS2_S3_PS4_PS7_PS2_,comdat
.Lfunc_end138:
	.size	_ZN9rocsparseL42csr2bsr_wavefront_per_row_multipass_kernelILj256ELj32ELj8EdllEEv20rocsparse_direction_T4_S2_S2_S2_S2_21rocsparse_index_base_PKT2_PKT3_PKS2_S3_PS4_PS7_PS2_, .Lfunc_end138-_ZN9rocsparseL42csr2bsr_wavefront_per_row_multipass_kernelILj256ELj32ELj8EdllEEv20rocsparse_direction_T4_S2_S2_S2_S2_21rocsparse_index_base_PKT2_PKT3_PKS2_S3_PS4_PS7_PS2_
                                        ; -- End function
	.set _ZN9rocsparseL42csr2bsr_wavefront_per_row_multipass_kernelILj256ELj32ELj8EdllEEv20rocsparse_direction_T4_S2_S2_S2_S2_21rocsparse_index_base_PKT2_PKT3_PKS2_S3_PS4_PS7_PS2_.num_vgpr, 60
	.set _ZN9rocsparseL42csr2bsr_wavefront_per_row_multipass_kernelILj256ELj32ELj8EdllEEv20rocsparse_direction_T4_S2_S2_S2_S2_21rocsparse_index_base_PKT2_PKT3_PKS2_S3_PS4_PS7_PS2_.num_agpr, 0
	.set _ZN9rocsparseL42csr2bsr_wavefront_per_row_multipass_kernelILj256ELj32ELj8EdllEEv20rocsparse_direction_T4_S2_S2_S2_S2_21rocsparse_index_base_PKT2_PKT3_PKS2_S3_PS4_PS7_PS2_.numbered_sgpr, 43
	.set _ZN9rocsparseL42csr2bsr_wavefront_per_row_multipass_kernelILj256ELj32ELj8EdllEEv20rocsparse_direction_T4_S2_S2_S2_S2_21rocsparse_index_base_PKT2_PKT3_PKS2_S3_PS4_PS7_PS2_.num_named_barrier, 0
	.set _ZN9rocsparseL42csr2bsr_wavefront_per_row_multipass_kernelILj256ELj32ELj8EdllEEv20rocsparse_direction_T4_S2_S2_S2_S2_21rocsparse_index_base_PKT2_PKT3_PKS2_S3_PS4_PS7_PS2_.private_seg_size, 0
	.set _ZN9rocsparseL42csr2bsr_wavefront_per_row_multipass_kernelILj256ELj32ELj8EdllEEv20rocsparse_direction_T4_S2_S2_S2_S2_21rocsparse_index_base_PKT2_PKT3_PKS2_S3_PS4_PS7_PS2_.uses_vcc, 1
	.set _ZN9rocsparseL42csr2bsr_wavefront_per_row_multipass_kernelILj256ELj32ELj8EdllEEv20rocsparse_direction_T4_S2_S2_S2_S2_21rocsparse_index_base_PKT2_PKT3_PKS2_S3_PS4_PS7_PS2_.uses_flat_scratch, 0
	.set _ZN9rocsparseL42csr2bsr_wavefront_per_row_multipass_kernelILj256ELj32ELj8EdllEEv20rocsparse_direction_T4_S2_S2_S2_S2_21rocsparse_index_base_PKT2_PKT3_PKS2_S3_PS4_PS7_PS2_.has_dyn_sized_stack, 0
	.set _ZN9rocsparseL42csr2bsr_wavefront_per_row_multipass_kernelILj256ELj32ELj8EdllEEv20rocsparse_direction_T4_S2_S2_S2_S2_21rocsparse_index_base_PKT2_PKT3_PKS2_S3_PS4_PS7_PS2_.has_recursion, 0
	.set _ZN9rocsparseL42csr2bsr_wavefront_per_row_multipass_kernelILj256ELj32ELj8EdllEEv20rocsparse_direction_T4_S2_S2_S2_S2_21rocsparse_index_base_PKT2_PKT3_PKS2_S3_PS4_PS7_PS2_.has_indirect_call, 0
	.section	.AMDGPU.csdata,"",@progbits
; Kernel info:
; codeLenInByte = 2300
; TotalNumSgprs: 45
; NumVgprs: 60
; ScratchSize: 0
; MemoryBound: 0
; FloatMode: 240
; IeeeMode: 1
; LDSByteSize: 4104 bytes/workgroup (compile time only)
; SGPRBlocks: 0
; VGPRBlocks: 3
; NumSGPRsForWavesPerEU: 45
; NumVGPRsForWavesPerEU: 60
; NamedBarCnt: 0
; Occupancy: 16
; WaveLimiterHint : 0
; COMPUTE_PGM_RSRC2:SCRATCH_EN: 0
; COMPUTE_PGM_RSRC2:USER_SGPR: 2
; COMPUTE_PGM_RSRC2:TRAP_HANDLER: 0
; COMPUTE_PGM_RSRC2:TGID_X_EN: 1
; COMPUTE_PGM_RSRC2:TGID_Y_EN: 0
; COMPUTE_PGM_RSRC2:TGID_Z_EN: 0
; COMPUTE_PGM_RSRC2:TIDIG_COMP_CNT: 0
	.section	.text._ZN9rocsparseL42csr2bsr_wavefront_per_row_multipass_kernelILj256ELj64ELj16EdllEEv20rocsparse_direction_T4_S2_S2_S2_S2_21rocsparse_index_base_PKT2_PKT3_PKS2_S3_PS4_PS7_PS2_,"axG",@progbits,_ZN9rocsparseL42csr2bsr_wavefront_per_row_multipass_kernelILj256ELj64ELj16EdllEEv20rocsparse_direction_T4_S2_S2_S2_S2_21rocsparse_index_base_PKT2_PKT3_PKS2_S3_PS4_PS7_PS2_,comdat
	.globl	_ZN9rocsparseL42csr2bsr_wavefront_per_row_multipass_kernelILj256ELj64ELj16EdllEEv20rocsparse_direction_T4_S2_S2_S2_S2_21rocsparse_index_base_PKT2_PKT3_PKS2_S3_PS4_PS7_PS2_ ; -- Begin function _ZN9rocsparseL42csr2bsr_wavefront_per_row_multipass_kernelILj256ELj64ELj16EdllEEv20rocsparse_direction_T4_S2_S2_S2_S2_21rocsparse_index_base_PKT2_PKT3_PKS2_S3_PS4_PS7_PS2_
	.p2align	8
	.type	_ZN9rocsparseL42csr2bsr_wavefront_per_row_multipass_kernelILj256ELj64ELj16EdllEEv20rocsparse_direction_T4_S2_S2_S2_S2_21rocsparse_index_base_PKT2_PKT3_PKS2_S3_PS4_PS7_PS2_,@function
_ZN9rocsparseL42csr2bsr_wavefront_per_row_multipass_kernelILj256ELj64ELj16EdllEEv20rocsparse_direction_T4_S2_S2_S2_S2_21rocsparse_index_base_PKT2_PKT3_PKS2_S3_PS4_PS7_PS2_: ; @_ZN9rocsparseL42csr2bsr_wavefront_per_row_multipass_kernelILj256ELj64ELj16EdllEEv20rocsparse_direction_T4_S2_S2_S2_S2_21rocsparse_index_base_PKT2_PKT3_PKS2_S3_PS4_PS7_PS2_
; %bb.0:
	s_bfe_u32 s2, ttmp6, 0x4000c
	s_clause 0x1
	s_load_b96 s[8:10], s[0:1], 0x28
	s_load_b64 s[12:13], s[0:1], 0x40
	s_add_co_i32 s2, s2, 1
	s_and_b32 s3, ttmp6, 15
	s_mul_i32 s2, ttmp9, s2
	s_getreg_b32 s4, hwreg(HW_REG_IB_STS2, 6, 4)
	s_add_co_i32 s3, s3, s2
	s_cmp_eq_u32 s4, 0
	v_dual_mov_b32 v9, 0 :: v_dual_lshrrev_b32 v40, 6, v0
	s_cselect_b32 s14, ttmp9, s3
	v_bfe_u32 v8, v0, 2, 4
	s_ashr_i32 s15, s14, 31
	v_mov_b64_e32 v[24:25], 0
	s_lshl_b64 s[2:3], s[14:15], 2
	s_mov_b32 s11, 0
	v_or_b32_e32 v1, s2, v40
	s_load_b128 s[4:7], s[0:1], 0x18
	s_wait_kmcnt 0x0
	s_delay_alu instid0(VALU_DEP_1) | instskip(NEXT) | instid1(VALU_DEP_1)
	v_mad_nc_u64_u32 v[4:5], v1, s8, v[8:9]
	v_mad_u32 v2, s3, s8, v5
	s_load_b64 s[2:3], s[0:1], 0x8
	s_delay_alu instid0(VALU_DEP_1) | instskip(SKIP_2) | instid1(VALU_DEP_2)
	v_mad_u32 v5, v1, s9, v2
	v_mov_b64_e32 v[2:3], 0
	s_wait_kmcnt 0x0
	v_cmp_gt_i64_e32 vcc_lo, s[2:3], v[4:5]
	v_cmp_gt_i64_e64 s2, s[8:9], v[8:9]
	s_and_b32 s3, s2, vcc_lo
	s_delay_alu instid0(SALU_CYCLE_1)
	s_and_saveexec_b32 s15, s3
	s_cbranch_execz .LBB139_2
; %bb.1:
	v_lshl_add_u64 v[6:7], v[4:5], 3, s[12:13]
	global_load_b64 v[6:7], v[6:7], off
	s_wait_loadcnt 0x0
	v_sub_nc_u64_e64 v[24:25], v[6:7], s[10:11]
.LBB139_2:
	s_or_b32 exec_lo, exec_lo, s15
	s_and_saveexec_b32 s15, s3
	s_cbranch_execz .LBB139_4
; %bb.3:
	v_lshl_add_u64 v[2:3], v[4:5], 3, s[12:13]
	global_load_b64 v[2:3], v[2:3], off offset:8
	s_wait_loadcnt 0x0
	v_sub_nc_u64_e64 v[2:3], v[2:3], s[10:11]
.LBB139_4:
	s_or_b32 exec_lo, exec_lo, s15
	s_load_b32 s12, s[0:1], 0x50
	v_mov_b64_e32 v[4:5], 0
	v_lshl_or_b32 v6, s14, 2, v40
	v_mov_b32_e32 v7, 0
	s_mov_b32 s3, exec_lo
	s_delay_alu instid0(VALU_DEP_1)
	v_cmpx_gt_i64_e64 s[4:5], v[6:7]
	s_cbranch_execz .LBB139_6
; %bb.5:
	s_load_b64 s[4:5], s[0:1], 0x60
	s_mov_b32 s13, 0
	s_wait_kmcnt 0x0
	v_lshl_add_u64 v[4:5], v[6:7], 3, s[4:5]
	global_load_b64 v[4:5], v[4:5], off
	s_wait_loadcnt 0x0
	v_sub_nc_u64_e64 v[4:5], v[4:5], s[12:13]
.LBB139_6:
	s_or_b32 exec_lo, exec_lo, s3
	v_cmp_lt_i64_e64 s3, s[6:7], 1
	s_and_b32 vcc_lo, exec_lo, s3
	s_cbranch_vccnz .LBB139_43
; %bb.7:
	v_mbcnt_lo_u32_b32 v7, -1, 0
	s_clause 0x1
	s_load_b64 s[22:23], s[0:1], 0x58
	s_load_b64 s[4:5], s[0:1], 0x68
	v_dual_lshlrev_b32 v1, 7, v8 :: v_dual_lshlrev_b32 v10, 3, v8
	v_dual_mov_b32 v6, 0 :: v_dual_bitop2_b32 v12, 2, v7 bitop3:0x14
	v_and_b32_e32 v0, 3, v0
	v_mul_u64_e32 v[18:19], s[8:9], v[8:9]
	s_delay_alu instid0(VALU_DEP_4) | instskip(NEXT) | instid1(VALU_DEP_4)
	v_lshl_or_b32 v41, v40, 11, v1
	v_mov_b32_e32 v11, v6
	v_cmp_gt_i32_e32 vcc_lo, 32, v12
	v_xor_b32_e32 v13, 1, v7
	v_dual_mov_b32 v23, v6 :: v_dual_bitop2_b32 v22, 8, v0 bitop3:0x54
	v_dual_mov_b32 v27, v6 :: v_dual_bitop2_b32 v26, 12, v0 bitop3:0x54
	v_cndmask_b32_e32 v12, v7, v12, vcc_lo
	s_delay_alu instid0(VALU_DEP_4) | instskip(NEXT) | instid1(VALU_DEP_4)
	v_cmp_gt_i32_e32 vcc_lo, 32, v13
	v_mul_u64_e32 v[14:15], s[8:9], v[22:23]
	s_clause 0x2
	s_load_b64 s[18:19], s[0:1], 0x48
	s_load_b64 s[20:21], s[0:1], 0x38
	s_load_b32 s3, s[0:1], 0x0
	s_wait_kmcnt 0x0
	v_add_nc_u64_e32 v[8:9], s[22:23], v[10:11]
	v_dual_mov_b32 v1, v6 :: v_dual_cndmask_b32 v10, v7, v13
	v_lshlrev_b32_e32 v43, 2, v12
	v_mul_u64_e32 v[16:17], s[8:9], v[26:27]
	v_mov_b32_e32 v21, v6
	v_lshl_or_b32 v45, v7, 2, 12
	v_dual_lshlrev_b32 v44, 2, v10 :: v_dual_bitop2_b32 v10, 32, v7 bitop3:0x54
	v_cmp_gt_u64_e64 s1, s[8:9], v[22:23]
	v_lshl_or_b32 v42, v0, 3, v41
	v_bfrev_b32_e32 v50, 0.5
	v_mov_b32_e32 v51, 1
	v_cmp_gt_i32_e32 vcc_lo, 32, v10
	s_mov_b32 s17, 0
	v_or_b32_e32 v20, 4, v0
	s_mul_u64 s[14:15], s[8:9], s[8:9]
	s_mov_b32 s11, s17
	v_dual_cndmask_b32 v28, v7, v10, vcc_lo :: v_dual_bitop2_b32 v29, 16, v7 bitop3:0x14
	v_mul_u64_e32 v[10:11], s[8:9], v[0:1]
	v_mul_u64_e32 v[12:13], s[8:9], v[20:21]
	s_cmp_lg_u32 s3, 0
	s_delay_alu instid0(VALU_DEP_3)
	v_lshlrev_b32_e32 v46, 2, v28
	v_cmp_gt_i32_e32 vcc_lo, 32, v29
	v_xor_b32_e32 v30, 8, v7
	v_cmp_gt_u64_e64 s0, s[8:9], v[20:21]
	v_cmp_gt_u64_e64 s3, s[8:9], v[26:27]
	v_mov_b64_e32 v[26:27], 0
	v_dual_cndmask_b32 v29, v7, v29, vcc_lo :: v_dual_bitop2_b32 v31, 4, v7 bitop3:0x14
	v_cmp_gt_i32_e32 vcc_lo, 32, v30
	v_mov_b64_e32 v[20:21], 0
	v_lshl_add_u64 v[18:19], v[18:19], 3, s[22:23]
	s_delay_alu instid0(VALU_DEP_4)
	v_lshlrev_b32_e32 v47, 2, v29
	s_mov_b32 s13, s17
	v_cndmask_b32_e32 v28, v7, v30, vcc_lo
	v_cmp_gt_i32_e32 vcc_lo, 32, v31
	s_cselect_b32 s26, -1, 0
	s_and_b32 s28, s2, s0
	s_and_b32 s1, s2, s1
	s_mov_b64 s[22:23], 0xffffffff
	v_cndmask_b32_e32 v7, v7, v31, vcc_lo
	v_cmp_gt_u64_e32 vcc_lo, s[8:9], v[0:1]
	v_lshlrev_b32_e32 v48, 2, v28
	s_and_b32 s29, s2, s3
	s_sub_co_i32 s30, 0, s8
	v_lshlrev_b32_e32 v49, 2, v7
	s_mov_b32 s31, 0
	s_and_b32 s27, s2, vcc_lo
	s_ashr_i32 s2, s9, 31
	s_branch .LBB139_10
.LBB139_8:                              ;   in Loop: Header=BB139_10 Depth=1
	s_wait_xcnt 0x0
	s_or_b32 exec_lo, exec_lo, s3
	v_mov_b64_e32 v[28:29], 1
.LBB139_9:                              ;   in Loop: Header=BB139_10 Depth=1
	s_or_b32 exec_lo, exec_lo, s0
	ds_bpermute_b32 v26, v46, v22
	ds_bpermute_b32 v27, v46, v23
	v_add_nc_u64_e32 v[4:5], v[28:29], v[4:5]
	s_wait_storecnt_dscnt 0x0
	v_min_i64 v[22:23], v[26:27], v[22:23]
	ds_bpermute_b32 v26, v47, v22
	ds_bpermute_b32 v27, v47, v23
	s_wait_dscnt 0x0
	v_min_i64 v[22:23], v[26:27], v[22:23]
	ds_bpermute_b32 v26, v48, v22
	ds_bpermute_b32 v27, v48, v23
	s_wait_dscnt 0x0
	;; [unrolled: 4-line block ×6, first 2 shown]
	v_cmp_le_i64_e32 vcc_lo, s[6:7], v[26:27]
	s_or_b32 s31, vcc_lo, s31
	s_delay_alu instid0(SALU_CYCLE_1)
	s_and_not1_b32 exec_lo, exec_lo, s31
	s_cbranch_execz .LBB139_43
.LBB139_10:                             ; =>This Loop Header: Depth=1
                                        ;     Child Loop BB139_13 Depth 2
	v_add_nc_u64_e32 v[24:25], v[24:25], v[0:1]
	v_mov_b64_e32 v[22:23], s[6:7]
	v_mov_b64_e32 v[38:39], v[2:3]
	s_mov_b32 s33, exec_lo
	ds_store_b8 v40, v6 offset:8192
	ds_store_2addr_b64 v42, v[20:21], v[20:21] offset1:4
	ds_store_2addr_b64 v42, v[20:21], v[20:21] offset0:8 offset1:12
	s_wait_dscnt 0x0
	v_cmpx_lt_i64_e64 v[24:25], v[2:3]
	s_cbranch_execz .LBB139_22
; %bb.11:                               ;   in Loop: Header=BB139_10 Depth=1
	v_mul_u64_e32 v[28:29], s[8:9], v[26:27]
	v_lshlrev_b64_e32 v[22:23], 3, v[24:25]
	v_mov_b64_e32 v[34:35], v[2:3]
	s_mov_b32 s34, 0
	s_delay_alu instid0(VALU_DEP_2)
	v_add_nc_u64_e32 v[30:31], s[20:21], v[22:23]
	v_add_nc_u64_e32 v[32:33], s[18:19], v[22:23]
	v_mov_b64_e32 v[22:23], s[6:7]
	s_branch .LBB139_13
.LBB139_12:                             ;   in Loop: Header=BB139_13 Depth=2
	s_wait_xcnt 0x0
	s_or_b32 exec_lo, exec_lo, s0
	v_add_nc_u64_e32 v[24:25], 4, v[24:25]
	s_xor_b32 s3, vcc_lo, -1
	v_add_nc_u64_e32 v[30:31], 32, v[30:31]
	v_add_nc_u64_e32 v[32:33], 32, v[32:33]
	v_mov_b64_e32 v[34:35], v[38:39]
	s_delay_alu instid0(VALU_DEP_4) | instskip(SKIP_1) | instid1(SALU_CYCLE_1)
	v_cmp_ge_i64_e64 s0, v[24:25], v[2:3]
	s_or_b32 s0, s3, s0
	s_and_b32 s0, exec_lo, s0
	s_delay_alu instid0(SALU_CYCLE_1) | instskip(NEXT) | instid1(SALU_CYCLE_1)
	s_or_b32 s34, s0, s34
	s_and_not1_b32 exec_lo, exec_lo, s34
	s_cbranch_execz .LBB139_21
.LBB139_13:                             ;   Parent Loop BB139_10 Depth=1
                                        ; =>  This Inner Loop Header: Depth=2
	global_load_b64 v[36:37], v[32:33], off
                                        ; implicit-def: $vgpr38_vgpr39
	s_mov_b32 s0, exec_lo
	s_wait_loadcnt 0x0
	v_sub_nc_u64_e64 v[36:37], v[36:37], s[10:11]
	s_delay_alu instid0(VALU_DEP_1) | instskip(SKIP_1) | instid1(VALU_DEP_1)
	v_or_b32_e32 v7, s9, v37
	s_wait_xcnt 0x0
	v_cmpx_ne_u64_e32 0, v[6:7]
	s_xor_b32 s35, exec_lo, s0
	s_cbranch_execz .LBB139_15
; %bb.14:                               ;   in Loop: Header=BB139_13 Depth=2
	s_mov_b32 s3, s2
	v_dual_mov_b32 v55, v6 :: v_dual_ashrrev_i32 v38, 31, v37
	s_add_nc_u64 s[24:25], s[8:9], s[2:3]
	v_mov_b32_e32 v63, v6
	s_xor_b64 s[24:25], s[24:25], s[2:3]
	s_delay_alu instid0(VALU_DEP_2) | instskip(SKIP_3) | instid1(VALU_DEP_1)
	v_mov_b32_e32 v39, v38
	s_cvt_f32_u32 s0, s24
	s_cvt_f32_u32 s3, s25
	s_sub_nc_u64 s[38:39], 0, s[24:25]
	v_add_nc_u64_e32 v[52:53], v[36:37], v[38:39]
	s_delay_alu instid0(SALU_CYCLE_1) | instskip(SKIP_1) | instid1(SALU_CYCLE_2)
	s_fmamk_f32 s0, s3, 0x4f800000, s0
	v_mov_b32_e32 v59, v6
	v_s_rcp_f32 s0, s0
	s_delay_alu instid0(VALU_DEP_2) | instskip(NEXT) | instid1(VALU_DEP_3)
	v_xor_b32_e32 v54, v52, v38
	v_xor_b32_e32 v58, v53, v38
	;; [unrolled: 1-line block ×3, first 2 shown]
	s_delay_alu instid0(TRANS32_DEP_1) | instskip(NEXT) | instid1(SALU_CYCLE_3)
	s_mul_f32 s0, s0, 0x5f7ffffc
	s_mul_f32 s3, s0, 0x2f800000
	s_delay_alu instid0(SALU_CYCLE_3) | instskip(NEXT) | instid1(SALU_CYCLE_3)
	s_trunc_f32 s3, s3
	s_fmamk_f32 s0, s3, 0xcf800000, s0
	s_cvt_u32_f32 s37, s3
	s_delay_alu instid0(SALU_CYCLE_2) | instskip(NEXT) | instid1(SALU_CYCLE_3)
	s_cvt_u32_f32 s36, s0
	s_mul_u64 s[40:41], s[38:39], s[36:37]
	s_delay_alu instid0(SALU_CYCLE_1)
	s_mul_hi_u32 s43, s36, s41
	s_mul_i32 s42, s36, s41
	s_mul_hi_u32 s16, s36, s40
	s_mul_i32 s3, s37, s40
	s_add_nc_u64 s[42:43], s[16:17], s[42:43]
	s_mul_hi_u32 s0, s37, s40
	s_mul_hi_u32 s44, s37, s41
	s_add_co_u32 s3, s42, s3
	s_add_co_ci_u32 s16, s43, s0
	s_mul_i32 s40, s37, s41
	s_add_co_ci_u32 s41, s44, 0
	s_delay_alu instid0(SALU_CYCLE_1) | instskip(NEXT) | instid1(SALU_CYCLE_1)
	s_add_nc_u64 s[40:41], s[16:17], s[40:41]
	s_add_co_u32 s36, s36, s40
	s_cselect_b32 s0, -1, 0
	s_delay_alu instid0(SALU_CYCLE_1) | instskip(SKIP_1) | instid1(SALU_CYCLE_1)
	s_cmp_lg_u32 s0, 0
	s_add_co_ci_u32 s37, s37, s41
	s_mul_u64 s[38:39], s[38:39], s[36:37]
	s_delay_alu instid0(SALU_CYCLE_1)
	s_mul_hi_u32 s41, s36, s39
	s_mul_i32 s40, s36, s39
	s_mul_hi_u32 s16, s36, s38
	s_mul_i32 s3, s37, s38
	s_add_nc_u64 s[40:41], s[16:17], s[40:41]
	s_mul_hi_u32 s0, s37, s38
	s_mul_hi_u32 s42, s37, s39
	s_add_co_u32 s3, s40, s3
	s_add_co_ci_u32 s16, s41, s0
	s_mul_i32 s38, s37, s39
	s_add_co_ci_u32 s39, s42, 0
	s_delay_alu instid0(SALU_CYCLE_1) | instskip(NEXT) | instid1(SALU_CYCLE_1)
	s_add_nc_u64 s[38:39], s[16:17], s[38:39]
	s_add_co_u32 s0, s36, s38
	s_cselect_b32 s3, -1, 0
	v_mul_hi_u32 v62, v54, s0
	s_cmp_lg_u32 s3, 0
	s_add_co_ci_u32 s16, s37, s39
	s_and_b64 s[36:37], s[0:1], s[22:23]
	v_mul_u64_e32 v[56:57], s[16:17], v[54:55]
	v_mul_u64_e32 v[52:53], s[36:37], v[58:59]
	;; [unrolled: 1-line block ×3, first 2 shown]
	s_delay_alu instid0(VALU_DEP_3) | instskip(NEXT) | instid1(VALU_DEP_1)
	v_add_nc_u64_e32 v[56:57], v[62:63], v[56:57]
	v_add_co_u32 v7, vcc_lo, v56, v52
	s_delay_alu instid0(VALU_DEP_2) | instskip(NEXT) | instid1(VALU_DEP_4)
	v_add_co_ci_u32_e32 v62, vcc_lo, v57, v53, vcc_lo
	v_add_co_ci_u32_e32 v61, vcc_lo, 0, v61, vcc_lo
	s_delay_alu instid0(VALU_DEP_1) | instskip(NEXT) | instid1(VALU_DEP_1)
	v_add_nc_u64_e32 v[52:53], v[62:63], v[60:61]
	v_mul_u64_e32 v[56:57], s[24:25], v[52:53]
	s_delay_alu instid0(VALU_DEP_1) | instskip(NEXT) | instid1(VALU_DEP_2)
	v_sub_nc_u32_e32 v7, v58, v57
	v_sub_co_u32 v29, vcc_lo, v54, v56
	s_delay_alu instid0(VALU_DEP_1) | instskip(NEXT) | instid1(VALU_DEP_3)
	v_sub_co_ci_u32_e64 v39, null, v58, v57, vcc_lo
	v_subrev_co_ci_u32_e64 v7, null, s25, v7, vcc_lo
	s_delay_alu instid0(VALU_DEP_3) | instskip(SKIP_1) | instid1(VALU_DEP_3)
	v_sub_co_u32 v37, s0, v29, s24
	v_add_nc_u64_e32 v[56:57], 1, v[52:53]
	v_subrev_co_ci_u32_e64 v7, null, 0, v7, s0
	s_delay_alu instid0(VALU_DEP_3) | instskip(SKIP_1) | instid1(VALU_DEP_3)
	v_cmp_le_u32_e32 vcc_lo, s24, v37
	v_cndmask_b32_e64 v37, 0, -1, vcc_lo
	v_cmp_le_u32_e32 vcc_lo, s25, v7
	v_cndmask_b32_e64 v54, 0, -1, vcc_lo
	;; [unrolled: 2-line block ×4, first 2 shown]
	v_cmp_eq_u32_e32 vcc_lo, s25, v7
	v_cndmask_b32_e32 v7, v54, v37, vcc_lo
	v_cmp_eq_u32_e32 vcc_lo, s25, v39
	v_add_nc_u64_e32 v[54:55], 2, v[52:53]
	v_mov_b32_e32 v39, v38
	v_cndmask_b32_e32 v29, v58, v29, vcc_lo
	v_cmp_ne_u32_e32 vcc_lo, 0, v7
	s_delay_alu instid0(VALU_DEP_2) | instskip(SKIP_1) | instid1(VALU_DEP_1)
	v_cmp_ne_u32_e64 s0, 0, v29
	v_dual_cndmask_b32 v7, v57, v55, vcc_lo :: v_dual_cndmask_b32 v29, v56, v54, vcc_lo
	v_dual_cndmask_b32 v7, v53, v7, s0 :: v_dual_cndmask_b32 v29, v52, v29, s0
	s_delay_alu instid0(VALU_DEP_1) | instskip(NEXT) | instid1(VALU_DEP_2)
	v_xor_b32_e32 v53, v7, v38
	v_xor_b32_e32 v52, v29, v38
	s_delay_alu instid0(VALU_DEP_1)
	v_sub_nc_u64_e32 v[38:39], v[52:53], v[38:39]
.LBB139_15:                             ;   in Loop: Header=BB139_13 Depth=2
	s_and_not1_saveexec_b32 s0, s35
	s_cbranch_execz .LBB139_17
; %bb.16:                               ;   in Loop: Header=BB139_13 Depth=2
	v_cvt_f32_u32_e32 v7, s8
	v_mov_b32_e32 v39, v6
	s_delay_alu instid0(VALU_DEP_2) | instskip(SKIP_1) | instid1(TRANS32_DEP_1)
	v_rcp_iflag_f32_e32 v7, v7
	v_nop
	v_mul_f32_e32 v7, 0x4f7ffffe, v7
	s_delay_alu instid0(VALU_DEP_1) | instskip(NEXT) | instid1(VALU_DEP_1)
	v_cvt_u32_f32_e32 v7, v7
	v_mul_lo_u32 v29, s30, v7
	s_delay_alu instid0(VALU_DEP_1) | instskip(NEXT) | instid1(VALU_DEP_1)
	v_mul_hi_u32 v29, v7, v29
	v_add_nc_u32_e32 v7, v7, v29
	s_delay_alu instid0(VALU_DEP_1) | instskip(NEXT) | instid1(VALU_DEP_1)
	v_mul_hi_u32 v7, v36, v7
	v_mul_lo_u32 v29, v7, s8
	s_delay_alu instid0(VALU_DEP_1) | instskip(NEXT) | instid1(VALU_DEP_1)
	v_sub_nc_u32_e32 v29, v36, v29
	v_subrev_nc_u32_e32 v38, s8, v29
	v_cmp_le_u32_e32 vcc_lo, s8, v29
	s_delay_alu instid0(VALU_DEP_2) | instskip(NEXT) | instid1(VALU_DEP_1)
	v_dual_add_nc_u32 v37, 1, v7 :: v_dual_cndmask_b32 v29, v29, v38, vcc_lo
	v_cndmask_b32_e32 v7, v7, v37, vcc_lo
	s_delay_alu instid0(VALU_DEP_2) | instskip(NEXT) | instid1(VALU_DEP_2)
	v_cmp_le_u32_e32 vcc_lo, s8, v29
	v_add_nc_u32_e32 v37, 1, v7
	s_delay_alu instid0(VALU_DEP_1)
	v_cndmask_b32_e32 v38, v7, v37, vcc_lo
.LBB139_17:                             ;   in Loop: Header=BB139_13 Depth=2
	s_or_b32 exec_lo, exec_lo, s0
	s_delay_alu instid0(VALU_DEP_1) | instskip(SKIP_2) | instid1(SALU_CYCLE_1)
	v_cmp_ne_u64_e64 s0, v[38:39], v[26:27]
	v_cmp_eq_u64_e32 vcc_lo, v[38:39], v[26:27]
	s_and_saveexec_b32 s3, s0
	s_xor_b32 s0, exec_lo, s3
; %bb.18:                               ;   in Loop: Header=BB139_13 Depth=2
	v_min_i64 v[22:23], v[38:39], v[22:23]
                                        ; implicit-def: $vgpr36_vgpr37
                                        ; implicit-def: $vgpr34_vgpr35
; %bb.19:                               ;   in Loop: Header=BB139_13 Depth=2
	s_or_saveexec_b32 s0, s0
	v_mov_b64_e32 v[38:39], v[24:25]
	s_xor_b32 exec_lo, exec_lo, s0
	s_cbranch_execz .LBB139_12
; %bb.20:                               ;   in Loop: Header=BB139_13 Depth=2
	global_load_b64 v[52:53], v[30:31], off
	v_sub_nc_u32_e32 v7, v36, v28
	v_mov_b64_e32 v[38:39], v[34:35]
	s_delay_alu instid0(VALU_DEP_2)
	v_lshl_add_u32 v7, v7, 3, v41
	ds_store_b8 v40, v51 offset:8192
	s_wait_loadcnt 0x0
	ds_store_b64 v7, v[52:53]
	s_branch .LBB139_12
.LBB139_21:                             ;   in Loop: Header=BB139_10 Depth=1
	s_or_b32 exec_lo, exec_lo, s34
.LBB139_22:                             ;   in Loop: Header=BB139_10 Depth=1
	s_delay_alu instid0(SALU_CYCLE_1)
	s_or_b32 exec_lo, exec_lo, s33
	ds_bpermute_b32 v24, v43, v38
	ds_bpermute_b32 v25, v43, v39
	s_wait_dscnt 0x0
	ds_load_u8 v7, v40 offset:8192
	s_mov_b32 s0, exec_lo
	v_min_i64 v[24:25], v[24:25], v[38:39]
	s_wait_dscnt 0x0
	v_and_b32_e32 v7, 1, v7
	ds_bpermute_b32 v28, v44, v24
	ds_bpermute_b32 v29, v44, v25
	s_wait_dscnt 0x0
	v_min_i64 v[24:25], v[28:29], v[24:25]
	v_mov_b64_e32 v[28:29], 0
	ds_bpermute_b32 v24, v45, v24
	ds_bpermute_b32 v25, v45, v25
	v_cmpx_eq_u32_e32 1, v7
	s_cbranch_execz .LBB139_9
; %bb.23:                               ;   in Loop: Header=BB139_10 Depth=1
	v_mul_u64_e32 v[28:29], s[14:15], v[4:5]
	v_add_nc_u64_e32 v[32:33], s[12:13], v[26:27]
	s_delay_alu instid0(VALU_DEP_2) | instskip(NEXT) | instid1(VALU_DEP_1)
	v_lshlrev_b64_e32 v[30:31], 3, v[28:29]
	v_add_nc_u64_e32 v[28:29], v[8:9], v[30:31]
	v_add_nc_u64_e32 v[26:27], v[18:19], v[30:31]
	v_lshl_add_u64 v[30:31], v[4:5], 3, s[4:5]
	global_store_b64 v[30:31], v[32:33], off
	s_wait_xcnt 0x0
	s_and_saveexec_b32 s3, s27
	s_cbranch_execz .LBB139_27
; %bb.24:                               ;   in Loop: Header=BB139_10 Depth=1
	ds_load_b64 v[30:31], v42
	s_and_b32 vcc_lo, exec_lo, s26
	s_cbranch_vccz .LBB139_38
; %bb.25:                               ;   in Loop: Header=BB139_10 Depth=1
	v_lshl_add_u64 v[32:33], v[10:11], 3, v[28:29]
	s_wait_dscnt 0x0
	global_store_b64 v[32:33], v[30:31], off
	s_cbranch_execnz .LBB139_27
.LBB139_26:                             ;   in Loop: Header=BB139_10 Depth=1
	s_wait_xcnt 0x0
	v_dual_mov_b32 v33, v6 :: v_dual_lshlrev_b32 v32, 3, v0
	s_delay_alu instid0(VALU_DEP_1)
	v_add_nc_u64_e32 v[32:33], v[26:27], v[32:33]
	s_wait_dscnt 0x0
	global_store_b64 v[32:33], v[30:31], off
.LBB139_27:                             ;   in Loop: Header=BB139_10 Depth=1
	s_wait_xcnt 0x0
	s_or_b32 exec_lo, exec_lo, s3
	s_and_saveexec_b32 s3, s28
	s_cbranch_execz .LBB139_31
; %bb.28:                               ;   in Loop: Header=BB139_10 Depth=1
	s_and_not1_b32 vcc_lo, exec_lo, s26
	s_cbranch_vccnz .LBB139_39
; %bb.29:                               ;   in Loop: Header=BB139_10 Depth=1
	s_wait_dscnt 0x0
	ds_load_b64 v[30:31], v42 offset:32
	v_lshl_add_u64 v[32:33], v[12:13], 3, v[28:29]
	s_wait_dscnt 0x0
	global_store_b64 v[32:33], v[30:31], off
	s_cbranch_execnz .LBB139_31
.LBB139_30:                             ;   in Loop: Header=BB139_10 Depth=1
	s_wait_dscnt 0x0
	s_wait_xcnt 0x0
	ds_load_b64 v[30:31], v42 offset:32
	v_dual_mov_b32 v33, v6 :: v_dual_lshlrev_b32 v32, 3, v0
	s_delay_alu instid0(VALU_DEP_1)
	v_add_nc_u64_e32 v[32:33], v[26:27], v[32:33]
	s_wait_dscnt 0x0
	global_store_b64 v[32:33], v[30:31], off offset:32
.LBB139_31:                             ;   in Loop: Header=BB139_10 Depth=1
	s_wait_xcnt 0x0
	s_or_b32 exec_lo, exec_lo, s3
	s_and_saveexec_b32 s3, s1
	s_cbranch_execz .LBB139_35
; %bb.32:                               ;   in Loop: Header=BB139_10 Depth=1
	s_and_not1_b32 vcc_lo, exec_lo, s26
	s_cbranch_vccnz .LBB139_40
; %bb.33:                               ;   in Loop: Header=BB139_10 Depth=1
	s_wait_dscnt 0x0
	ds_load_b64 v[30:31], v42 offset:64
	v_lshl_add_u64 v[32:33], v[14:15], 3, v[28:29]
	s_wait_dscnt 0x0
	global_store_b64 v[32:33], v[30:31], off
	s_cbranch_execnz .LBB139_35
.LBB139_34:                             ;   in Loop: Header=BB139_10 Depth=1
	s_wait_dscnt 0x0
	s_wait_xcnt 0x0
	ds_load_b64 v[30:31], v42 offset:64
	v_dual_mov_b32 v33, v6 :: v_dual_lshlrev_b32 v32, 3, v0
	s_delay_alu instid0(VALU_DEP_1)
	v_add_nc_u64_e32 v[32:33], v[26:27], v[32:33]
	s_wait_dscnt 0x0
	global_store_b64 v[32:33], v[30:31], off offset:64
.LBB139_35:                             ;   in Loop: Header=BB139_10 Depth=1
	s_wait_xcnt 0x0
	s_or_b32 exec_lo, exec_lo, s3
	s_and_saveexec_b32 s3, s29
	s_cbranch_execz .LBB139_8
; %bb.36:                               ;   in Loop: Header=BB139_10 Depth=1
	s_and_not1_b32 vcc_lo, exec_lo, s26
	s_cbranch_vccnz .LBB139_41
; %bb.37:                               ;   in Loop: Header=BB139_10 Depth=1
	s_wait_dscnt 0x0
	ds_load_b64 v[30:31], v42 offset:96
	v_lshl_add_u64 v[28:29], v[16:17], 3, v[28:29]
	s_wait_dscnt 0x0
	global_store_b64 v[28:29], v[30:31], off
	s_cbranch_execnz .LBB139_8
	s_branch .LBB139_42
.LBB139_38:                             ;   in Loop: Header=BB139_10 Depth=1
	s_branch .LBB139_26
.LBB139_39:                             ;   in Loop: Header=BB139_10 Depth=1
	s_branch .LBB139_30
.LBB139_40:                             ;   in Loop: Header=BB139_10 Depth=1
	s_branch .LBB139_34
.LBB139_41:                             ;   in Loop: Header=BB139_10 Depth=1
.LBB139_42:                             ;   in Loop: Header=BB139_10 Depth=1
	s_wait_xcnt 0x0
	ds_load_b64 v[28:29], v42 offset:96
	s_wait_dscnt 0x1
	v_dual_mov_b32 v31, v6 :: v_dual_lshlrev_b32 v30, 3, v0
	s_delay_alu instid0(VALU_DEP_1)
	v_add_nc_u64_e32 v[26:27], v[26:27], v[30:31]
	s_wait_dscnt 0x0
	global_store_b64 v[26:27], v[28:29], off offset:96
	s_branch .LBB139_8
.LBB139_43:
	s_endpgm
	.section	.rodata,"a",@progbits
	.p2align	6, 0x0
	.amdhsa_kernel _ZN9rocsparseL42csr2bsr_wavefront_per_row_multipass_kernelILj256ELj64ELj16EdllEEv20rocsparse_direction_T4_S2_S2_S2_S2_21rocsparse_index_base_PKT2_PKT3_PKS2_S3_PS4_PS7_PS2_
		.amdhsa_group_segment_fixed_size 8200
		.amdhsa_private_segment_fixed_size 0
		.amdhsa_kernarg_size 112
		.amdhsa_user_sgpr_count 2
		.amdhsa_user_sgpr_dispatch_ptr 0
		.amdhsa_user_sgpr_queue_ptr 0
		.amdhsa_user_sgpr_kernarg_segment_ptr 1
		.amdhsa_user_sgpr_dispatch_id 0
		.amdhsa_user_sgpr_kernarg_preload_length 0
		.amdhsa_user_sgpr_kernarg_preload_offset 0
		.amdhsa_user_sgpr_private_segment_size 0
		.amdhsa_wavefront_size32 1
		.amdhsa_uses_dynamic_stack 0
		.amdhsa_enable_private_segment 0
		.amdhsa_system_sgpr_workgroup_id_x 1
		.amdhsa_system_sgpr_workgroup_id_y 0
		.amdhsa_system_sgpr_workgroup_id_z 0
		.amdhsa_system_sgpr_workgroup_info 0
		.amdhsa_system_vgpr_workitem_id 0
		.amdhsa_next_free_vgpr 64
		.amdhsa_next_free_sgpr 45
		.amdhsa_named_barrier_count 0
		.amdhsa_reserve_vcc 1
		.amdhsa_float_round_mode_32 0
		.amdhsa_float_round_mode_16_64 0
		.amdhsa_float_denorm_mode_32 3
		.amdhsa_float_denorm_mode_16_64 3
		.amdhsa_fp16_overflow 0
		.amdhsa_memory_ordered 1
		.amdhsa_forward_progress 1
		.amdhsa_inst_pref_size 21
		.amdhsa_round_robin_scheduling 0
		.amdhsa_exception_fp_ieee_invalid_op 0
		.amdhsa_exception_fp_denorm_src 0
		.amdhsa_exception_fp_ieee_div_zero 0
		.amdhsa_exception_fp_ieee_overflow 0
		.amdhsa_exception_fp_ieee_underflow 0
		.amdhsa_exception_fp_ieee_inexact 0
		.amdhsa_exception_int_div_zero 0
	.end_amdhsa_kernel
	.section	.text._ZN9rocsparseL42csr2bsr_wavefront_per_row_multipass_kernelILj256ELj64ELj16EdllEEv20rocsparse_direction_T4_S2_S2_S2_S2_21rocsparse_index_base_PKT2_PKT3_PKS2_S3_PS4_PS7_PS2_,"axG",@progbits,_ZN9rocsparseL42csr2bsr_wavefront_per_row_multipass_kernelILj256ELj64ELj16EdllEEv20rocsparse_direction_T4_S2_S2_S2_S2_21rocsparse_index_base_PKT2_PKT3_PKS2_S3_PS4_PS7_PS2_,comdat
.Lfunc_end139:
	.size	_ZN9rocsparseL42csr2bsr_wavefront_per_row_multipass_kernelILj256ELj64ELj16EdllEEv20rocsparse_direction_T4_S2_S2_S2_S2_21rocsparse_index_base_PKT2_PKT3_PKS2_S3_PS4_PS7_PS2_, .Lfunc_end139-_ZN9rocsparseL42csr2bsr_wavefront_per_row_multipass_kernelILj256ELj64ELj16EdllEEv20rocsparse_direction_T4_S2_S2_S2_S2_21rocsparse_index_base_PKT2_PKT3_PKS2_S3_PS4_PS7_PS2_
                                        ; -- End function
	.set _ZN9rocsparseL42csr2bsr_wavefront_per_row_multipass_kernelILj256ELj64ELj16EdllEEv20rocsparse_direction_T4_S2_S2_S2_S2_21rocsparse_index_base_PKT2_PKT3_PKS2_S3_PS4_PS7_PS2_.num_vgpr, 64
	.set _ZN9rocsparseL42csr2bsr_wavefront_per_row_multipass_kernelILj256ELj64ELj16EdllEEv20rocsparse_direction_T4_S2_S2_S2_S2_21rocsparse_index_base_PKT2_PKT3_PKS2_S3_PS4_PS7_PS2_.num_agpr, 0
	.set _ZN9rocsparseL42csr2bsr_wavefront_per_row_multipass_kernelILj256ELj64ELj16EdllEEv20rocsparse_direction_T4_S2_S2_S2_S2_21rocsparse_index_base_PKT2_PKT3_PKS2_S3_PS4_PS7_PS2_.numbered_sgpr, 45
	.set _ZN9rocsparseL42csr2bsr_wavefront_per_row_multipass_kernelILj256ELj64ELj16EdllEEv20rocsparse_direction_T4_S2_S2_S2_S2_21rocsparse_index_base_PKT2_PKT3_PKS2_S3_PS4_PS7_PS2_.num_named_barrier, 0
	.set _ZN9rocsparseL42csr2bsr_wavefront_per_row_multipass_kernelILj256ELj64ELj16EdllEEv20rocsparse_direction_T4_S2_S2_S2_S2_21rocsparse_index_base_PKT2_PKT3_PKS2_S3_PS4_PS7_PS2_.private_seg_size, 0
	.set _ZN9rocsparseL42csr2bsr_wavefront_per_row_multipass_kernelILj256ELj64ELj16EdllEEv20rocsparse_direction_T4_S2_S2_S2_S2_21rocsparse_index_base_PKT2_PKT3_PKS2_S3_PS4_PS7_PS2_.uses_vcc, 1
	.set _ZN9rocsparseL42csr2bsr_wavefront_per_row_multipass_kernelILj256ELj64ELj16EdllEEv20rocsparse_direction_T4_S2_S2_S2_S2_21rocsparse_index_base_PKT2_PKT3_PKS2_S3_PS4_PS7_PS2_.uses_flat_scratch, 0
	.set _ZN9rocsparseL42csr2bsr_wavefront_per_row_multipass_kernelILj256ELj64ELj16EdllEEv20rocsparse_direction_T4_S2_S2_S2_S2_21rocsparse_index_base_PKT2_PKT3_PKS2_S3_PS4_PS7_PS2_.has_dyn_sized_stack, 0
	.set _ZN9rocsparseL42csr2bsr_wavefront_per_row_multipass_kernelILj256ELj64ELj16EdllEEv20rocsparse_direction_T4_S2_S2_S2_S2_21rocsparse_index_base_PKT2_PKT3_PKS2_S3_PS4_PS7_PS2_.has_recursion, 0
	.set _ZN9rocsparseL42csr2bsr_wavefront_per_row_multipass_kernelILj256ELj64ELj16EdllEEv20rocsparse_direction_T4_S2_S2_S2_S2_21rocsparse_index_base_PKT2_PKT3_PKS2_S3_PS4_PS7_PS2_.has_indirect_call, 0
	.section	.AMDGPU.csdata,"",@progbits
; Kernel info:
; codeLenInByte = 2636
; TotalNumSgprs: 47
; NumVgprs: 64
; ScratchSize: 0
; MemoryBound: 0
; FloatMode: 240
; IeeeMode: 1
; LDSByteSize: 8200 bytes/workgroup (compile time only)
; SGPRBlocks: 0
; VGPRBlocks: 3
; NumSGPRsForWavesPerEU: 47
; NumVGPRsForWavesPerEU: 64
; NamedBarCnt: 0
; Occupancy: 16
; WaveLimiterHint : 0
; COMPUTE_PGM_RSRC2:SCRATCH_EN: 0
; COMPUTE_PGM_RSRC2:USER_SGPR: 2
; COMPUTE_PGM_RSRC2:TRAP_HANDLER: 0
; COMPUTE_PGM_RSRC2:TGID_X_EN: 1
; COMPUTE_PGM_RSRC2:TGID_Y_EN: 0
; COMPUTE_PGM_RSRC2:TGID_Z_EN: 0
; COMPUTE_PGM_RSRC2:TIDIG_COMP_CNT: 0
	.section	.text._ZN9rocsparseL42csr2bsr_wavefront_per_row_multipass_kernelILj256ELj32ELj16EdllEEv20rocsparse_direction_T4_S2_S2_S2_S2_21rocsparse_index_base_PKT2_PKT3_PKS2_S3_PS4_PS7_PS2_,"axG",@progbits,_ZN9rocsparseL42csr2bsr_wavefront_per_row_multipass_kernelILj256ELj32ELj16EdllEEv20rocsparse_direction_T4_S2_S2_S2_S2_21rocsparse_index_base_PKT2_PKT3_PKS2_S3_PS4_PS7_PS2_,comdat
	.globl	_ZN9rocsparseL42csr2bsr_wavefront_per_row_multipass_kernelILj256ELj32ELj16EdllEEv20rocsparse_direction_T4_S2_S2_S2_S2_21rocsparse_index_base_PKT2_PKT3_PKS2_S3_PS4_PS7_PS2_ ; -- Begin function _ZN9rocsparseL42csr2bsr_wavefront_per_row_multipass_kernelILj256ELj32ELj16EdllEEv20rocsparse_direction_T4_S2_S2_S2_S2_21rocsparse_index_base_PKT2_PKT3_PKS2_S3_PS4_PS7_PS2_
	.p2align	8
	.type	_ZN9rocsparseL42csr2bsr_wavefront_per_row_multipass_kernelILj256ELj32ELj16EdllEEv20rocsparse_direction_T4_S2_S2_S2_S2_21rocsparse_index_base_PKT2_PKT3_PKS2_S3_PS4_PS7_PS2_,@function
_ZN9rocsparseL42csr2bsr_wavefront_per_row_multipass_kernelILj256ELj32ELj16EdllEEv20rocsparse_direction_T4_S2_S2_S2_S2_21rocsparse_index_base_PKT2_PKT3_PKS2_S3_PS4_PS7_PS2_: ; @_ZN9rocsparseL42csr2bsr_wavefront_per_row_multipass_kernelILj256ELj32ELj16EdllEEv20rocsparse_direction_T4_S2_S2_S2_S2_21rocsparse_index_base_PKT2_PKT3_PKS2_S3_PS4_PS7_PS2_
; %bb.0:
	s_bfe_u32 s2, ttmp6, 0x4000c
	s_clause 0x1
	s_load_b96 s[12:14], s[0:1], 0x28
	s_load_b64 s[6:7], s[0:1], 0x40
	s_add_co_i32 s2, s2, 1
	s_and_b32 s3, ttmp6, 15
	s_mul_i32 s2, ttmp9, s2
	s_getreg_b32 s4, hwreg(HW_REG_IB_STS2, 6, 4)
	s_add_co_i32 s3, s3, s2
	s_cmp_eq_u32 s4, 0
	v_dual_mov_b32 v7, 0 :: v_dual_lshrrev_b32 v50, 5, v0
	s_cselect_b32 s4, ttmp9, s3
	v_bfe_u32 v6, v0, 1, 4
	s_ashr_i32 s5, s4, 31
	v_mov_b64_e32 v[34:35], 0
	s_lshl_b64 s[2:3], s[4:5], 3
	s_mov_b32 s15, 0
	v_or_b32_e32 v1, s2, v50
	s_load_b128 s[8:11], s[0:1], 0x18
	s_wait_kmcnt 0x0
	s_delay_alu instid0(VALU_DEP_1) | instskip(NEXT) | instid1(VALU_DEP_1)
	v_mad_nc_u64_u32 v[4:5], v1, s12, v[6:7]
	v_mad_u32 v2, s3, s12, v5
	s_load_b64 s[2:3], s[0:1], 0x8
	s_delay_alu instid0(VALU_DEP_1) | instskip(SKIP_2) | instid1(VALU_DEP_2)
	v_mad_u32 v5, v1, s13, v2
	v_mov_b64_e32 v[2:3], 0
	s_wait_kmcnt 0x0
	v_cmp_gt_i64_e32 vcc_lo, s[2:3], v[4:5]
	v_cmp_gt_i64_e64 s2, s[12:13], v[6:7]
	s_and_b32 s3, s2, vcc_lo
	s_delay_alu instid0(SALU_CYCLE_1)
	s_and_saveexec_b32 s5, s3
	s_cbranch_execz .LBB140_2
; %bb.1:
	v_lshl_add_u64 v[8:9], v[4:5], 3, s[6:7]
	global_load_b64 v[8:9], v[8:9], off
	s_wait_loadcnt 0x0
	v_sub_nc_u64_e64 v[34:35], v[8:9], s[14:15]
.LBB140_2:
	s_or_b32 exec_lo, exec_lo, s5
	s_and_saveexec_b32 s5, s3
	s_cbranch_execz .LBB140_4
; %bb.3:
	v_lshl_add_u64 v[2:3], v[4:5], 3, s[6:7]
	global_load_b64 v[2:3], v[2:3], off offset:8
	s_wait_loadcnt 0x0
	v_sub_nc_u64_e64 v[2:3], v[2:3], s[14:15]
.LBB140_4:
	s_or_b32 exec_lo, exec_lo, s5
	s_load_b32 s16, s[0:1], 0x50
	v_mov_b64_e32 v[4:5], 0
	v_lshl_or_b32 v8, s4, 3, v50
	v_mov_b32_e32 v9, 0
	s_mov_b32 s3, exec_lo
	s_delay_alu instid0(VALU_DEP_1)
	v_cmpx_gt_i64_e64 s[8:9], v[8:9]
	s_cbranch_execz .LBB140_6
; %bb.5:
	s_load_b64 s[4:5], s[0:1], 0x60
	s_mov_b32 s17, 0
	s_wait_kmcnt 0x0
	v_lshl_add_u64 v[4:5], v[8:9], 3, s[4:5]
	global_load_b64 v[4:5], v[4:5], off
	s_wait_loadcnt 0x0
	v_sub_nc_u64_e64 v[4:5], v[4:5], s[16:17]
.LBB140_6:
	s_or_b32 exec_lo, exec_lo, s3
	v_cmp_lt_i64_e64 s3, s[10:11], 1
	s_and_b32 vcc_lo, exec_lo, s3
	s_cbranch_vccnz .LBB140_63
; %bb.7:
	v_mbcnt_lo_u32_b32 v12, -1, 0
	v_mul_u64_e32 v[10:11], s[12:13], v[6:7]
	v_dual_lshlrev_b32 v8, 3, v6 :: v_dual_lshlrev_b32 v1, 7, v6
	s_delay_alu instid0(VALU_DEP_3)
	v_dual_mov_b32 v6, 0 :: v_dual_bitop2_b32 v7, 1, v12 bitop3:0x14
	s_clause 0x4
	s_load_b64 s[4:5], s[0:1], 0x58
	s_load_b64 s[8:9], s[0:1], 0x68
	;; [unrolled: 1-line block ×4, first 2 shown]
	s_load_b32 s3, s[0:1], 0x0
	v_and_b32_e32 v0, 1, v0
	v_lshl_or_b32 v51, v50, 11, v1
	v_lshl_or_b32 v54, v12, 2, 4
	v_cmp_gt_i32_e32 vcc_lo, 32, v7
	s_delay_alu instid0(VALU_DEP_4) | instskip(SKIP_4) | instid1(VALU_DEP_3)
	v_dual_mov_b32 v9, v6 :: v_dual_bitop2_b32 v28, 2, v0 bitop3:0x54
	v_dual_mov_b32 v31, v6 :: v_dual_bitop2_b32 v30, 4, v0 bitop3:0x54
	v_dual_mov_b32 v33, v6 :: v_dual_cndmask_b32 v7, v12, v7, vcc_lo
	v_dual_mov_b32 v1, v6 :: v_dual_bitop2_b32 v32, 6, v0 bitop3:0x54
	v_dual_mov_b32 v37, v6 :: v_dual_bitop2_b32 v36, 8, v0 bitop3:0x54
	v_dual_mov_b32 v39, v6 :: v_dual_lshlrev_b32 v53, 2, v7
	v_xor_b32_e32 v7, 16, v12
	v_dual_mov_b32 v41, v6 :: v_dual_bitop2_b32 v38, 10, v0 bitop3:0x54
	v_dual_mov_b32 v43, v6 :: v_dual_bitop2_b32 v40, 12, v0 bitop3:0x54
	s_delay_alu instid0(VALU_DEP_3) | instskip(SKIP_4) | instid1(VALU_DEP_4)
	v_cmp_gt_i32_e32 vcc_lo, 32, v7
	v_xor_b32_e32 v13, 8, v12
	v_dual_mov_b32 v60, 1 :: v_dual_bitop2_b32 v42, 14, v0 bitop3:0x54
	v_mul_u64_e32 v[16:17], s[12:13], v[30:31]
	v_cndmask_b32_e32 v7, v12, v7, vcc_lo
	v_cmp_gt_i32_e32 vcc_lo, 32, v13
	v_xor_b32_e32 v14, 4, v12
	v_mul_u64_e32 v[18:19], s[12:13], v[32:33]
	v_mul_u64_e32 v[20:21], s[12:13], v[36:37]
	;; [unrolled: 1-line block ×3, first 2 shown]
	v_cndmask_b32_e32 v13, v12, v13, vcc_lo
	v_cmp_gt_i32_e32 vcc_lo, 32, v14
	v_xor_b32_e32 v15, 2, v12
	v_mul_u64_e32 v[24:25], s[12:13], v[40:41]
	v_mul_u64_e32 v[26:27], s[12:13], v[42:43]
	s_wait_kmcnt 0x0
	s_cmp_lg_u32 s3, 0
	v_dual_cndmask_b32 v14, v12, v14 :: v_dual_lshlrev_b32 v55, 2, v7
	v_cvt_f32_u32_e32 v7, s12
	v_cmp_gt_i32_e32 vcc_lo, 32, v15
	v_dual_mov_b32 v29, v6 :: v_dual_lshlrev_b32 v56, 2, v13
	s_delay_alu instid0(VALU_DEP_4) | instskip(NEXT) | instid1(VALU_DEP_4)
	v_lshlrev_b32_e32 v57, 2, v14
	v_rcp_iflag_f32_e32 v7, v7
	v_cndmask_b32_e32 v12, v12, v15, vcc_lo
	s_cselect_b32 s26, -1, 0
	v_mul_u64_e32 v[14:15], s[12:13], v[28:29]
	s_sub_co_i32 s0, 0, s12
	v_cmp_gt_u64_e64 s1, s[12:13], v[30:31]
	s_delay_alu instid0(TRANS32_DEP_1)
	v_dual_mul_f32 v7, 0x4f7ffffe, v7 :: v_dual_lshlrev_b32 v58, 2, v12
	v_mul_u64_e32 v[12:13], s[12:13], v[0:1]
	v_add_nc_u64_e32 v[8:9], s[4:5], v[8:9]
	v_lshl_add_u64 v[10:11], v[10:11], 3, s[4:5]
	v_cmp_gt_u64_e32 vcc_lo, s[12:13], v[0:1]
	v_cvt_u32_f32_e32 v7, v7
	v_cmp_gt_u64_e64 s3, s[12:13], v[32:33]
	v_cmp_gt_u64_e64 s4, s[12:13], v[36:37]
	;; [unrolled: 1-line block ×4, first 2 shown]
	v_mul_lo_u32 v44, s0, v7
	v_cmp_gt_u64_e64 s0, s[12:13], v[28:29]
	v_cmp_gt_u64_e64 s7, s[12:13], v[42:43]
	v_mov_b64_e32 v[36:37], 0
	v_mov_b64_e32 v[28:29], 0
	v_lshl_or_b32 v52, v0, 3, v51
	v_mov_b32_e32 v59, 0x7c
	s_mov_b32 s25, 0
	s_mul_u64 s[22:23], s[12:13], s[12:13]
	s_mov_b32 s15, s25
	s_mov_b32 s17, s25
	v_mul_hi_u32 v30, v7, v44
	s_and_b32 s27, s2, vcc_lo
	s_and_b32 s28, s2, s0
	s_and_b32 s1, s2, s1
	;; [unrolled: 1-line block ×6, first 2 shown]
	s_mov_b64 s[4:5], 0xffffffff
	s_and_b32 s34, s2, s7
	s_ashr_i32 s2, s13, 31
	v_dual_add_nc_u32 v61, v7, v30 :: v_dual_lshlrev_b32 v30, 3, v0
	s_mov_b32 s35, 0
	s_branch .LBB140_10
.LBB140_8:                              ;   in Loop: Header=BB140_10 Depth=1
	s_wait_xcnt 0x0
	s_or_b32 exec_lo, exec_lo, s3
	v_mov_b64_e32 v[38:39], 1
.LBB140_9:                              ;   in Loop: Header=BB140_10 Depth=1
	s_or_b32 exec_lo, exec_lo, s0
	ds_bpermute_b32 v36, v55, v32
	ds_bpermute_b32 v37, v55, v33
	v_add_nc_u64_e32 v[4:5], v[38:39], v[4:5]
	s_wait_storecnt_dscnt 0x0
	v_min_i64 v[32:33], v[36:37], v[32:33]
	ds_bpermute_b32 v36, v56, v32
	ds_bpermute_b32 v37, v56, v33
	s_wait_dscnt 0x0
	v_min_i64 v[32:33], v[36:37], v[32:33]
	ds_bpermute_b32 v36, v57, v32
	ds_bpermute_b32 v37, v57, v33
	s_wait_dscnt 0x0
	v_min_i64 v[32:33], v[36:37], v[32:33]
	ds_bpermute_b32 v36, v58, v32
	ds_bpermute_b32 v37, v58, v33
	s_wait_dscnt 0x0
	v_min_i64 v[32:33], v[36:37], v[32:33]
	ds_bpermute_b32 v36, v53, v32
	ds_bpermute_b32 v37, v53, v33
	s_wait_dscnt 0x0
	v_min_i64 v[32:33], v[36:37], v[32:33]
	ds_bpermute_b32 v36, v59, v32
	ds_bpermute_b32 v37, v59, v33
	s_wait_dscnt 0x0
	v_cmp_le_i64_e32 vcc_lo, s[10:11], v[36:37]
	s_or_b32 s35, vcc_lo, s35
	s_delay_alu instid0(SALU_CYCLE_1)
	s_and_not1_b32 exec_lo, exec_lo, s35
	s_cbranch_execz .LBB140_63
.LBB140_10:                             ; =>This Loop Header: Depth=1
                                        ;     Child Loop BB140_13 Depth 2
	v_add_nc_u64_e32 v[34:35], v[34:35], v[0:1]
	v_mov_b64_e32 v[32:33], s[10:11]
	v_mov_b64_e32 v[48:49], v[2:3]
	s_mov_b32 s36, exec_lo
	ds_store_b8 v50, v6 offset:16384
	ds_store_2addr_b64 v52, v[28:29], v[28:29] offset1:2
	ds_store_2addr_b64 v52, v[28:29], v[28:29] offset0:4 offset1:6
	ds_store_2addr_b64 v52, v[28:29], v[28:29] offset0:8 offset1:10
	;; [unrolled: 1-line block ×3, first 2 shown]
	s_wait_dscnt 0x0
	v_cmpx_lt_i64_e64 v[34:35], v[2:3]
	s_cbranch_execz .LBB140_22
; %bb.11:                               ;   in Loop: Header=BB140_10 Depth=1
	v_mul_u64_e32 v[38:39], s[12:13], v[36:37]
	v_lshlrev_b64_e32 v[32:33], 3, v[34:35]
	v_mov_b64_e32 v[44:45], v[2:3]
	s_mov_b32 s37, 0
	s_delay_alu instid0(VALU_DEP_2)
	v_add_nc_u64_e32 v[40:41], s[20:21], v[32:33]
	v_add_nc_u64_e32 v[42:43], s[18:19], v[32:33]
	v_mov_b64_e32 v[32:33], s[10:11]
	s_branch .LBB140_13
.LBB140_12:                             ;   in Loop: Header=BB140_13 Depth=2
	s_wait_xcnt 0x0
	s_or_b32 exec_lo, exec_lo, s0
	v_add_nc_u64_e32 v[34:35], 2, v[34:35]
	s_xor_b32 s3, vcc_lo, -1
	v_add_nc_u64_e32 v[40:41], 16, v[40:41]
	v_add_nc_u64_e32 v[42:43], 16, v[42:43]
	v_mov_b64_e32 v[44:45], v[48:49]
	s_delay_alu instid0(VALU_DEP_4) | instskip(SKIP_1) | instid1(SALU_CYCLE_1)
	v_cmp_ge_i64_e64 s0, v[34:35], v[2:3]
	s_or_b32 s0, s3, s0
	s_and_b32 s0, exec_lo, s0
	s_delay_alu instid0(SALU_CYCLE_1) | instskip(NEXT) | instid1(SALU_CYCLE_1)
	s_or_b32 s37, s0, s37
	s_and_not1_b32 exec_lo, exec_lo, s37
	s_cbranch_execz .LBB140_21
.LBB140_13:                             ;   Parent Loop BB140_10 Depth=1
                                        ; =>  This Inner Loop Header: Depth=2
	global_load_b64 v[46:47], v[42:43], off
                                        ; implicit-def: $vgpr48_vgpr49
	s_mov_b32 s0, exec_lo
	s_wait_loadcnt 0x0
	v_sub_nc_u64_e64 v[46:47], v[46:47], s[14:15]
	s_delay_alu instid0(VALU_DEP_1) | instskip(SKIP_1) | instid1(VALU_DEP_1)
	v_or_b32_e32 v7, s13, v47
	s_wait_xcnt 0x0
	v_cmpx_ne_u64_e32 0, v[6:7]
	s_xor_b32 s38, exec_lo, s0
	s_cbranch_execz .LBB140_15
; %bb.14:                               ;   in Loop: Header=BB140_13 Depth=2
	s_mov_b32 s3, s2
	v_dual_mov_b32 v65, v6 :: v_dual_ashrrev_i32 v48, 31, v47
	s_add_nc_u64 s[6:7], s[12:13], s[2:3]
	s_delay_alu instid0(SALU_CYCLE_1) | instskip(NEXT) | instid1(VALU_DEP_1)
	s_xor_b64 s[6:7], s[6:7], s[2:3]
	v_mov_b32_e32 v49, v48
	s_cvt_f32_u32 s0, s6
	s_cvt_f32_u32 s3, s7
	s_sub_nc_u64 s[42:43], 0, s[6:7]
	s_delay_alu instid0(VALU_DEP_1) | instskip(NEXT) | instid1(SALU_CYCLE_1)
	v_add_nc_u64_e32 v[62:63], v[46:47], v[48:49]
	s_fmamk_f32 s0, s3, 0x4f800000, s0
	v_mov_b32_e32 v69, v6
	s_delay_alu instid0(SALU_CYCLE_2) | instskip(NEXT) | instid1(VALU_DEP_2)
	v_s_rcp_f32 s0, s0
	v_xor_b32_e32 v64, v62, v48
	s_delay_alu instid0(VALU_DEP_3) | instskip(NEXT) | instid1(TRANS32_DEP_1)
	v_dual_mov_b32 v73, v6 :: v_dual_bitop2_b32 v68, v63, v48 bitop3:0x14
	s_mul_f32 s0, s0, 0x5f7ffffc
	s_delay_alu instid0(SALU_CYCLE_3) | instskip(NEXT) | instid1(SALU_CYCLE_3)
	s_mul_f32 s3, s0, 0x2f800000
	s_trunc_f32 s3, s3
	s_delay_alu instid0(SALU_CYCLE_3) | instskip(SKIP_1) | instid1(SALU_CYCLE_2)
	s_fmamk_f32 s0, s3, 0xcf800000, s0
	s_cvt_u32_f32 s41, s3
	s_cvt_u32_f32 s40, s0
	s_delay_alu instid0(SALU_CYCLE_3) | instskip(NEXT) | instid1(SALU_CYCLE_1)
	s_mul_u64 s[44:45], s[42:43], s[40:41]
	s_mul_hi_u32 s47, s40, s45
	s_mul_i32 s46, s40, s45
	s_mul_hi_u32 s24, s40, s44
	s_mul_i32 s3, s41, s44
	s_add_nc_u64 s[46:47], s[24:25], s[46:47]
	s_mul_hi_u32 s0, s41, s44
	s_mul_hi_u32 s39, s41, s45
	s_add_co_u32 s3, s46, s3
	s_add_co_ci_u32 s24, s47, s0
	s_mul_i32 s44, s41, s45
	s_add_co_ci_u32 s45, s39, 0
	s_delay_alu instid0(SALU_CYCLE_1) | instskip(NEXT) | instid1(SALU_CYCLE_1)
	s_add_nc_u64 s[44:45], s[24:25], s[44:45]
	s_add_co_u32 s40, s40, s44
	s_cselect_b32 s0, -1, 0
	s_delay_alu instid0(SALU_CYCLE_1) | instskip(SKIP_1) | instid1(SALU_CYCLE_1)
	s_cmp_lg_u32 s0, 0
	s_add_co_ci_u32 s41, s41, s45
	s_mul_u64 s[42:43], s[42:43], s[40:41]
	s_delay_alu instid0(SALU_CYCLE_1)
	s_mul_hi_u32 s45, s40, s43
	s_mul_i32 s44, s40, s43
	s_mul_hi_u32 s24, s40, s42
	s_mul_i32 s3, s41, s42
	s_add_nc_u64 s[44:45], s[24:25], s[44:45]
	s_mul_hi_u32 s0, s41, s42
	s_mul_hi_u32 s39, s41, s43
	s_add_co_u32 s3, s44, s3
	s_add_co_ci_u32 s24, s45, s0
	s_mul_i32 s42, s41, s43
	s_add_co_ci_u32 s43, s39, 0
	s_delay_alu instid0(SALU_CYCLE_1) | instskip(NEXT) | instid1(SALU_CYCLE_1)
	s_add_nc_u64 s[42:43], s[24:25], s[42:43]
	s_add_co_u32 s0, s40, s42
	s_cselect_b32 s3, -1, 0
	v_mul_hi_u32 v72, v64, s0
	s_cmp_lg_u32 s3, 0
	s_add_co_ci_u32 s24, s41, s43
	s_and_b64 s[40:41], s[0:1], s[4:5]
	v_mul_u64_e32 v[66:67], s[24:25], v[64:65]
	v_mul_u64_e32 v[62:63], s[40:41], v[68:69]
	;; [unrolled: 1-line block ×3, first 2 shown]
	s_delay_alu instid0(VALU_DEP_3) | instskip(NEXT) | instid1(VALU_DEP_1)
	v_add_nc_u64_e32 v[66:67], v[72:73], v[66:67]
	v_add_co_u32 v7, vcc_lo, v66, v62
	s_delay_alu instid0(VALU_DEP_2) | instskip(NEXT) | instid1(VALU_DEP_4)
	v_add_co_ci_u32_e32 v72, vcc_lo, v67, v63, vcc_lo
	v_add_co_ci_u32_e32 v71, vcc_lo, 0, v71, vcc_lo
	s_delay_alu instid0(VALU_DEP_1) | instskip(NEXT) | instid1(VALU_DEP_1)
	v_add_nc_u64_e32 v[62:63], v[72:73], v[70:71]
	v_mul_u64_e32 v[66:67], s[6:7], v[62:63]
	s_delay_alu instid0(VALU_DEP_1) | instskip(NEXT) | instid1(VALU_DEP_2)
	v_sub_nc_u32_e32 v7, v68, v67
	v_sub_co_u32 v31, vcc_lo, v64, v66
	s_delay_alu instid0(VALU_DEP_1) | instskip(NEXT) | instid1(VALU_DEP_3)
	v_sub_co_ci_u32_e64 v47, null, v68, v67, vcc_lo
	v_subrev_co_ci_u32_e64 v7, null, s7, v7, vcc_lo
	s_delay_alu instid0(VALU_DEP_3) | instskip(SKIP_1) | instid1(VALU_DEP_3)
	v_sub_co_u32 v39, s0, v31, s6
	v_add_nc_u64_e32 v[64:65], 2, v[62:63]
	v_subrev_co_ci_u32_e64 v7, null, 0, v7, s0
	s_delay_alu instid0(VALU_DEP_3) | instskip(SKIP_2) | instid1(VALU_DEP_4)
	v_cmp_le_u32_e32 vcc_lo, s6, v39
	v_add_nc_u64_e32 v[66:67], 1, v[62:63]
	v_cndmask_b32_e64 v39, 0, -1, vcc_lo
	v_cmp_le_u32_e32 vcc_lo, s7, v7
	v_cndmask_b32_e64 v49, 0, -1, vcc_lo
	v_cmp_le_u32_e32 vcc_lo, s6, v31
	;; [unrolled: 2-line block ×3, first 2 shown]
	v_cndmask_b32_e64 v68, 0, -1, vcc_lo
	v_cmp_eq_u32_e32 vcc_lo, s7, v7
	v_cndmask_b32_e32 v7, v49, v39, vcc_lo
	v_cmp_eq_u32_e32 vcc_lo, s7, v47
	s_delay_alu instid0(VALU_DEP_4) | instskip(NEXT) | instid1(VALU_DEP_3)
	v_cndmask_b32_e32 v31, v68, v31, vcc_lo
	v_cmp_ne_u32_e32 vcc_lo, 0, v7
	v_cndmask_b32_e32 v7, v67, v65, vcc_lo
	s_delay_alu instid0(VALU_DEP_3) | instskip(SKIP_1) | instid1(VALU_DEP_2)
	v_cmp_ne_u32_e64 s0, 0, v31
	v_cndmask_b32_e32 v31, v66, v64, vcc_lo
	v_dual_cndmask_b32 v7, v63, v7, s0 :: v_dual_bitop2_b32 v48, s2, v48 bitop3:0x14
	s_delay_alu instid0(VALU_DEP_1) | instskip(NEXT) | instid1(VALU_DEP_2)
	v_dual_cndmask_b32 v31, v62, v31, s0 :: v_dual_mov_b32 v49, v48
	v_xor_b32_e32 v63, v7, v48
	s_delay_alu instid0(VALU_DEP_2) | instskip(NEXT) | instid1(VALU_DEP_1)
	v_xor_b32_e32 v62, v31, v48
	v_sub_nc_u64_e32 v[48:49], v[62:63], v[48:49]
.LBB140_15:                             ;   in Loop: Header=BB140_13 Depth=2
	s_and_not1_saveexec_b32 s0, s38
	s_cbranch_execz .LBB140_17
; %bb.16:                               ;   in Loop: Header=BB140_13 Depth=2
	v_mul_hi_u32 v7, v46, v61
	s_delay_alu instid0(VALU_DEP_1) | instskip(SKIP_1) | instid1(VALU_DEP_1)
	v_dual_mov_b32 v49, v6 :: v_dual_add_nc_u32 v39, 1, v7
	v_mul_lo_u32 v31, v7, s12
	v_sub_nc_u32_e32 v31, v46, v31
	s_delay_alu instid0(VALU_DEP_1) | instskip(SKIP_1) | instid1(VALU_DEP_2)
	v_subrev_nc_u32_e32 v47, s12, v31
	v_cmp_le_u32_e32 vcc_lo, s12, v31
	v_cndmask_b32_e32 v31, v31, v47, vcc_lo
	v_cndmask_b32_e32 v7, v7, v39, vcc_lo
	s_delay_alu instid0(VALU_DEP_2) | instskip(NEXT) | instid1(VALU_DEP_2)
	v_cmp_le_u32_e32 vcc_lo, s12, v31
	v_add_nc_u32_e32 v39, 1, v7
	s_delay_alu instid0(VALU_DEP_1)
	v_cndmask_b32_e32 v48, v7, v39, vcc_lo
.LBB140_17:                             ;   in Loop: Header=BB140_13 Depth=2
	s_or_b32 exec_lo, exec_lo, s0
	s_delay_alu instid0(VALU_DEP_1) | instskip(SKIP_2) | instid1(SALU_CYCLE_1)
	v_cmp_ne_u64_e64 s0, v[48:49], v[36:37]
	v_cmp_eq_u64_e32 vcc_lo, v[48:49], v[36:37]
	s_and_saveexec_b32 s3, s0
	s_xor_b32 s0, exec_lo, s3
; %bb.18:                               ;   in Loop: Header=BB140_13 Depth=2
	v_min_i64 v[32:33], v[48:49], v[32:33]
                                        ; implicit-def: $vgpr46_vgpr47
                                        ; implicit-def: $vgpr44_vgpr45
; %bb.19:                               ;   in Loop: Header=BB140_13 Depth=2
	s_or_saveexec_b32 s0, s0
	v_mov_b64_e32 v[48:49], v[34:35]
	s_xor_b32 exec_lo, exec_lo, s0
	s_cbranch_execz .LBB140_12
; %bb.20:                               ;   in Loop: Header=BB140_13 Depth=2
	global_load_b64 v[62:63], v[40:41], off
	v_sub_nc_u32_e32 v7, v46, v38
	v_mov_b64_e32 v[48:49], v[44:45]
	s_delay_alu instid0(VALU_DEP_2)
	v_lshl_add_u32 v7, v7, 3, v51
	ds_store_b8 v50, v60 offset:16384
	s_wait_loadcnt 0x0
	ds_store_b64 v7, v[62:63]
	s_branch .LBB140_12
.LBB140_21:                             ;   in Loop: Header=BB140_10 Depth=1
	s_or_b32 exec_lo, exec_lo, s37
.LBB140_22:                             ;   in Loop: Header=BB140_10 Depth=1
	s_delay_alu instid0(SALU_CYCLE_1)
	s_or_b32 exec_lo, exec_lo, s36
	ds_bpermute_b32 v34, v53, v48
	ds_bpermute_b32 v35, v53, v49
	s_wait_dscnt 0x0
	ds_load_u8 v7, v50 offset:16384
	v_mov_b64_e32 v[38:39], 0
	s_mov_b32 s0, exec_lo
	v_min_i64 v[34:35], v[34:35], v[48:49]
	s_wait_dscnt 0x0
	v_and_b32_e32 v7, 1, v7
	ds_bpermute_b32 v34, v54, v34
	ds_bpermute_b32 v35, v54, v35
	v_cmpx_eq_u32_e32 1, v7
	s_cbranch_execz .LBB140_9
; %bb.23:                               ;   in Loop: Header=BB140_10 Depth=1
	v_mul_u64_e32 v[38:39], s[22:23], v[4:5]
	v_add_nc_u64_e32 v[42:43], s[16:17], v[36:37]
	s_delay_alu instid0(VALU_DEP_2) | instskip(NEXT) | instid1(VALU_DEP_1)
	v_lshlrev_b64_e32 v[40:41], 3, v[38:39]
	v_add_nc_u64_e32 v[38:39], v[8:9], v[40:41]
	v_add_nc_u64_e32 v[36:37], v[10:11], v[40:41]
	v_lshl_add_u64 v[40:41], v[4:5], 3, s[8:9]
	global_store_b64 v[40:41], v[42:43], off
	s_wait_xcnt 0x0
	s_and_saveexec_b32 s3, s27
	s_cbranch_execz .LBB140_27
; %bb.24:                               ;   in Loop: Header=BB140_10 Depth=1
	ds_load_b64 v[40:41], v52
	s_and_b32 vcc_lo, exec_lo, s26
	s_cbranch_vccz .LBB140_54
; %bb.25:                               ;   in Loop: Header=BB140_10 Depth=1
	v_lshl_add_u64 v[42:43], v[12:13], 3, v[38:39]
	s_wait_dscnt 0x0
	global_store_b64 v[42:43], v[40:41], off
	s_cbranch_execnz .LBB140_27
.LBB140_26:                             ;   in Loop: Header=BB140_10 Depth=1
	v_mov_b32_e32 v31, v6
	s_wait_xcnt 0x0
	s_delay_alu instid0(VALU_DEP_1)
	v_add_nc_u64_e32 v[42:43], v[36:37], v[30:31]
	s_wait_dscnt 0x0
	global_store_b64 v[42:43], v[40:41], off
.LBB140_27:                             ;   in Loop: Header=BB140_10 Depth=1
	s_wait_xcnt 0x0
	s_or_b32 exec_lo, exec_lo, s3
	s_and_saveexec_b32 s3, s28
	s_cbranch_execz .LBB140_31
; %bb.28:                               ;   in Loop: Header=BB140_10 Depth=1
	s_and_not1_b32 vcc_lo, exec_lo, s26
	s_cbranch_vccnz .LBB140_55
; %bb.29:                               ;   in Loop: Header=BB140_10 Depth=1
	s_wait_dscnt 0x0
	ds_load_b64 v[40:41], v52 offset:16
	v_lshl_add_u64 v[42:43], v[14:15], 3, v[38:39]
	s_wait_dscnt 0x0
	global_store_b64 v[42:43], v[40:41], off
	s_cbranch_execnz .LBB140_31
.LBB140_30:                             ;   in Loop: Header=BB140_10 Depth=1
	s_wait_dscnt 0x0
	s_wait_xcnt 0x0
	ds_load_b64 v[40:41], v52 offset:16
	v_mov_b32_e32 v31, v6
	s_delay_alu instid0(VALU_DEP_1)
	v_add_nc_u64_e32 v[42:43], v[36:37], v[30:31]
	s_wait_dscnt 0x0
	global_store_b64 v[42:43], v[40:41], off offset:16
.LBB140_31:                             ;   in Loop: Header=BB140_10 Depth=1
	s_wait_xcnt 0x0
	s_or_b32 exec_lo, exec_lo, s3
	s_and_saveexec_b32 s3, s1
	s_cbranch_execz .LBB140_35
; %bb.32:                               ;   in Loop: Header=BB140_10 Depth=1
	s_and_not1_b32 vcc_lo, exec_lo, s26
	s_cbranch_vccnz .LBB140_56
; %bb.33:                               ;   in Loop: Header=BB140_10 Depth=1
	s_wait_dscnt 0x0
	ds_load_b64 v[40:41], v52 offset:32
	v_lshl_add_u64 v[42:43], v[16:17], 3, v[38:39]
	s_wait_dscnt 0x0
	global_store_b64 v[42:43], v[40:41], off
	s_cbranch_execnz .LBB140_35
.LBB140_34:                             ;   in Loop: Header=BB140_10 Depth=1
	s_wait_dscnt 0x0
	s_wait_xcnt 0x0
	ds_load_b64 v[40:41], v52 offset:32
	v_mov_b32_e32 v31, v6
	s_delay_alu instid0(VALU_DEP_1)
	v_add_nc_u64_e32 v[42:43], v[36:37], v[30:31]
	s_wait_dscnt 0x0
	global_store_b64 v[42:43], v[40:41], off offset:32
.LBB140_35:                             ;   in Loop: Header=BB140_10 Depth=1
	s_wait_xcnt 0x0
	s_or_b32 exec_lo, exec_lo, s3
	s_and_saveexec_b32 s3, s29
	s_cbranch_execz .LBB140_39
; %bb.36:                               ;   in Loop: Header=BB140_10 Depth=1
	s_and_not1_b32 vcc_lo, exec_lo, s26
	s_cbranch_vccnz .LBB140_57
; %bb.37:                               ;   in Loop: Header=BB140_10 Depth=1
	s_wait_dscnt 0x0
	ds_load_b64 v[40:41], v52 offset:48
	v_lshl_add_u64 v[42:43], v[18:19], 3, v[38:39]
	s_wait_dscnt 0x0
	global_store_b64 v[42:43], v[40:41], off
	s_cbranch_execnz .LBB140_39
.LBB140_38:                             ;   in Loop: Header=BB140_10 Depth=1
	s_wait_dscnt 0x0
	s_wait_xcnt 0x0
	ds_load_b64 v[40:41], v52 offset:48
	v_mov_b32_e32 v31, v6
	s_delay_alu instid0(VALU_DEP_1)
	v_add_nc_u64_e32 v[42:43], v[36:37], v[30:31]
	s_wait_dscnt 0x0
	global_store_b64 v[42:43], v[40:41], off offset:48
.LBB140_39:                             ;   in Loop: Header=BB140_10 Depth=1
	s_wait_xcnt 0x0
	s_or_b32 exec_lo, exec_lo, s3
	s_and_saveexec_b32 s3, s30
	s_cbranch_execz .LBB140_43
; %bb.40:                               ;   in Loop: Header=BB140_10 Depth=1
	s_and_not1_b32 vcc_lo, exec_lo, s26
	s_cbranch_vccnz .LBB140_58
; %bb.41:                               ;   in Loop: Header=BB140_10 Depth=1
	s_wait_dscnt 0x0
	ds_load_b64 v[40:41], v52 offset:64
	v_lshl_add_u64 v[42:43], v[20:21], 3, v[38:39]
	s_wait_dscnt 0x0
	global_store_b64 v[42:43], v[40:41], off
	s_cbranch_execnz .LBB140_43
.LBB140_42:                             ;   in Loop: Header=BB140_10 Depth=1
	s_wait_dscnt 0x0
	s_wait_xcnt 0x0
	ds_load_b64 v[40:41], v52 offset:64
	v_mov_b32_e32 v31, v6
	s_delay_alu instid0(VALU_DEP_1)
	v_add_nc_u64_e32 v[42:43], v[36:37], v[30:31]
	s_wait_dscnt 0x0
	global_store_b64 v[42:43], v[40:41], off offset:64
.LBB140_43:                             ;   in Loop: Header=BB140_10 Depth=1
	s_wait_xcnt 0x0
	s_or_b32 exec_lo, exec_lo, s3
	s_and_saveexec_b32 s3, s31
	s_cbranch_execz .LBB140_47
; %bb.44:                               ;   in Loop: Header=BB140_10 Depth=1
	s_and_not1_b32 vcc_lo, exec_lo, s26
	s_cbranch_vccnz .LBB140_59
; %bb.45:                               ;   in Loop: Header=BB140_10 Depth=1
	s_wait_dscnt 0x0
	ds_load_b64 v[40:41], v52 offset:80
	v_lshl_add_u64 v[42:43], v[22:23], 3, v[38:39]
	s_wait_dscnt 0x0
	global_store_b64 v[42:43], v[40:41], off
	s_cbranch_execnz .LBB140_47
.LBB140_46:                             ;   in Loop: Header=BB140_10 Depth=1
	s_wait_dscnt 0x0
	s_wait_xcnt 0x0
	ds_load_b64 v[40:41], v52 offset:80
	v_mov_b32_e32 v31, v6
	s_delay_alu instid0(VALU_DEP_1)
	v_add_nc_u64_e32 v[42:43], v[36:37], v[30:31]
	s_wait_dscnt 0x0
	global_store_b64 v[42:43], v[40:41], off offset:80
.LBB140_47:                             ;   in Loop: Header=BB140_10 Depth=1
	s_wait_xcnt 0x0
	s_or_b32 exec_lo, exec_lo, s3
	s_and_saveexec_b32 s3, s33
	s_cbranch_execz .LBB140_51
; %bb.48:                               ;   in Loop: Header=BB140_10 Depth=1
	s_and_not1_b32 vcc_lo, exec_lo, s26
	s_cbranch_vccnz .LBB140_60
; %bb.49:                               ;   in Loop: Header=BB140_10 Depth=1
	s_wait_dscnt 0x0
	ds_load_b64 v[40:41], v52 offset:96
	v_lshl_add_u64 v[42:43], v[24:25], 3, v[38:39]
	s_wait_dscnt 0x0
	global_store_b64 v[42:43], v[40:41], off
	s_cbranch_execnz .LBB140_51
.LBB140_50:                             ;   in Loop: Header=BB140_10 Depth=1
	s_wait_dscnt 0x0
	s_wait_xcnt 0x0
	ds_load_b64 v[40:41], v52 offset:96
	v_mov_b32_e32 v31, v6
	s_delay_alu instid0(VALU_DEP_1)
	v_add_nc_u64_e32 v[42:43], v[36:37], v[30:31]
	s_wait_dscnt 0x0
	global_store_b64 v[42:43], v[40:41], off offset:96
.LBB140_51:                             ;   in Loop: Header=BB140_10 Depth=1
	s_wait_xcnt 0x0
	s_or_b32 exec_lo, exec_lo, s3
	s_and_saveexec_b32 s3, s34
	s_cbranch_execz .LBB140_8
; %bb.52:                               ;   in Loop: Header=BB140_10 Depth=1
	s_and_not1_b32 vcc_lo, exec_lo, s26
	s_cbranch_vccnz .LBB140_61
; %bb.53:                               ;   in Loop: Header=BB140_10 Depth=1
	s_wait_dscnt 0x0
	ds_load_b64 v[40:41], v52 offset:112
	v_lshl_add_u64 v[38:39], v[26:27], 3, v[38:39]
	s_wait_dscnt 0x0
	global_store_b64 v[38:39], v[40:41], off
	s_cbranch_execnz .LBB140_8
	s_branch .LBB140_62
.LBB140_54:                             ;   in Loop: Header=BB140_10 Depth=1
	s_branch .LBB140_26
.LBB140_55:                             ;   in Loop: Header=BB140_10 Depth=1
	s_branch .LBB140_30
.LBB140_56:                             ;   in Loop: Header=BB140_10 Depth=1
	s_branch .LBB140_34
.LBB140_57:                             ;   in Loop: Header=BB140_10 Depth=1
	s_branch .LBB140_38
.LBB140_58:                             ;   in Loop: Header=BB140_10 Depth=1
	s_branch .LBB140_42
.LBB140_59:                             ;   in Loop: Header=BB140_10 Depth=1
	s_branch .LBB140_46
.LBB140_60:                             ;   in Loop: Header=BB140_10 Depth=1
	s_branch .LBB140_50
.LBB140_61:                             ;   in Loop: Header=BB140_10 Depth=1
.LBB140_62:                             ;   in Loop: Header=BB140_10 Depth=1
	s_wait_xcnt 0x0
	ds_load_b64 v[38:39], v52 offset:112
	v_mov_b32_e32 v31, v6
	s_delay_alu instid0(VALU_DEP_1)
	v_add_nc_u64_e32 v[36:37], v[36:37], v[30:31]
	s_wait_dscnt 0x0
	global_store_b64 v[36:37], v[38:39], off offset:112
	s_branch .LBB140_8
.LBB140_63:
	s_endpgm
	.section	.rodata,"a",@progbits
	.p2align	6, 0x0
	.amdhsa_kernel _ZN9rocsparseL42csr2bsr_wavefront_per_row_multipass_kernelILj256ELj32ELj16EdllEEv20rocsparse_direction_T4_S2_S2_S2_S2_21rocsparse_index_base_PKT2_PKT3_PKS2_S3_PS4_PS7_PS2_
		.amdhsa_group_segment_fixed_size 16392
		.amdhsa_private_segment_fixed_size 0
		.amdhsa_kernarg_size 112
		.amdhsa_user_sgpr_count 2
		.amdhsa_user_sgpr_dispatch_ptr 0
		.amdhsa_user_sgpr_queue_ptr 0
		.amdhsa_user_sgpr_kernarg_segment_ptr 1
		.amdhsa_user_sgpr_dispatch_id 0
		.amdhsa_user_sgpr_kernarg_preload_length 0
		.amdhsa_user_sgpr_kernarg_preload_offset 0
		.amdhsa_user_sgpr_private_segment_size 0
		.amdhsa_wavefront_size32 1
		.amdhsa_uses_dynamic_stack 0
		.amdhsa_enable_private_segment 0
		.amdhsa_system_sgpr_workgroup_id_x 1
		.amdhsa_system_sgpr_workgroup_id_y 0
		.amdhsa_system_sgpr_workgroup_id_z 0
		.amdhsa_system_sgpr_workgroup_info 0
		.amdhsa_system_vgpr_workitem_id 0
		.amdhsa_next_free_vgpr 74
		.amdhsa_next_free_sgpr 48
		.amdhsa_named_barrier_count 0
		.amdhsa_reserve_vcc 1
		.amdhsa_float_round_mode_32 0
		.amdhsa_float_round_mode_16_64 0
		.amdhsa_float_denorm_mode_32 3
		.amdhsa_float_denorm_mode_16_64 3
		.amdhsa_fp16_overflow 0
		.amdhsa_memory_ordered 1
		.amdhsa_forward_progress 1
		.amdhsa_inst_pref_size 25
		.amdhsa_round_robin_scheduling 0
		.amdhsa_exception_fp_ieee_invalid_op 0
		.amdhsa_exception_fp_denorm_src 0
		.amdhsa_exception_fp_ieee_div_zero 0
		.amdhsa_exception_fp_ieee_overflow 0
		.amdhsa_exception_fp_ieee_underflow 0
		.amdhsa_exception_fp_ieee_inexact 0
		.amdhsa_exception_int_div_zero 0
	.end_amdhsa_kernel
	.section	.text._ZN9rocsparseL42csr2bsr_wavefront_per_row_multipass_kernelILj256ELj32ELj16EdllEEv20rocsparse_direction_T4_S2_S2_S2_S2_21rocsparse_index_base_PKT2_PKT3_PKS2_S3_PS4_PS7_PS2_,"axG",@progbits,_ZN9rocsparseL42csr2bsr_wavefront_per_row_multipass_kernelILj256ELj32ELj16EdllEEv20rocsparse_direction_T4_S2_S2_S2_S2_21rocsparse_index_base_PKT2_PKT3_PKS2_S3_PS4_PS7_PS2_,comdat
.Lfunc_end140:
	.size	_ZN9rocsparseL42csr2bsr_wavefront_per_row_multipass_kernelILj256ELj32ELj16EdllEEv20rocsparse_direction_T4_S2_S2_S2_S2_21rocsparse_index_base_PKT2_PKT3_PKS2_S3_PS4_PS7_PS2_, .Lfunc_end140-_ZN9rocsparseL42csr2bsr_wavefront_per_row_multipass_kernelILj256ELj32ELj16EdllEEv20rocsparse_direction_T4_S2_S2_S2_S2_21rocsparse_index_base_PKT2_PKT3_PKS2_S3_PS4_PS7_PS2_
                                        ; -- End function
	.set _ZN9rocsparseL42csr2bsr_wavefront_per_row_multipass_kernelILj256ELj32ELj16EdllEEv20rocsparse_direction_T4_S2_S2_S2_S2_21rocsparse_index_base_PKT2_PKT3_PKS2_S3_PS4_PS7_PS2_.num_vgpr, 74
	.set _ZN9rocsparseL42csr2bsr_wavefront_per_row_multipass_kernelILj256ELj32ELj16EdllEEv20rocsparse_direction_T4_S2_S2_S2_S2_21rocsparse_index_base_PKT2_PKT3_PKS2_S3_PS4_PS7_PS2_.num_agpr, 0
	.set _ZN9rocsparseL42csr2bsr_wavefront_per_row_multipass_kernelILj256ELj32ELj16EdllEEv20rocsparse_direction_T4_S2_S2_S2_S2_21rocsparse_index_base_PKT2_PKT3_PKS2_S3_PS4_PS7_PS2_.numbered_sgpr, 48
	.set _ZN9rocsparseL42csr2bsr_wavefront_per_row_multipass_kernelILj256ELj32ELj16EdllEEv20rocsparse_direction_T4_S2_S2_S2_S2_21rocsparse_index_base_PKT2_PKT3_PKS2_S3_PS4_PS7_PS2_.num_named_barrier, 0
	.set _ZN9rocsparseL42csr2bsr_wavefront_per_row_multipass_kernelILj256ELj32ELj16EdllEEv20rocsparse_direction_T4_S2_S2_S2_S2_21rocsparse_index_base_PKT2_PKT3_PKS2_S3_PS4_PS7_PS2_.private_seg_size, 0
	.set _ZN9rocsparseL42csr2bsr_wavefront_per_row_multipass_kernelILj256ELj32ELj16EdllEEv20rocsparse_direction_T4_S2_S2_S2_S2_21rocsparse_index_base_PKT2_PKT3_PKS2_S3_PS4_PS7_PS2_.uses_vcc, 1
	.set _ZN9rocsparseL42csr2bsr_wavefront_per_row_multipass_kernelILj256ELj32ELj16EdllEEv20rocsparse_direction_T4_S2_S2_S2_S2_21rocsparse_index_base_PKT2_PKT3_PKS2_S3_PS4_PS7_PS2_.uses_flat_scratch, 0
	.set _ZN9rocsparseL42csr2bsr_wavefront_per_row_multipass_kernelILj256ELj32ELj16EdllEEv20rocsparse_direction_T4_S2_S2_S2_S2_21rocsparse_index_base_PKT2_PKT3_PKS2_S3_PS4_PS7_PS2_.has_dyn_sized_stack, 0
	.set _ZN9rocsparseL42csr2bsr_wavefront_per_row_multipass_kernelILj256ELj32ELj16EdllEEv20rocsparse_direction_T4_S2_S2_S2_S2_21rocsparse_index_base_PKT2_PKT3_PKS2_S3_PS4_PS7_PS2_.has_recursion, 0
	.set _ZN9rocsparseL42csr2bsr_wavefront_per_row_multipass_kernelILj256ELj32ELj16EdllEEv20rocsparse_direction_T4_S2_S2_S2_S2_21rocsparse_index_base_PKT2_PKT3_PKS2_S3_PS4_PS7_PS2_.has_indirect_call, 0
	.section	.AMDGPU.csdata,"",@progbits
; Kernel info:
; codeLenInByte = 3120
; TotalNumSgprs: 50
; NumVgprs: 74
; ScratchSize: 0
; MemoryBound: 0
; FloatMode: 240
; IeeeMode: 1
; LDSByteSize: 16392 bytes/workgroup (compile time only)
; SGPRBlocks: 0
; VGPRBlocks: 4
; NumSGPRsForWavesPerEU: 50
; NumVGPRsForWavesPerEU: 74
; NamedBarCnt: 0
; Occupancy: 12
; WaveLimiterHint : 0
; COMPUTE_PGM_RSRC2:SCRATCH_EN: 0
; COMPUTE_PGM_RSRC2:USER_SGPR: 2
; COMPUTE_PGM_RSRC2:TRAP_HANDLER: 0
; COMPUTE_PGM_RSRC2:TGID_X_EN: 1
; COMPUTE_PGM_RSRC2:TGID_Y_EN: 0
; COMPUTE_PGM_RSRC2:TGID_Z_EN: 0
; COMPUTE_PGM_RSRC2:TIDIG_COMP_CNT: 0
	.section	.text._ZN9rocsparseL38csr2bsr_block_per_row_multipass_kernelILj256ELj32EdllEEv20rocsparse_direction_T3_S2_S2_S2_S2_21rocsparse_index_base_PKT1_PKT2_PKS2_S3_PS4_PS7_PS2_,"axG",@progbits,_ZN9rocsparseL38csr2bsr_block_per_row_multipass_kernelILj256ELj32EdllEEv20rocsparse_direction_T3_S2_S2_S2_S2_21rocsparse_index_base_PKT1_PKT2_PKS2_S3_PS4_PS7_PS2_,comdat
	.globl	_ZN9rocsparseL38csr2bsr_block_per_row_multipass_kernelILj256ELj32EdllEEv20rocsparse_direction_T3_S2_S2_S2_S2_21rocsparse_index_base_PKT1_PKT2_PKS2_S3_PS4_PS7_PS2_ ; -- Begin function _ZN9rocsparseL38csr2bsr_block_per_row_multipass_kernelILj256ELj32EdllEEv20rocsparse_direction_T3_S2_S2_S2_S2_21rocsparse_index_base_PKT1_PKT2_PKS2_S3_PS4_PS7_PS2_
	.p2align	8
	.type	_ZN9rocsparseL38csr2bsr_block_per_row_multipass_kernelILj256ELj32EdllEEv20rocsparse_direction_T3_S2_S2_S2_S2_21rocsparse_index_base_PKT1_PKT2_PKS2_S3_PS4_PS7_PS2_,@function
_ZN9rocsparseL38csr2bsr_block_per_row_multipass_kernelILj256ELj32EdllEEv20rocsparse_direction_T3_S2_S2_S2_S2_21rocsparse_index_base_PKT1_PKT2_PKS2_S3_PS4_PS7_PS2_: ; @_ZN9rocsparseL38csr2bsr_block_per_row_multipass_kernelILj256ELj32EdllEEv20rocsparse_direction_T3_S2_S2_S2_S2_21rocsparse_index_base_PKT1_PKT2_PKS2_S3_PS4_PS7_PS2_
; %bb.0:
	s_clause 0x1
	s_load_b128 s[12:15], s[0:1], 0x20
	s_load_b64 s[6:7], s[0:1], 0x8
	s_bfe_u32 s3, ttmp6, 0x4000c
	s_and_b32 s2, ttmp6, 15
	s_add_co_i32 s3, s3, 1
	s_getreg_b32 s4, hwreg(HW_REG_IB_STS2, 6, 4)
	s_mul_i32 s3, ttmp9, s3
	v_dual_mov_b32 v9, 0 :: v_dual_lshrrev_b32 v8, 3, v0
	s_add_co_i32 s2, s2, s3
	s_cmp_eq_u32 s4, 0
	s_clause 0x1
	s_load_b32 s20, s[0:1], 0x30
	s_load_b64 s[4:5], s[0:1], 0x40
	s_cselect_b32 s2, ttmp9, s2
	v_mov_b64_e32 v[2:3], 0
	s_ashr_i32 s3, s2, 31
	v_mov_b64_e32 v[22:23], 0
	s_mov_b32 s21, 0
	s_wait_kmcnt 0x0
	v_mad_nc_u64_u32 v[4:5], s14, s2, v[8:9]
	s_mul_i32 s8, s14, s3
	s_mul_i32 s9, s15, s2
	s_delay_alu instid0(VALU_DEP_1) | instid1(SALU_CYCLE_1)
	v_add3_u32 v5, s8, s9, v5
	v_cmp_gt_i64_e64 s8, s[14:15], v[8:9]
	s_delay_alu instid0(VALU_DEP_2) | instskip(SKIP_1) | instid1(SALU_CYCLE_1)
	v_cmp_gt_i64_e32 vcc_lo, s[6:7], v[4:5]
	s_and_b32 s6, s8, vcc_lo
	s_and_saveexec_b32 s7, s6
	s_cbranch_execnz .LBB141_3
; %bb.1:
	s_or_b32 exec_lo, exec_lo, s7
	s_and_saveexec_b32 s7, s6
	s_cbranch_execnz .LBB141_4
.LBB141_2:
	s_or_b32 exec_lo, exec_lo, s7
	v_cmp_lt_i64_e64 s4, s[12:13], 1
	s_and_b32 vcc_lo, exec_lo, s4
	s_cbranch_vccz .LBB141_5
	s_branch .LBB141_57
.LBB141_3:
	v_lshl_add_u64 v[6:7], v[4:5], 3, s[4:5]
	global_load_b64 v[6:7], v[6:7], off
	s_wait_loadcnt 0x0
	v_sub_nc_u64_e64 v[22:23], v[6:7], s[20:21]
	s_or_b32 exec_lo, exec_lo, s7
	s_and_saveexec_b32 s7, s6
	s_cbranch_execz .LBB141_2
.LBB141_4:
	v_lshl_add_u64 v[2:3], v[4:5], 3, s[4:5]
	global_load_b64 v[2:3], v[2:3], off offset:8
	s_wait_loadcnt 0x0
	v_sub_nc_u64_e64 v[2:3], v[2:3], s[20:21]
	s_or_b32 exec_lo, exec_lo, s7
	v_cmp_lt_i64_e64 s4, s[12:13], 1
	s_and_b32 vcc_lo, exec_lo, s4
	s_cbranch_vccnz .LBB141_57
.LBB141_5:
	v_dual_lshlrev_b32 v10, 3, v8 :: v_dual_mov_b32 v4, 0
	v_mbcnt_lo_u32_b32 v1, -1, 0
	v_mul_u64_e32 v[12:13], s[14:15], v[8:9]
	s_clause 0x1
	s_load_b128 s[4:7], s[0:1], 0x58
	s_load_b64 s[22:23], s[0:1], 0x68
	v_dual_mov_b32 v11, v4 :: v_dual_bitop2_b32 v6, 7, v0 bitop3:0x40
	v_dual_mov_b32 v7, v4 :: v_dual_bitop2_b32 v5, 4, v1 bitop3:0x14
	s_delay_alu instid0(VALU_DEP_2) | instskip(SKIP_1) | instid1(VALU_DEP_3)
	v_dual_lshlrev_b32 v38, 8, v8 :: v_dual_lshlrev_b32 v20, 3, v6
	v_dual_mov_b32 v25, v4 :: v_dual_bitop2_b32 v8, 2, v1 bitop3:0x14
	v_cmp_gt_i32_e32 vcc_lo, 32, v5
	v_or_b32_e32 v24, 8, v6
	v_lshl_or_b32 v39, v1, 2, 28
	s_clause 0x2
	s_load_b96 s[16:18], s[0:1], 0x48
	s_load_b64 s[26:27], s[0:1], 0x38
	s_load_b32 s9, s[0:1], 0x0
	s_wait_xcnt 0x0
	s_lshl_b64 s[0:1], s[2:3], 3
	v_cndmask_b32_e32 v5, v1, v5, vcc_lo
	v_cmp_gt_i32_e32 vcc_lo, 32, v8
	v_xor_b32_e32 v9, 1, v1
	v_dual_mov_b32 v29, v4 :: v_dual_bitop2_b32 v28, 24, v6 bitop3:0x54
	s_wait_kmcnt 0x0
	s_add_nc_u64 s[0:1], s[6:7], s[0:1]
	v_cndmask_b32_e32 v8, v1, v8, vcc_lo
	v_cmp_gt_i32_e32 vcc_lo, 32, v9
	s_load_b64 s[0:1], s[0:1], 0x0
	v_dual_lshlrev_b32 v40, 2, v5 :: v_dual_bitop2_b32 v26, 16, v6 bitop3:0x54
	s_delay_alu instid0(VALU_DEP_3)
	v_dual_lshlrev_b32 v41, 2, v8 :: v_dual_cndmask_b32 v1, v1, v9, vcc_lo
	v_mov_b32_e32 v27, v4
	v_add_nc_u64_e32 v[8:9], s[4:5], v[10:11]
	v_mul_u64_e32 v[10:11], s[14:15], v[6:7]
	v_mul_u64_e32 v[16:17], s[14:15], v[28:29]
	v_lshlrev_b32_e32 v42, 2, v1
	v_lshl_add_u64 v[18:19], v[12:13], 3, s[4:5]
	v_mul_u64_e32 v[12:13], s[14:15], v[24:25]
	v_mul_u64_e32 v[14:15], s[14:15], v[26:27]
	v_cvt_f32_u32_e32 v1, s14
	s_mov_b32 s11, 0
	v_dual_mov_b32 v21, v4 :: v_dual_lshlrev_b32 v43, 3, v0
	s_mov_b32 s19, s11
	v_cmp_gt_u32_e64 s2, 32, v0
	v_cmp_gt_u32_e64 s3, 16, v0
	s_wait_kmcnt 0x0
	s_sub_nc_u64 s[28:29], s[0:1], s[18:19]
	v_cmp_gt_u32_e64 s0, 0x80, v0
	v_cmp_gt_u32_e64 s1, 64, v0
	;; [unrolled: 1-line block ×5, first 2 shown]
	v_cmp_eq_u32_e64 s7, 0, v0
	v_rcp_iflag_f32_e32 v0, v1
	v_cmp_gt_i64_e32 vcc_lo, s[14:15], v[6:7]
	s_cmp_lg_u32 s9, 0
	v_add_nc_u32_e32 v44, v20, v38
	s_cselect_b32 s33, -1, 0
	v_cmp_gt_i64_e64 s9, s[14:15], v[24:25]
	v_cmp_gt_i64_e64 s10, s[14:15], v[26:27]
	v_mul_f32_e32 v5, 0x4f7ffffe, v0
	s_and_b32 s38, s8, vcc_lo
	v_cmp_gt_i64_e32 vcc_lo, s[14:15], v[28:29]
	v_add_nc_u64_e32 v[18:19], v[18:19], v[20:21]
	v_mov_b64_e32 v[24:25], 0
	v_mov_b64_e32 v[0:1], 0
	v_mov_b32_e32 v45, 1
	v_cvt_u32_f32_e32 v46, v5
	s_mul_u64 s[24:25], s[14:15], s[14:15]
	s_mov_b32 s21, s11
	s_and_b32 s39, s8, s9
	s_and_b32 s40, s8, s10
	s_mov_b64 s[30:31], 0xffffffff
	s_and_b32 s41, s8, vcc_lo
	s_ashr_i32 s34, s15, 31
	s_sub_co_i32 s42, 0, s14
	s_branch .LBB141_7
.LBB141_6:                              ;   in Loop: Header=BB141_7 Depth=1
	s_or_b32 exec_lo, exec_lo, s10
	s_wait_dscnt 0x0
	s_barrier_signal -1
	s_barrier_wait -1
	ds_load_b64 v[24:25], v4
	s_add_nc_u64 s[28:29], s[8:9], s[28:29]
	s_wait_dscnt 0x0
	s_barrier_signal -1
	s_barrier_wait -1
	v_cmp_gt_i64_e32 vcc_lo, s[12:13], v[24:25]
	s_cbranch_vccz .LBB141_57
.LBB141_7:                              ; =>This Loop Header: Depth=1
                                        ;     Child Loop BB141_10 Depth 2
	v_add_nc_u64_e32 v[22:23], v[22:23], v[6:7]
	v_mov_b64_e32 v[20:21], s[12:13]
	v_mov_b64_e32 v[36:37], v[2:3]
	s_mov_b32 s9, exec_lo
	ds_store_b8 v4, v4 offset:8192
	ds_store_2addr_b64 v44, v[0:1], v[0:1] offset1:8
	ds_store_2addr_b64 v44, v[0:1], v[0:1] offset0:16 offset1:24
	s_wait_dscnt 0x0
	s_barrier_signal -1
	s_barrier_wait -1
	v_cmpx_lt_i64_e64 v[22:23], v[2:3]
	s_cbranch_execz .LBB141_19
; %bb.8:                                ;   in Loop: Header=BB141_7 Depth=1
	v_mul_u64_e32 v[26:27], s[14:15], v[24:25]
	v_lshlrev_b64_e32 v[20:21], 3, v[22:23]
	v_mov_b64_e32 v[32:33], v[2:3]
	s_mov_b32 s43, 0
	s_delay_alu instid0(VALU_DEP_2)
	v_add_nc_u64_e32 v[28:29], s[26:27], v[20:21]
	v_add_nc_u64_e32 v[30:31], s[16:17], v[20:21]
	v_mov_b64_e32 v[20:21], s[12:13]
	s_branch .LBB141_10
.LBB141_9:                              ;   in Loop: Header=BB141_10 Depth=2
	s_wait_xcnt 0x0
	s_or_b32 exec_lo, exec_lo, s8
	v_add_nc_u64_e32 v[22:23], 8, v[22:23]
	s_xor_b32 s10, vcc_lo, -1
	v_add_nc_u64_e32 v[28:29], 64, v[28:29]
	v_add_nc_u64_e32 v[30:31], 64, v[30:31]
	v_mov_b64_e32 v[32:33], v[36:37]
	s_delay_alu instid0(VALU_DEP_4) | instskip(SKIP_1) | instid1(SALU_CYCLE_1)
	v_cmp_ge_i64_e64 s8, v[22:23], v[2:3]
	s_or_b32 s8, s10, s8
	s_and_b32 s8, exec_lo, s8
	s_delay_alu instid0(SALU_CYCLE_1) | instskip(NEXT) | instid1(SALU_CYCLE_1)
	s_or_b32 s43, s8, s43
	s_and_not1_b32 exec_lo, exec_lo, s43
	s_cbranch_execz .LBB141_18
.LBB141_10:                             ;   Parent Loop BB141_7 Depth=1
                                        ; =>  This Inner Loop Header: Depth=2
	global_load_b64 v[34:35], v[30:31], off
                                        ; implicit-def: $vgpr36_vgpr37
	s_mov_b32 s8, exec_lo
	s_wait_loadcnt 0x0
	v_sub_nc_u64_e64 v[34:35], v[34:35], s[20:21]
	s_delay_alu instid0(VALU_DEP_1) | instskip(SKIP_1) | instid1(VALU_DEP_1)
	v_or_b32_e32 v5, s15, v35
	s_wait_xcnt 0x0
	v_cmpx_ne_u64_e32 0, v[4:5]
	s_xor_b32 s44, exec_lo, s8
	s_cbranch_execz .LBB141_12
; %bb.11:                               ;   in Loop: Header=BB141_10 Depth=2
	s_mov_b32 s35, s34
	v_dual_mov_b32 v51, v4 :: v_dual_ashrrev_i32 v36, 31, v35
	s_add_nc_u64 s[36:37], s[14:15], s[34:35]
	v_mov_b32_e32 v55, v4
	s_xor_b64 s[36:37], s[36:37], s[34:35]
	s_delay_alu instid0(VALU_DEP_2)
	v_mov_b32_e32 v37, v36
	s_cvt_f32_u32 s8, s36
	s_cvt_f32_u32 s10, s37
	s_sub_nc_u64 s[48:49], 0, s[36:37]
	v_mov_b32_e32 v59, v4
	v_add_nc_u64_e32 v[48:49], v[34:35], v[36:37]
	s_fmamk_f32 s8, s10, 0x4f800000, s8
	s_delay_alu instid0(SALU_CYCLE_3) | instskip(NEXT) | instid1(VALU_DEP_1)
	v_s_rcp_f32 s8, s8
	v_xor_b32_e32 v54, v49, v36
	s_delay_alu instid0(VALU_DEP_2) | instskip(SKIP_1) | instid1(TRANS32_DEP_1)
	v_xor_b32_e32 v50, v48, v36
	v_xor_b32_e32 v36, s34, v36
	s_mul_f32 s8, s8, 0x5f7ffffc
	s_delay_alu instid0(SALU_CYCLE_3) | instskip(NEXT) | instid1(SALU_CYCLE_3)
	s_mul_f32 s10, s8, 0x2f800000
	s_trunc_f32 s10, s10
	s_delay_alu instid0(SALU_CYCLE_3) | instskip(SKIP_1) | instid1(SALU_CYCLE_2)
	s_fmamk_f32 s8, s10, 0xcf800000, s8
	s_cvt_u32_f32 s47, s10
	s_cvt_u32_f32 s46, s8
	s_delay_alu instid0(SALU_CYCLE_3) | instskip(NEXT) | instid1(SALU_CYCLE_1)
	s_mul_u64 s[50:51], s[48:49], s[46:47]
	s_mul_hi_u32 s53, s46, s51
	s_mul_i32 s52, s46, s51
	s_mul_hi_u32 s10, s46, s50
	s_mul_i32 s35, s47, s50
	s_add_nc_u64 s[52:53], s[10:11], s[52:53]
	s_mul_hi_u32 s8, s47, s50
	s_mul_hi_u32 s45, s47, s51
	s_add_co_u32 s10, s52, s35
	s_add_co_ci_u32 s10, s53, s8
	s_mul_i32 s50, s47, s51
	s_add_co_ci_u32 s51, s45, 0
	s_delay_alu instid0(SALU_CYCLE_1) | instskip(NEXT) | instid1(SALU_CYCLE_1)
	s_add_nc_u64 s[50:51], s[10:11], s[50:51]
	s_add_co_u32 s46, s46, s50
	s_cselect_b32 s8, -1, 0
	s_delay_alu instid0(SALU_CYCLE_1) | instskip(SKIP_1) | instid1(SALU_CYCLE_1)
	s_cmp_lg_u32 s8, 0
	s_add_co_ci_u32 s47, s47, s51
	s_mul_u64 s[48:49], s[48:49], s[46:47]
	s_delay_alu instid0(SALU_CYCLE_1)
	s_mul_hi_u32 s51, s46, s49
	s_mul_i32 s50, s46, s49
	s_mul_hi_u32 s10, s46, s48
	s_mul_i32 s35, s47, s48
	s_add_nc_u64 s[50:51], s[10:11], s[50:51]
	s_mul_hi_u32 s8, s47, s48
	s_mul_hi_u32 s45, s47, s49
	s_add_co_u32 s10, s50, s35
	s_add_co_ci_u32 s10, s51, s8
	s_mul_i32 s48, s47, s49
	s_add_co_ci_u32 s49, s45, 0
	s_delay_alu instid0(SALU_CYCLE_1) | instskip(NEXT) | instid1(SALU_CYCLE_1)
	s_add_nc_u64 s[48:49], s[10:11], s[48:49]
	s_add_co_u32 s8, s46, s48
	s_cselect_b32 s10, -1, 0
	v_mul_hi_u32 v58, v50, s8
	s_cmp_lg_u32 s10, 0
	s_add_co_ci_u32 s10, s47, s49
	s_and_b64 s[46:47], s[8:9], s[30:31]
	v_mul_u64_e32 v[52:53], s[10:11], v[50:51]
	v_mul_u64_e32 v[48:49], s[46:47], v[54:55]
	;; [unrolled: 1-line block ×3, first 2 shown]
	s_delay_alu instid0(VALU_DEP_3) | instskip(NEXT) | instid1(VALU_DEP_1)
	v_add_nc_u64_e32 v[52:53], v[58:59], v[52:53]
	v_add_co_u32 v5, vcc_lo, v52, v48
	s_delay_alu instid0(VALU_DEP_2) | instskip(NEXT) | instid1(VALU_DEP_4)
	v_add_co_ci_u32_e32 v58, vcc_lo, v53, v49, vcc_lo
	v_add_co_ci_u32_e32 v57, vcc_lo, 0, v57, vcc_lo
	s_delay_alu instid0(VALU_DEP_1) | instskip(NEXT) | instid1(VALU_DEP_1)
	v_add_nc_u64_e32 v[48:49], v[58:59], v[56:57]
	v_mul_u64_e32 v[52:53], s[36:37], v[48:49]
	s_delay_alu instid0(VALU_DEP_1) | instskip(NEXT) | instid1(VALU_DEP_2)
	v_sub_nc_u32_e32 v5, v54, v53
	v_sub_co_u32 v27, vcc_lo, v50, v52
	s_delay_alu instid0(VALU_DEP_1) | instskip(NEXT) | instid1(VALU_DEP_3)
	v_sub_co_ci_u32_e64 v37, null, v54, v53, vcc_lo
	v_subrev_co_ci_u32_e64 v5, null, s37, v5, vcc_lo
	s_delay_alu instid0(VALU_DEP_3) | instskip(SKIP_1) | instid1(VALU_DEP_3)
	v_sub_co_u32 v35, s8, v27, s36
	v_add_nc_u64_e32 v[50:51], 2, v[48:49]
	v_subrev_co_ci_u32_e64 v5, null, 0, v5, s8
	s_delay_alu instid0(VALU_DEP_3) | instskip(SKIP_2) | instid1(VALU_DEP_4)
	v_cmp_le_u32_e32 vcc_lo, s36, v35
	v_add_nc_u64_e32 v[52:53], 1, v[48:49]
	v_cndmask_b32_e64 v35, 0, -1, vcc_lo
	v_cmp_le_u32_e32 vcc_lo, s37, v5
	v_cndmask_b32_e64 v47, 0, -1, vcc_lo
	v_cmp_le_u32_e32 vcc_lo, s36, v27
	v_cndmask_b32_e64 v27, 0, -1, vcc_lo
	v_cmp_le_u32_e32 vcc_lo, s37, v37
	v_cndmask_b32_e64 v54, 0, -1, vcc_lo
	v_cmp_eq_u32_e32 vcc_lo, s37, v5
	v_cndmask_b32_e32 v5, v47, v35, vcc_lo
	v_cmp_eq_u32_e32 vcc_lo, s37, v37
	s_delay_alu instid0(VALU_DEP_4) | instskip(NEXT) | instid1(VALU_DEP_3)
	v_dual_mov_b32 v37, v36 :: v_dual_cndmask_b32 v27, v54, v27, vcc_lo
	v_cmp_ne_u32_e32 vcc_lo, 0, v5
	s_delay_alu instid0(VALU_DEP_2) | instskip(SKIP_1) | instid1(VALU_DEP_1)
	v_cmp_ne_u32_e64 s8, 0, v27
	v_dual_cndmask_b32 v5, v53, v51, vcc_lo :: v_dual_cndmask_b32 v27, v52, v50, vcc_lo
	v_dual_cndmask_b32 v5, v49, v5, s8 :: v_dual_cndmask_b32 v27, v48, v27, s8
	s_delay_alu instid0(VALU_DEP_1) | instskip(NEXT) | instid1(VALU_DEP_2)
	v_xor_b32_e32 v49, v5, v36
	v_xor_b32_e32 v48, v27, v36
	s_delay_alu instid0(VALU_DEP_1)
	v_sub_nc_u64_e32 v[36:37], v[48:49], v[36:37]
.LBB141_12:                             ;   in Loop: Header=BB141_10 Depth=2
	s_and_not1_saveexec_b32 s8, s44
	s_cbranch_execz .LBB141_14
; %bb.13:                               ;   in Loop: Header=BB141_10 Depth=2
	v_mul_lo_u32 v5, s42, v46
	v_mov_b32_e32 v37, v4
	s_delay_alu instid0(VALU_DEP_2) | instskip(NEXT) | instid1(VALU_DEP_1)
	v_mul_hi_u32 v5, v46, v5
	v_add_nc_u32_e32 v5, v46, v5
	s_delay_alu instid0(VALU_DEP_1) | instskip(NEXT) | instid1(VALU_DEP_1)
	v_mul_hi_u32 v5, v34, v5
	v_mul_lo_u32 v27, v5, s14
	s_delay_alu instid0(VALU_DEP_1) | instskip(NEXT) | instid1(VALU_DEP_1)
	v_dual_add_nc_u32 v35, 1, v5 :: v_dual_sub_nc_u32 v27, v34, v27
	v_subrev_nc_u32_e32 v36, s14, v27
	v_cmp_le_u32_e32 vcc_lo, s14, v27
	s_delay_alu instid0(VALU_DEP_2) | instskip(NEXT) | instid1(VALU_DEP_1)
	v_dual_cndmask_b32 v27, v27, v36, vcc_lo :: v_dual_cndmask_b32 v5, v5, v35, vcc_lo
	v_cmp_le_u32_e32 vcc_lo, s14, v27
	s_delay_alu instid0(VALU_DEP_2) | instskip(NEXT) | instid1(VALU_DEP_1)
	v_add_nc_u32_e32 v35, 1, v5
	v_cndmask_b32_e32 v36, v5, v35, vcc_lo
.LBB141_14:                             ;   in Loop: Header=BB141_10 Depth=2
	s_or_b32 exec_lo, exec_lo, s8
	s_delay_alu instid0(VALU_DEP_1) | instskip(SKIP_2) | instid1(SALU_CYCLE_1)
	v_cmp_ne_u64_e64 s8, v[36:37], v[24:25]
	v_cmp_eq_u64_e32 vcc_lo, v[36:37], v[24:25]
	s_and_saveexec_b32 s10, s8
	s_xor_b32 s8, exec_lo, s10
; %bb.15:                               ;   in Loop: Header=BB141_10 Depth=2
	v_min_i64 v[20:21], v[36:37], v[20:21]
                                        ; implicit-def: $vgpr34_vgpr35
                                        ; implicit-def: $vgpr32_vgpr33
; %bb.16:                               ;   in Loop: Header=BB141_10 Depth=2
	s_or_saveexec_b32 s8, s8
	v_mov_b64_e32 v[36:37], v[22:23]
	s_xor_b32 exec_lo, exec_lo, s8
	s_cbranch_execz .LBB141_9
; %bb.17:                               ;   in Loop: Header=BB141_10 Depth=2
	global_load_b64 v[48:49], v[28:29], off
	v_sub_nc_u32_e32 v5, v34, v26
	v_mov_b64_e32 v[36:37], v[32:33]
	s_delay_alu instid0(VALU_DEP_2)
	v_lshl_add_u32 v5, v5, 3, v38
	ds_store_b8 v4, v45 offset:8192
	s_wait_loadcnt 0x0
	ds_store_b64 v5, v[48:49]
	s_branch .LBB141_9
.LBB141_18:                             ;   in Loop: Header=BB141_7 Depth=1
	s_or_b32 exec_lo, exec_lo, s43
.LBB141_19:                             ;   in Loop: Header=BB141_7 Depth=1
	s_delay_alu instid0(SALU_CYCLE_1)
	s_or_b32 exec_lo, exec_lo, s9
	ds_bpermute_b32 v22, v40, v36
	ds_bpermute_b32 v23, v40, v37
	s_wait_dscnt 0x0
	s_barrier_signal -1
	s_barrier_wait -1
	ds_load_u8 v5, v4 offset:8192
	s_mov_b64 s[8:9], 0
	v_min_i64 v[22:23], v[22:23], v[36:37]
	s_wait_dscnt 0x0
	v_and_b32_e32 v5, 1, v5
	s_delay_alu instid0(VALU_DEP_1)
	v_cmp_eq_u32_e32 vcc_lo, 0, v5
	s_and_b32 vcc_lo, exec_lo, vcc_lo
	ds_bpermute_b32 v26, v41, v22
	ds_bpermute_b32 v27, v41, v23
	s_wait_dscnt 0x0
	v_min_i64 v[22:23], v[26:27], v[22:23]
	ds_bpermute_b32 v26, v42, v22
	ds_bpermute_b32 v27, v42, v23
	s_wait_dscnt 0x0
	v_min_i64 v[22:23], v[26:27], v[22:23]
	ds_bpermute_b32 v22, v39, v22
	ds_bpermute_b32 v23, v39, v23
	s_cbranch_vccnz .LBB141_37
; %bb.20:                               ;   in Loop: Header=BB141_7 Depth=1
	s_mul_u64 s[8:9], s[24:25], s[28:29]
	v_add_nc_u64_e32 v[28:29], s[18:19], v[24:25]
	s_lshl_b64 s[8:9], s[8:9], 3
	s_delay_alu instid0(SALU_CYCLE_1) | instskip(SKIP_2) | instid1(SALU_CYCLE_1)
	v_add_nc_u64_e32 v[26:27], s[8:9], v[8:9]
	v_add_nc_u64_e32 v[24:25], s[8:9], v[18:19]
	s_lshl_b64 s[8:9], s[28:29], 3
	s_add_nc_u64 s[8:9], s[22:23], s[8:9]
	global_store_b64 v4, v[28:29], s[8:9]
	s_wait_xcnt 0x0
	s_and_saveexec_b32 s8, s38
	s_cbranch_execz .LBB141_24
; %bb.21:                               ;   in Loop: Header=BB141_7 Depth=1
	ds_load_b64 v[28:29], v44
	s_and_b32 vcc_lo, exec_lo, s33
	s_cbranch_vccz .LBB141_53
; %bb.22:                               ;   in Loop: Header=BB141_7 Depth=1
	v_lshl_add_u64 v[30:31], v[10:11], 3, v[26:27]
	s_wait_dscnt 0x0
	global_store_b64 v[30:31], v[28:29], off
	s_cbranch_execnz .LBB141_24
.LBB141_23:                             ;   in Loop: Header=BB141_7 Depth=1
	s_wait_dscnt 0x0
	global_store_b64 v[24:25], v[28:29], off
.LBB141_24:                             ;   in Loop: Header=BB141_7 Depth=1
	s_wait_xcnt 0x0
	s_or_b32 exec_lo, exec_lo, s8
	s_and_saveexec_b32 s8, s39
	s_cbranch_execz .LBB141_28
; %bb.25:                               ;   in Loop: Header=BB141_7 Depth=1
	s_wait_dscnt 0x0
	ds_load_b64 v[28:29], v44 offset:64
	s_and_not1_b32 vcc_lo, exec_lo, s33
	s_cbranch_vccnz .LBB141_54
; %bb.26:                               ;   in Loop: Header=BB141_7 Depth=1
	v_lshl_add_u64 v[30:31], v[12:13], 3, v[26:27]
	s_wait_dscnt 0x0
	global_store_b64 v[30:31], v[28:29], off
	s_cbranch_execnz .LBB141_28
.LBB141_27:                             ;   in Loop: Header=BB141_7 Depth=1
	s_wait_dscnt 0x0
	global_store_b64 v[24:25], v[28:29], off offset:64
.LBB141_28:                             ;   in Loop: Header=BB141_7 Depth=1
	s_wait_xcnt 0x0
	s_or_b32 exec_lo, exec_lo, s8
	s_and_saveexec_b32 s8, s40
	s_cbranch_execz .LBB141_32
; %bb.29:                               ;   in Loop: Header=BB141_7 Depth=1
	s_wait_dscnt 0x0
	ds_load_b64 v[28:29], v44 offset:128
	s_and_not1_b32 vcc_lo, exec_lo, s33
	s_cbranch_vccnz .LBB141_55
; %bb.30:                               ;   in Loop: Header=BB141_7 Depth=1
	v_lshl_add_u64 v[30:31], v[14:15], 3, v[26:27]
	s_wait_dscnt 0x0
	global_store_b64 v[30:31], v[28:29], off
	s_cbranch_execnz .LBB141_32
.LBB141_31:                             ;   in Loop: Header=BB141_7 Depth=1
	s_wait_dscnt 0x0
	global_store_b64 v[24:25], v[28:29], off offset:128
.LBB141_32:                             ;   in Loop: Header=BB141_7 Depth=1
	s_wait_xcnt 0x0
	s_or_b32 exec_lo, exec_lo, s8
	s_and_saveexec_b32 s8, s41
	s_cbranch_execz .LBB141_36
; %bb.33:                               ;   in Loop: Header=BB141_7 Depth=1
	s_wait_dscnt 0x0
	ds_load_b64 v[28:29], v44 offset:192
	s_and_not1_b32 vcc_lo, exec_lo, s33
	s_cbranch_vccnz .LBB141_56
; %bb.34:                               ;   in Loop: Header=BB141_7 Depth=1
	v_lshl_add_u64 v[26:27], v[16:17], 3, v[26:27]
	s_wait_dscnt 0x0
	global_store_b64 v[26:27], v[28:29], off
	s_cbranch_execnz .LBB141_36
.LBB141_35:                             ;   in Loop: Header=BB141_7 Depth=1
	s_wait_dscnt 0x0
	global_store_b64 v[24:25], v[28:29], off offset:192
.LBB141_36:                             ;   in Loop: Header=BB141_7 Depth=1
	s_wait_xcnt 0x0
	s_or_b32 exec_lo, exec_lo, s8
	s_mov_b64 s[8:9], 1
.LBB141_37:                             ;   in Loop: Header=BB141_7 Depth=1
	s_wait_storecnt_dscnt 0x0
	s_barrier_signal -1
	s_barrier_wait -1
	ds_store_b64 v43, v[20:21]
	s_wait_dscnt 0x0
	s_barrier_signal -1
	s_barrier_wait -1
	s_and_saveexec_b32 s10, s0
	s_cbranch_execz .LBB141_39
; %bb.38:                               ;   in Loop: Header=BB141_7 Depth=1
	ds_load_2addr_stride64_b64 v[24:27], v43 offset1:2
	s_wait_dscnt 0x0
	v_min_i64 v[20:21], v[26:27], v[24:25]
	ds_store_b64 v43, v[20:21]
.LBB141_39:                             ;   in Loop: Header=BB141_7 Depth=1
	s_or_b32 exec_lo, exec_lo, s10
	s_wait_dscnt 0x0
	s_barrier_signal -1
	s_barrier_wait -1
	s_and_saveexec_b32 s10, s1
	s_cbranch_execz .LBB141_41
; %bb.40:                               ;   in Loop: Header=BB141_7 Depth=1
	ds_load_2addr_stride64_b64 v[24:27], v43 offset1:1
	s_wait_dscnt 0x0
	v_min_i64 v[20:21], v[26:27], v[24:25]
	ds_store_b64 v43, v[20:21]
.LBB141_41:                             ;   in Loop: Header=BB141_7 Depth=1
	s_or_b32 exec_lo, exec_lo, s10
	s_wait_dscnt 0x0
	s_barrier_signal -1
	s_barrier_wait -1
	s_and_saveexec_b32 s10, s2
	s_cbranch_execz .LBB141_43
; %bb.42:                               ;   in Loop: Header=BB141_7 Depth=1
	ds_load_2addr_b64 v[24:27], v43 offset1:32
	s_wait_dscnt 0x0
	v_min_i64 v[20:21], v[26:27], v[24:25]
	ds_store_b64 v43, v[20:21]
.LBB141_43:                             ;   in Loop: Header=BB141_7 Depth=1
	s_or_b32 exec_lo, exec_lo, s10
	s_wait_dscnt 0x0
	s_barrier_signal -1
	s_barrier_wait -1
	s_and_saveexec_b32 s10, s3
	s_cbranch_execz .LBB141_45
; %bb.44:                               ;   in Loop: Header=BB141_7 Depth=1
	ds_load_2addr_b64 v[24:27], v43 offset1:16
	s_wait_dscnt 0x0
	v_min_i64 v[20:21], v[26:27], v[24:25]
	ds_store_b64 v43, v[20:21]
.LBB141_45:                             ;   in Loop: Header=BB141_7 Depth=1
	;; [unrolled: 12-line block ×5, first 2 shown]
	s_or_b32 exec_lo, exec_lo, s10
	s_wait_dscnt 0x0
	s_barrier_signal -1
	s_barrier_wait -1
	s_and_saveexec_b32 s10, s7
	s_cbranch_execz .LBB141_6
; %bb.52:                               ;   in Loop: Header=BB141_7 Depth=1
	ds_load_b128 v[24:27], v4
	s_wait_dscnt 0x0
	v_min_i64 v[20:21], v[26:27], v[24:25]
	ds_store_b64 v4, v[20:21]
	s_branch .LBB141_6
.LBB141_53:                             ;   in Loop: Header=BB141_7 Depth=1
	s_branch .LBB141_23
.LBB141_54:                             ;   in Loop: Header=BB141_7 Depth=1
	s_branch .LBB141_27
.LBB141_55:                             ;   in Loop: Header=BB141_7 Depth=1
	s_branch .LBB141_31
.LBB141_56:                             ;   in Loop: Header=BB141_7 Depth=1
	s_branch .LBB141_35
.LBB141_57:
	s_endpgm
	.section	.rodata,"a",@progbits
	.p2align	6, 0x0
	.amdhsa_kernel _ZN9rocsparseL38csr2bsr_block_per_row_multipass_kernelILj256ELj32EdllEEv20rocsparse_direction_T3_S2_S2_S2_S2_21rocsparse_index_base_PKT1_PKT2_PKS2_S3_PS4_PS7_PS2_
		.amdhsa_group_segment_fixed_size 8200
		.amdhsa_private_segment_fixed_size 0
		.amdhsa_kernarg_size 112
		.amdhsa_user_sgpr_count 2
		.amdhsa_user_sgpr_dispatch_ptr 0
		.amdhsa_user_sgpr_queue_ptr 0
		.amdhsa_user_sgpr_kernarg_segment_ptr 1
		.amdhsa_user_sgpr_dispatch_id 0
		.amdhsa_user_sgpr_kernarg_preload_length 0
		.amdhsa_user_sgpr_kernarg_preload_offset 0
		.amdhsa_user_sgpr_private_segment_size 0
		.amdhsa_wavefront_size32 1
		.amdhsa_uses_dynamic_stack 0
		.amdhsa_enable_private_segment 0
		.amdhsa_system_sgpr_workgroup_id_x 1
		.amdhsa_system_sgpr_workgroup_id_y 0
		.amdhsa_system_sgpr_workgroup_id_z 0
		.amdhsa_system_sgpr_workgroup_info 0
		.amdhsa_system_vgpr_workitem_id 0
		.amdhsa_next_free_vgpr 60
		.amdhsa_next_free_sgpr 54
		.amdhsa_named_barrier_count 0
		.amdhsa_reserve_vcc 1
		.amdhsa_float_round_mode_32 0
		.amdhsa_float_round_mode_16_64 0
		.amdhsa_float_denorm_mode_32 3
		.amdhsa_float_denorm_mode_16_64 3
		.amdhsa_fp16_overflow 0
		.amdhsa_memory_ordered 1
		.amdhsa_forward_progress 1
		.amdhsa_inst_pref_size 22
		.amdhsa_round_robin_scheduling 0
		.amdhsa_exception_fp_ieee_invalid_op 0
		.amdhsa_exception_fp_denorm_src 0
		.amdhsa_exception_fp_ieee_div_zero 0
		.amdhsa_exception_fp_ieee_overflow 0
		.amdhsa_exception_fp_ieee_underflow 0
		.amdhsa_exception_fp_ieee_inexact 0
		.amdhsa_exception_int_div_zero 0
	.end_amdhsa_kernel
	.section	.text._ZN9rocsparseL38csr2bsr_block_per_row_multipass_kernelILj256ELj32EdllEEv20rocsparse_direction_T3_S2_S2_S2_S2_21rocsparse_index_base_PKT1_PKT2_PKS2_S3_PS4_PS7_PS2_,"axG",@progbits,_ZN9rocsparseL38csr2bsr_block_per_row_multipass_kernelILj256ELj32EdllEEv20rocsparse_direction_T3_S2_S2_S2_S2_21rocsparse_index_base_PKT1_PKT2_PKS2_S3_PS4_PS7_PS2_,comdat
.Lfunc_end141:
	.size	_ZN9rocsparseL38csr2bsr_block_per_row_multipass_kernelILj256ELj32EdllEEv20rocsparse_direction_T3_S2_S2_S2_S2_21rocsparse_index_base_PKT1_PKT2_PKS2_S3_PS4_PS7_PS2_, .Lfunc_end141-_ZN9rocsparseL38csr2bsr_block_per_row_multipass_kernelILj256ELj32EdllEEv20rocsparse_direction_T3_S2_S2_S2_S2_21rocsparse_index_base_PKT1_PKT2_PKS2_S3_PS4_PS7_PS2_
                                        ; -- End function
	.set _ZN9rocsparseL38csr2bsr_block_per_row_multipass_kernelILj256ELj32EdllEEv20rocsparse_direction_T3_S2_S2_S2_S2_21rocsparse_index_base_PKT1_PKT2_PKS2_S3_PS4_PS7_PS2_.num_vgpr, 60
	.set _ZN9rocsparseL38csr2bsr_block_per_row_multipass_kernelILj256ELj32EdllEEv20rocsparse_direction_T3_S2_S2_S2_S2_21rocsparse_index_base_PKT1_PKT2_PKS2_S3_PS4_PS7_PS2_.num_agpr, 0
	.set _ZN9rocsparseL38csr2bsr_block_per_row_multipass_kernelILj256ELj32EdllEEv20rocsparse_direction_T3_S2_S2_S2_S2_21rocsparse_index_base_PKT1_PKT2_PKS2_S3_PS4_PS7_PS2_.numbered_sgpr, 54
	.set _ZN9rocsparseL38csr2bsr_block_per_row_multipass_kernelILj256ELj32EdllEEv20rocsparse_direction_T3_S2_S2_S2_S2_21rocsparse_index_base_PKT1_PKT2_PKS2_S3_PS4_PS7_PS2_.num_named_barrier, 0
	.set _ZN9rocsparseL38csr2bsr_block_per_row_multipass_kernelILj256ELj32EdllEEv20rocsparse_direction_T3_S2_S2_S2_S2_21rocsparse_index_base_PKT1_PKT2_PKS2_S3_PS4_PS7_PS2_.private_seg_size, 0
	.set _ZN9rocsparseL38csr2bsr_block_per_row_multipass_kernelILj256ELj32EdllEEv20rocsparse_direction_T3_S2_S2_S2_S2_21rocsparse_index_base_PKT1_PKT2_PKS2_S3_PS4_PS7_PS2_.uses_vcc, 1
	.set _ZN9rocsparseL38csr2bsr_block_per_row_multipass_kernelILj256ELj32EdllEEv20rocsparse_direction_T3_S2_S2_S2_S2_21rocsparse_index_base_PKT1_PKT2_PKS2_S3_PS4_PS7_PS2_.uses_flat_scratch, 0
	.set _ZN9rocsparseL38csr2bsr_block_per_row_multipass_kernelILj256ELj32EdllEEv20rocsparse_direction_T3_S2_S2_S2_S2_21rocsparse_index_base_PKT1_PKT2_PKS2_S3_PS4_PS7_PS2_.has_dyn_sized_stack, 0
	.set _ZN9rocsparseL38csr2bsr_block_per_row_multipass_kernelILj256ELj32EdllEEv20rocsparse_direction_T3_S2_S2_S2_S2_21rocsparse_index_base_PKT1_PKT2_PKS2_S3_PS4_PS7_PS2_.has_recursion, 0
	.set _ZN9rocsparseL38csr2bsr_block_per_row_multipass_kernelILj256ELj32EdllEEv20rocsparse_direction_T3_S2_S2_S2_S2_21rocsparse_index_base_PKT1_PKT2_PKS2_S3_PS4_PS7_PS2_.has_indirect_call, 0
	.section	.AMDGPU.csdata,"",@progbits
; Kernel info:
; codeLenInByte = 2784
; TotalNumSgprs: 56
; NumVgprs: 60
; ScratchSize: 0
; MemoryBound: 0
; FloatMode: 240
; IeeeMode: 1
; LDSByteSize: 8200 bytes/workgroup (compile time only)
; SGPRBlocks: 0
; VGPRBlocks: 3
; NumSGPRsForWavesPerEU: 56
; NumVGPRsForWavesPerEU: 60
; NamedBarCnt: 0
; Occupancy: 16
; WaveLimiterHint : 1
; COMPUTE_PGM_RSRC2:SCRATCH_EN: 0
; COMPUTE_PGM_RSRC2:USER_SGPR: 2
; COMPUTE_PGM_RSRC2:TRAP_HANDLER: 0
; COMPUTE_PGM_RSRC2:TGID_X_EN: 1
; COMPUTE_PGM_RSRC2:TGID_Y_EN: 0
; COMPUTE_PGM_RSRC2:TGID_Z_EN: 0
; COMPUTE_PGM_RSRC2:TIDIG_COMP_CNT: 0
	.section	.text._ZN9rocsparseL38csr2bsr_block_per_row_multipass_kernelILj256ELj64EdllEEv20rocsparse_direction_T3_S2_S2_S2_S2_21rocsparse_index_base_PKT1_PKT2_PKS2_S3_PS4_PS7_PS2_,"axG",@progbits,_ZN9rocsparseL38csr2bsr_block_per_row_multipass_kernelILj256ELj64EdllEEv20rocsparse_direction_T3_S2_S2_S2_S2_21rocsparse_index_base_PKT1_PKT2_PKS2_S3_PS4_PS7_PS2_,comdat
	.globl	_ZN9rocsparseL38csr2bsr_block_per_row_multipass_kernelILj256ELj64EdllEEv20rocsparse_direction_T3_S2_S2_S2_S2_21rocsparse_index_base_PKT1_PKT2_PKS2_S3_PS4_PS7_PS2_ ; -- Begin function _ZN9rocsparseL38csr2bsr_block_per_row_multipass_kernelILj256ELj64EdllEEv20rocsparse_direction_T3_S2_S2_S2_S2_21rocsparse_index_base_PKT1_PKT2_PKS2_S3_PS4_PS7_PS2_
	.p2align	8
	.type	_ZN9rocsparseL38csr2bsr_block_per_row_multipass_kernelILj256ELj64EdllEEv20rocsparse_direction_T3_S2_S2_S2_S2_21rocsparse_index_base_PKT1_PKT2_PKS2_S3_PS4_PS7_PS2_,@function
_ZN9rocsparseL38csr2bsr_block_per_row_multipass_kernelILj256ELj64EdllEEv20rocsparse_direction_T3_S2_S2_S2_S2_21rocsparse_index_base_PKT1_PKT2_PKS2_S3_PS4_PS7_PS2_: ; @_ZN9rocsparseL38csr2bsr_block_per_row_multipass_kernelILj256ELj64EdllEEv20rocsparse_direction_T3_S2_S2_S2_S2_21rocsparse_index_base_PKT1_PKT2_PKS2_S3_PS4_PS7_PS2_
; %bb.0:
	s_clause 0x1
	s_load_b128 s[12:15], s[0:1], 0x20
	s_load_b64 s[2:3], s[0:1], 0x8
	s_bfe_u32 s5, ttmp6, 0x4000c
	s_and_b32 s4, ttmp6, 15
	s_add_co_i32 s5, s5, 1
	s_getreg_b32 s6, hwreg(HW_REG_IB_STS2, 6, 4)
	s_mul_i32 s5, ttmp9, s5
	v_dual_mov_b32 v11, 0 :: v_dual_lshrrev_b32 v10, 2, v0
	s_add_co_i32 s4, s4, s5
	s_cmp_eq_u32 s6, 0
	s_clause 0x1
	s_load_b32 s10, s[0:1], 0x30
	s_load_b64 s[6:7], s[0:1], 0x40
	s_cselect_b32 s4, ttmp9, s4
	v_mov_b64_e32 v[2:3], 0
	s_ashr_i32 s5, s4, 31
	v_mov_b64_e32 v[20:21], 0
	s_mov_b32 s11, 0
	s_wait_kmcnt 0x0
	v_mad_nc_u64_u32 v[4:5], s14, s4, v[10:11]
	s_mul_i32 s8, s14, s5
	s_mul_i32 s9, s15, s4
	s_delay_alu instid0(VALU_DEP_1) | instid1(SALU_CYCLE_1)
	v_add3_u32 v5, s8, s9, v5
	s_delay_alu instid0(VALU_DEP_1) | instskip(SKIP_2) | instid1(SALU_CYCLE_1)
	v_cmp_gt_i64_e32 vcc_lo, s[2:3], v[4:5]
	v_cmp_gt_i64_e64 s2, s[14:15], v[10:11]
	s_and_b32 s3, s2, vcc_lo
	s_and_saveexec_b32 s8, s3
	s_cbranch_execnz .LBB142_3
; %bb.1:
	s_or_b32 exec_lo, exec_lo, s8
	s_and_saveexec_b32 s8, s3
	s_cbranch_execnz .LBB142_4
.LBB142_2:
	s_or_b32 exec_lo, exec_lo, s8
	v_cmp_lt_i64_e64 s3, s[12:13], 1
	s_and_b32 vcc_lo, exec_lo, s3
	s_cbranch_vccz .LBB142_5
	s_branch .LBB142_59
.LBB142_3:
	v_lshl_add_u64 v[6:7], v[4:5], 3, s[6:7]
	global_load_b64 v[6:7], v[6:7], off
	s_wait_loadcnt 0x0
	v_sub_nc_u64_e64 v[20:21], v[6:7], s[10:11]
	s_or_b32 exec_lo, exec_lo, s8
	s_and_saveexec_b32 s8, s3
	s_cbranch_execz .LBB142_2
.LBB142_4:
	v_lshl_add_u64 v[2:3], v[4:5], 3, s[6:7]
	global_load_b64 v[2:3], v[2:3], off offset:8
	s_wait_loadcnt 0x0
	v_sub_nc_u64_e64 v[2:3], v[2:3], s[10:11]
	s_or_b32 exec_lo, exec_lo, s8
	v_cmp_lt_i64_e64 s3, s[12:13], 1
	s_and_b32 vcc_lo, exec_lo, s3
	s_cbranch_vccnz .LBB142_59
.LBB142_5:
	v_mbcnt_lo_u32_b32 v1, -1, 0
	s_clause 0x4
	s_load_b128 s[16:19], s[0:1], 0x58
	s_load_b64 s[24:25], s[0:1], 0x68
	s_load_b96 s[20:22], s[0:1], 0x48
	s_load_b64 s[26:27], s[0:1], 0x38
	s_load_b32 s8, s[0:1], 0x0
	v_cvt_f32_u32_e32 v5, s14
	v_dual_lshlrev_b32 v36, 9, v10 :: v_dual_bitop2_b32 v4, 3, v0 bitop3:0x40
	v_xor_b32_e32 v11, 1, v1
	v_xor_b32_e32 v9, 2, v1
	s_delay_alu instid0(VALU_DEP_4) | instskip(SKIP_2) | instid1(VALU_DEP_3)
	v_rcp_iflag_f32_e32 v7, v5
	v_dual_mov_b32 v6, 0 :: v_dual_lshlrev_b32 v37, 3, v0
	v_lshlrev_b32_e32 v8, 3, v4
	v_cmp_gt_i32_e32 vcc_lo, 32, v9
	s_lshl_b64 s[6:7], s[4:5], 3
	s_delay_alu instid0(VALU_DEP_3)
	v_mov_b32_e32 v5, v6
	v_lshl_or_b32 v38, v1, 2, 12
	v_dual_cndmask_b32 v9, v1, v9, vcc_lo :: v_dual_bitop2_b32 v39, v36, v8 bitop3:0x54
	v_mul_f32_e32 v7, 0x4f7ffffe, v7
	v_cmp_gt_i32_e32 vcc_lo, 32, v11
	s_wait_kmcnt 0x0
	s_add_nc_u64 s[6:7], s[18:19], s[6:7]
	s_mov_b32 s23, 0
	v_lshlrev_b32_e32 v40, 2, v9
	v_cvt_u32_f32_e32 v7, v7
	s_cmp_lg_u32 s8, 0
	s_load_b64 s[6:7], s[6:7], 0x0
	s_cselect_b32 s33, -1, 0
	s_sub_co_i32 s8, 0, s14
	v_cndmask_b32_e32 v1, v1, v11, vcc_lo
	v_mul_lo_u32 v12, s8, v7
	s_mov_b32 s29, s23
	s_mov_b32 s28, s22
	v_mov_b64_e32 v[22:23], 0
	v_mov_b64_e32 v[16:17], 0
	v_cmp_gt_u32_e64 s0, 0x80, v0
	v_cmp_gt_u32_e64 s1, 64, v0
	v_cmp_gt_u32_e64 s3, 32, v0
	v_cmp_gt_u32_e64 s4, 16, v0
	v_cmp_gt_u32_e64 s5, 8, v0
	v_lshlrev_b32_e32 v41, 2, v1
	v_mul_hi_u32 v18, v7, v12
	v_cmp_eq_u32_e64 s8, 0, v0
	v_dual_mov_b32 v1, v6 :: v_dual_mov_b32 v9, v6
	v_dual_mov_b32 v11, v6 :: v_dual_bitop2_b32 v12, 32, v8 bitop3:0x54
	s_wait_kmcnt 0x0
	s_sub_nc_u64 s[18:19], s[6:7], s[28:29]
	v_cmp_gt_u32_e64 s6, 4, v0
	v_cmp_gt_u32_e64 s7, 2, v0
	v_dual_lshlrev_b32 v0, 3, v10 :: v_dual_bitop2_b32 v10, 64, v8 bitop3:0x54
	v_dual_mov_b32 v13, v6 :: v_dual_mov_b32 v15, v6
	v_or_b32_e32 v14, 0x60, v8
	v_dual_mov_b32 v42, 1 :: v_dual_add_nc_u32 v43, v7, v18
	s_mov_b32 s11, s23
	s_mov_b64 s[30:31], 0xffffffff
	s_lshl_b64 s[34:35], s[14:15], 3
	s_lshl_b64 s[36:37], s[14:15], 7
	s_ashr_i32 s38, s15, 31
	s_branch .LBB142_7
.LBB142_6:                              ;   in Loop: Header=BB142_7 Depth=1
	s_or_b32 exec_lo, exec_lo, s9
	s_wait_dscnt 0x0
	s_barrier_signal -1
	s_barrier_wait -1
	ds_load_b64 v[22:23], v6
	s_add_nc_u64 s[18:19], s[40:41], s[18:19]
	s_wait_dscnt 0x0
	s_barrier_signal -1
	s_barrier_wait -1
	v_cmp_gt_i64_e32 vcc_lo, s[12:13], v[22:23]
	s_cbranch_vccz .LBB142_59
.LBB142_7:                              ; =>This Loop Header: Depth=1
                                        ;     Child Loop BB142_10 Depth 2
                                        ;     Child Loop BB142_22 Depth 2
	v_add_nc_u64_e32 v[20:21], v[20:21], v[4:5]
	v_mov_b64_e32 v[18:19], s[12:13]
	v_mov_b64_e32 v[34:35], v[2:3]
	s_mov_b32 s42, exec_lo
	ds_store_b8 v6, v6 offset:32768
	ds_store_2addr_b64 v39, v[16:17], v[16:17] offset1:4
	ds_store_2addr_b64 v39, v[16:17], v[16:17] offset0:8 offset1:12
	ds_store_2addr_b64 v39, v[16:17], v[16:17] offset0:16 offset1:20
	;; [unrolled: 1-line block ×7, first 2 shown]
	s_wait_dscnt 0x0
	s_barrier_signal -1
	s_barrier_wait -1
	v_cmpx_lt_i64_e64 v[20:21], v[2:3]
	s_cbranch_execz .LBB142_19
; %bb.8:                                ;   in Loop: Header=BB142_7 Depth=1
	v_mul_u64_e32 v[24:25], s[14:15], v[22:23]
	v_lshlrev_b64_e32 v[18:19], 3, v[20:21]
	v_mov_b64_e32 v[30:31], v[2:3]
	s_mov_b32 s43, 0
	s_delay_alu instid0(VALU_DEP_2)
	v_add_nc_u64_e32 v[26:27], s[26:27], v[18:19]
	v_add_nc_u64_e32 v[28:29], s[20:21], v[18:19]
	v_mov_b64_e32 v[18:19], s[12:13]
	s_branch .LBB142_10
.LBB142_9:                              ;   in Loop: Header=BB142_10 Depth=2
	s_wait_xcnt 0x0
	s_or_b32 exec_lo, exec_lo, s9
	v_add_nc_u64_e32 v[20:21], 4, v[20:21]
	s_xor_b32 s22, vcc_lo, -1
	v_add_nc_u64_e32 v[26:27], 32, v[26:27]
	v_add_nc_u64_e32 v[28:29], 32, v[28:29]
	v_mov_b64_e32 v[30:31], v[34:35]
	s_delay_alu instid0(VALU_DEP_4) | instskip(SKIP_1) | instid1(SALU_CYCLE_1)
	v_cmp_ge_i64_e64 s9, v[20:21], v[2:3]
	s_or_b32 s9, s22, s9
	s_and_b32 s9, exec_lo, s9
	s_delay_alu instid0(SALU_CYCLE_1) | instskip(NEXT) | instid1(SALU_CYCLE_1)
	s_or_b32 s43, s9, s43
	s_and_not1_b32 exec_lo, exec_lo, s43
	s_cbranch_execz .LBB142_18
.LBB142_10:                             ;   Parent Loop BB142_7 Depth=1
                                        ; =>  This Inner Loop Header: Depth=2
	global_load_b64 v[32:33], v[28:29], off
                                        ; implicit-def: $vgpr34_vgpr35
	s_mov_b32 s9, exec_lo
	s_wait_loadcnt 0x0
	v_sub_nc_u64_e64 v[32:33], v[32:33], s[10:11]
	s_delay_alu instid0(VALU_DEP_1) | instskip(SKIP_1) | instid1(VALU_DEP_1)
	v_or_b32_e32 v7, s15, v33
	s_wait_xcnt 0x0
	v_cmpx_ne_u64_e32 0, v[6:7]
	s_xor_b32 s44, exec_lo, s9
	s_cbranch_execz .LBB142_12
; %bb.11:                               ;   in Loop: Header=BB142_10 Depth=2
	s_mov_b32 s39, s38
	v_dual_mov_b32 v47, v6 :: v_dual_ashrrev_i32 v34, 31, v33
	s_add_nc_u64 s[40:41], s[14:15], s[38:39]
	v_mov_b32_e32 v55, v6
	s_xor_b64 s[40:41], s[40:41], s[38:39]
	s_delay_alu instid0(VALU_DEP_2) | instskip(SKIP_3) | instid1(VALU_DEP_1)
	v_mov_b32_e32 v35, v34
	s_cvt_f32_u32 s9, s40
	s_cvt_f32_u32 s22, s41
	s_sub_nc_u64 s[48:49], 0, s[40:41]
	v_add_nc_u64_e32 v[44:45], v[32:33], v[34:35]
	s_delay_alu instid0(SALU_CYCLE_1) | instskip(SKIP_1) | instid1(SALU_CYCLE_2)
	s_fmamk_f32 s9, s22, 0x4f800000, s9
	v_mov_b32_e32 v51, v6
	v_s_rcp_f32 s9, s9
	s_delay_alu instid0(VALU_DEP_2) | instskip(NEXT) | instid1(VALU_DEP_3)
	v_xor_b32_e32 v46, v44, v34
	v_xor_b32_e32 v50, v45, v34
	;; [unrolled: 1-line block ×3, first 2 shown]
	s_delay_alu instid0(TRANS32_DEP_1) | instskip(NEXT) | instid1(SALU_CYCLE_3)
	s_mul_f32 s9, s9, 0x5f7ffffc
	s_mul_f32 s22, s9, 0x2f800000
	s_delay_alu instid0(SALU_CYCLE_3) | instskip(NEXT) | instid1(SALU_CYCLE_3)
	s_trunc_f32 s22, s22
	s_fmamk_f32 s9, s22, 0xcf800000, s9
	s_cvt_u32_f32 s47, s22
	s_delay_alu instid0(SALU_CYCLE_2) | instskip(NEXT) | instid1(SALU_CYCLE_3)
	s_cvt_u32_f32 s46, s9
	s_mul_u64 s[50:51], s[48:49], s[46:47]
	s_delay_alu instid0(SALU_CYCLE_1)
	s_mul_hi_u32 s53, s46, s51
	s_mul_i32 s52, s46, s51
	s_mul_hi_u32 s22, s46, s50
	s_mul_i32 s39, s47, s50
	s_add_nc_u64 s[52:53], s[22:23], s[52:53]
	s_mul_hi_u32 s9, s47, s50
	s_mul_hi_u32 s45, s47, s51
	s_add_co_u32 s22, s52, s39
	s_add_co_ci_u32 s22, s53, s9
	s_mul_i32 s50, s47, s51
	s_add_co_ci_u32 s51, s45, 0
	s_delay_alu instid0(SALU_CYCLE_1) | instskip(NEXT) | instid1(SALU_CYCLE_1)
	s_add_nc_u64 s[50:51], s[22:23], s[50:51]
	s_add_co_u32 s46, s46, s50
	s_cselect_b32 s9, -1, 0
	s_delay_alu instid0(SALU_CYCLE_1) | instskip(SKIP_1) | instid1(SALU_CYCLE_1)
	s_cmp_lg_u32 s9, 0
	s_add_co_ci_u32 s47, s47, s51
	s_mul_u64 s[48:49], s[48:49], s[46:47]
	s_delay_alu instid0(SALU_CYCLE_1)
	s_mul_hi_u32 s51, s46, s49
	s_mul_i32 s50, s46, s49
	s_mul_hi_u32 s22, s46, s48
	s_mul_i32 s39, s47, s48
	s_add_nc_u64 s[50:51], s[22:23], s[50:51]
	s_mul_hi_u32 s9, s47, s48
	s_mul_hi_u32 s45, s47, s49
	s_add_co_u32 s22, s50, s39
	s_add_co_ci_u32 s22, s51, s9
	s_mul_i32 s48, s47, s49
	s_add_co_ci_u32 s49, s45, 0
	s_delay_alu instid0(SALU_CYCLE_1) | instskip(NEXT) | instid1(SALU_CYCLE_1)
	s_add_nc_u64 s[48:49], s[22:23], s[48:49]
	s_add_co_u32 s46, s46, s48
	s_cselect_b32 s9, -1, 0
	v_mul_hi_u32 v54, v46, s46
	s_cmp_lg_u32 s9, 0
	s_add_co_ci_u32 s22, s47, s49
	s_and_b64 s[48:49], s[46:47], s[30:31]
	v_mul_u64_e32 v[48:49], s[22:23], v[46:47]
	v_mul_u64_e32 v[44:45], s[48:49], v[50:51]
	;; [unrolled: 1-line block ×3, first 2 shown]
	s_delay_alu instid0(VALU_DEP_3) | instskip(NEXT) | instid1(VALU_DEP_1)
	v_add_nc_u64_e32 v[48:49], v[54:55], v[48:49]
	v_add_co_u32 v7, vcc_lo, v48, v44
	s_delay_alu instid0(VALU_DEP_2) | instskip(NEXT) | instid1(VALU_DEP_4)
	v_add_co_ci_u32_e32 v54, vcc_lo, v49, v45, vcc_lo
	v_add_co_ci_u32_e32 v53, vcc_lo, 0, v53, vcc_lo
	s_delay_alu instid0(VALU_DEP_1) | instskip(NEXT) | instid1(VALU_DEP_1)
	v_add_nc_u64_e32 v[44:45], v[54:55], v[52:53]
	v_mul_u64_e32 v[48:49], s[40:41], v[44:45]
	s_delay_alu instid0(VALU_DEP_1) | instskip(NEXT) | instid1(VALU_DEP_2)
	v_sub_nc_u32_e32 v7, v50, v49
	v_sub_co_u32 v25, vcc_lo, v46, v48
	s_delay_alu instid0(VALU_DEP_1) | instskip(NEXT) | instid1(VALU_DEP_3)
	v_sub_co_ci_u32_e64 v35, null, v50, v49, vcc_lo
	v_subrev_co_ci_u32_e64 v7, null, s41, v7, vcc_lo
	s_delay_alu instid0(VALU_DEP_3) | instskip(SKIP_1) | instid1(VALU_DEP_3)
	v_sub_co_u32 v33, s9, v25, s40
	v_add_nc_u64_e32 v[48:49], 1, v[44:45]
	v_subrev_co_ci_u32_e64 v7, null, 0, v7, s9
	s_delay_alu instid0(VALU_DEP_3) | instskip(SKIP_1) | instid1(VALU_DEP_3)
	v_cmp_le_u32_e32 vcc_lo, s40, v33
	v_cndmask_b32_e64 v33, 0, -1, vcc_lo
	v_cmp_le_u32_e32 vcc_lo, s41, v7
	v_cndmask_b32_e64 v46, 0, -1, vcc_lo
	;; [unrolled: 2-line block ×4, first 2 shown]
	v_cmp_eq_u32_e32 vcc_lo, s41, v7
	v_cndmask_b32_e32 v7, v46, v33, vcc_lo
	v_cmp_eq_u32_e32 vcc_lo, s41, v35
	v_add_nc_u64_e32 v[46:47], 2, v[44:45]
	v_mov_b32_e32 v35, v34
	v_cndmask_b32_e32 v25, v50, v25, vcc_lo
	v_cmp_ne_u32_e32 vcc_lo, 0, v7
	s_delay_alu instid0(VALU_DEP_2) | instskip(SKIP_1) | instid1(VALU_DEP_1)
	v_cmp_ne_u32_e64 s9, 0, v25
	v_dual_cndmask_b32 v7, v49, v47, vcc_lo :: v_dual_cndmask_b32 v25, v48, v46, vcc_lo
	v_dual_cndmask_b32 v7, v45, v7, s9 :: v_dual_cndmask_b32 v25, v44, v25, s9
	s_delay_alu instid0(VALU_DEP_1) | instskip(NEXT) | instid1(VALU_DEP_2)
	v_xor_b32_e32 v45, v7, v34
	v_xor_b32_e32 v44, v25, v34
	s_delay_alu instid0(VALU_DEP_1)
	v_sub_nc_u64_e32 v[34:35], v[44:45], v[34:35]
.LBB142_12:                             ;   in Loop: Header=BB142_10 Depth=2
	s_and_not1_saveexec_b32 s9, s44
	s_cbranch_execz .LBB142_14
; %bb.13:                               ;   in Loop: Header=BB142_10 Depth=2
	v_mul_hi_u32 v7, v32, v43
	v_mov_b32_e32 v35, v6
	s_delay_alu instid0(VALU_DEP_2) | instskip(NEXT) | instid1(VALU_DEP_1)
	v_mul_lo_u32 v25, v7, s14
	v_dual_add_nc_u32 v33, 1, v7 :: v_dual_sub_nc_u32 v25, v32, v25
	s_delay_alu instid0(VALU_DEP_1) | instskip(SKIP_1) | instid1(VALU_DEP_2)
	v_subrev_nc_u32_e32 v34, s14, v25
	v_cmp_le_u32_e32 vcc_lo, s14, v25
	v_dual_cndmask_b32 v25, v25, v34, vcc_lo :: v_dual_cndmask_b32 v7, v7, v33, vcc_lo
	s_delay_alu instid0(VALU_DEP_1) | instskip(NEXT) | instid1(VALU_DEP_2)
	v_cmp_le_u32_e32 vcc_lo, s14, v25
	v_add_nc_u32_e32 v33, 1, v7
	s_delay_alu instid0(VALU_DEP_1)
	v_cndmask_b32_e32 v34, v7, v33, vcc_lo
.LBB142_14:                             ;   in Loop: Header=BB142_10 Depth=2
	s_or_b32 exec_lo, exec_lo, s9
	s_delay_alu instid0(VALU_DEP_1) | instskip(SKIP_2) | instid1(SALU_CYCLE_1)
	v_cmp_ne_u64_e64 s9, v[34:35], v[22:23]
	v_cmp_eq_u64_e32 vcc_lo, v[34:35], v[22:23]
	s_and_saveexec_b32 s22, s9
	s_xor_b32 s9, exec_lo, s22
; %bb.15:                               ;   in Loop: Header=BB142_10 Depth=2
	v_min_i64 v[18:19], v[34:35], v[18:19]
                                        ; implicit-def: $vgpr32_vgpr33
                                        ; implicit-def: $vgpr30_vgpr31
; %bb.16:                               ;   in Loop: Header=BB142_10 Depth=2
	s_or_saveexec_b32 s9, s9
	v_mov_b64_e32 v[34:35], v[20:21]
	s_xor_b32 exec_lo, exec_lo, s9
	s_cbranch_execz .LBB142_9
; %bb.17:                               ;   in Loop: Header=BB142_10 Depth=2
	global_load_b64 v[44:45], v[26:27], off
	v_sub_nc_u32_e32 v7, v32, v24
	v_mov_b64_e32 v[34:35], v[30:31]
	s_delay_alu instid0(VALU_DEP_2)
	v_lshl_add_u32 v7, v7, 3, v36
	ds_store_b8 v6, v42 offset:32768
	s_wait_loadcnt 0x0
	ds_store_b64 v7, v[44:45]
	s_branch .LBB142_9
.LBB142_18:                             ;   in Loop: Header=BB142_7 Depth=1
	s_or_b32 exec_lo, exec_lo, s43
.LBB142_19:                             ;   in Loop: Header=BB142_7 Depth=1
	s_delay_alu instid0(SALU_CYCLE_1)
	s_or_b32 exec_lo, exec_lo, s42
	ds_bpermute_b32 v20, v40, v34
	ds_bpermute_b32 v21, v40, v35
	s_wait_dscnt 0x0
	s_barrier_signal -1
	s_barrier_wait -1
	ds_load_u8 v7, v6 offset:32768
	s_mov_b64 s[40:41], 0
	v_min_i64 v[20:21], v[20:21], v[34:35]
	s_wait_dscnt 0x0
	v_and_b32_e32 v7, 1, v7
	s_delay_alu instid0(VALU_DEP_1)
	v_cmp_eq_u32_e32 vcc_lo, 0, v7
	s_and_b32 vcc_lo, exec_lo, vcc_lo
	ds_bpermute_b32 v24, v41, v20
	ds_bpermute_b32 v25, v41, v21
	s_wait_dscnt 0x0
	v_min_i64 v[20:21], v[24:25], v[20:21]
	ds_bpermute_b32 v20, v38, v20
	ds_bpermute_b32 v21, v38, v21
	s_cbranch_vccnz .LBB142_43
; %bb.20:                               ;   in Loop: Header=BB142_7 Depth=1
	s_mul_u64 s[40:41], s[34:35], s[18:19]
	v_add_nc_u64_e32 v[22:23], s[28:29], v[22:23]
	v_add_nc_u64_e32 v[34:35], s[40:41], v[10:11]
	;; [unrolled: 1-line block ×6, first 2 shown]
	s_lshl_b64 s[40:41], s[18:19], 3
	s_delay_alu instid0(SALU_CYCLE_1)
	s_add_nc_u64 s[42:43], s[24:25], s[40:41]
	v_mad_nc_u64_u32 v[24:25], s14, v34, v[0:1]
	v_mad_nc_u64_u32 v[26:27], s14, v44, v[0:1]
	;; [unrolled: 1-line block ×5, first 2 shown]
	s_mov_b64 s[40:41], 0
	global_store_b64 v6, v[22:23], s[42:43]
	v_mad_u32 v7, s15, v34, v25
	v_mad_u32 v27, s15, v44, v27
	;; [unrolled: 1-line block ×10, first 2 shown]
	v_mov_b32_e32 v7, v39
	s_branch .LBB142_22
.LBB142_21:                             ;   in Loop: Header=BB142_22 Depth=2
	s_wait_xcnt 0x0
	s_or_b32 exec_lo, exec_lo, s9
	v_add_nc_u64_e32 v[24:25], s[36:37], v[24:25]
	v_add_nc_u64_e32 v[26:27], s[36:37], v[26:27]
	;; [unrolled: 1-line block ×5, first 2 shown]
	s_add_nc_u64 s[40:41], s[40:41], 16
	v_add_nc_u32_e32 v7, 0x80, v7
	s_add_co_i32 s9, s40, -4
	s_delay_alu instid0(SALU_CYCLE_1)
	s_cmp_lt_u32 s9, 60
	s_cbranch_scc0 .LBB142_42
.LBB142_22:                             ;   Parent Loop BB142_7 Depth=1
                                        ; =>  This Inner Loop Header: Depth=2
	s_wait_xcnt 0x0
	s_wait_dscnt 0x0
	v_add_nc_u64_e32 v[22:23], s[40:41], v[4:5]
	s_delay_alu instid0(VALU_DEP_1) | instskip(SKIP_1) | instid1(SALU_CYCLE_1)
	v_cmp_gt_i64_e32 vcc_lo, s[14:15], v[22:23]
	s_and_b32 s22, s2, vcc_lo
	s_and_saveexec_b32 s9, s22
	s_cbranch_execz .LBB142_26
; %bb.23:                               ;   in Loop: Header=BB142_22 Depth=2
	ds_load_b64 v[34:35], v7
	s_and_b32 vcc_lo, exec_lo, s33
	s_cbranch_vccz .LBB142_37
; %bb.24:                               ;   in Loop: Header=BB142_22 Depth=2
	v_add_nc_u64_e32 v[44:45], s[16:17], v[28:29]
	s_wait_dscnt 0x0
	global_store_b64 v[44:45], v[34:35], off
	s_cbranch_execnz .LBB142_26
.LBB142_25:                             ;   in Loop: Header=BB142_22 Depth=2
	s_wait_xcnt 0x0
	v_add_nc_u64_e32 v[44:45], s[16:17], v[30:31]
	s_wait_dscnt 0x0
	global_store_b64 v[44:45], v[34:35], off
.LBB142_26:                             ;   in Loop: Header=BB142_22 Depth=2
	s_wait_xcnt 0x0
	s_or_b32 exec_lo, exec_lo, s9
	s_wait_dscnt 0x0
	v_add_nc_u64_e32 v[34:35], 4, v[22:23]
	s_delay_alu instid0(VALU_DEP_1) | instskip(SKIP_1) | instid1(SALU_CYCLE_1)
	v_cmp_gt_i64_e32 vcc_lo, s[14:15], v[34:35]
	s_and_b32 s22, s2, vcc_lo
	s_and_saveexec_b32 s9, s22
	s_cbranch_execz .LBB142_30
; %bb.27:                               ;   in Loop: Header=BB142_22 Depth=2
	ds_load_b64 v[34:35], v7 offset:32
	s_and_not1_b32 vcc_lo, exec_lo, s33
	s_cbranch_vccnz .LBB142_38
; %bb.28:                               ;   in Loop: Header=BB142_22 Depth=2
	v_add_nc_u64_e32 v[44:45], s[16:17], v[26:27]
	s_wait_dscnt 0x0
	global_store_b64 v[44:45], v[34:35], off
	s_cbranch_execnz .LBB142_30
.LBB142_29:                             ;   in Loop: Header=BB142_22 Depth=2
	s_wait_xcnt 0x0
	v_add_nc_u64_e32 v[44:45], s[16:17], v[30:31]
	s_wait_dscnt 0x0
	global_store_b64 v[44:45], v[34:35], off offset:32
.LBB142_30:                             ;   in Loop: Header=BB142_22 Depth=2
	s_wait_xcnt 0x0
	s_or_b32 exec_lo, exec_lo, s9
	s_wait_dscnt 0x0
	v_add_nc_u64_e32 v[34:35], 8, v[22:23]
	s_delay_alu instid0(VALU_DEP_1) | instskip(SKIP_1) | instid1(SALU_CYCLE_1)
	v_cmp_gt_i64_e32 vcc_lo, s[14:15], v[34:35]
	s_and_b32 s22, s2, vcc_lo
	s_and_saveexec_b32 s9, s22
	s_cbranch_execz .LBB142_34
; %bb.31:                               ;   in Loop: Header=BB142_22 Depth=2
	ds_load_b64 v[34:35], v7 offset:64
	s_and_not1_b32 vcc_lo, exec_lo, s33
	s_cbranch_vccnz .LBB142_39
; %bb.32:                               ;   in Loop: Header=BB142_22 Depth=2
	v_add_nc_u64_e32 v[44:45], s[16:17], v[24:25]
	s_wait_dscnt 0x0
	global_store_b64 v[44:45], v[34:35], off
	s_cbranch_execnz .LBB142_34
.LBB142_33:                             ;   in Loop: Header=BB142_22 Depth=2
	s_wait_xcnt 0x0
	v_add_nc_u64_e32 v[44:45], s[16:17], v[30:31]
	s_wait_dscnt 0x0
	global_store_b64 v[44:45], v[34:35], off offset:64
.LBB142_34:                             ;   in Loop: Header=BB142_22 Depth=2
	s_wait_xcnt 0x0
	s_or_b32 exec_lo, exec_lo, s9
	v_add_nc_u64_e32 v[22:23], 12, v[22:23]
	s_delay_alu instid0(VALU_DEP_1) | instskip(SKIP_1) | instid1(SALU_CYCLE_1)
	v_cmp_gt_i64_e32 vcc_lo, s[14:15], v[22:23]
	s_and_b32 s22, s2, vcc_lo
	s_and_saveexec_b32 s9, s22
	s_cbranch_execz .LBB142_21
; %bb.35:                               ;   in Loop: Header=BB142_22 Depth=2
	ds_load_b64 v[22:23], v7 offset:96
	s_and_not1_b32 vcc_lo, exec_lo, s33
	s_cbranch_vccnz .LBB142_40
; %bb.36:                               ;   in Loop: Header=BB142_22 Depth=2
	s_wait_dscnt 0x1
	v_add_nc_u64_e32 v[34:35], s[16:17], v[32:33]
	s_wait_dscnt 0x0
	global_store_b64 v[34:35], v[22:23], off
	s_cbranch_execnz .LBB142_21
	s_branch .LBB142_41
.LBB142_37:                             ;   in Loop: Header=BB142_22 Depth=2
	s_branch .LBB142_25
.LBB142_38:                             ;   in Loop: Header=BB142_22 Depth=2
	s_branch .LBB142_29
.LBB142_39:                             ;   in Loop: Header=BB142_22 Depth=2
	s_branch .LBB142_33
.LBB142_40:                             ;   in Loop: Header=BB142_22 Depth=2
.LBB142_41:                             ;   in Loop: Header=BB142_22 Depth=2
	s_wait_dscnt 0x1
	s_wait_xcnt 0x0
	v_add_nc_u64_e32 v[34:35], s[16:17], v[30:31]
	s_wait_dscnt 0x0
	global_store_b64 v[34:35], v[22:23], off offset:96
	s_branch .LBB142_21
.LBB142_42:                             ;   in Loop: Header=BB142_7 Depth=1
	s_mov_b64 s[40:41], 1
.LBB142_43:                             ;   in Loop: Header=BB142_7 Depth=1
	s_wait_storecnt_dscnt 0x0
	s_barrier_signal -1
	s_barrier_wait -1
	ds_store_b64 v37, v[18:19]
	s_wait_dscnt 0x0
	s_barrier_signal -1
	s_barrier_wait -1
	s_and_saveexec_b32 s9, s0
	s_cbranch_execz .LBB142_45
; %bb.44:                               ;   in Loop: Header=BB142_7 Depth=1
	ds_load_2addr_stride64_b64 v[22:25], v37 offset1:2
	s_wait_dscnt 0x0
	v_min_i64 v[18:19], v[24:25], v[22:23]
	ds_store_b64 v37, v[18:19]
.LBB142_45:                             ;   in Loop: Header=BB142_7 Depth=1
	s_or_b32 exec_lo, exec_lo, s9
	s_wait_dscnt 0x0
	s_barrier_signal -1
	s_barrier_wait -1
	s_and_saveexec_b32 s9, s1
	s_cbranch_execz .LBB142_47
; %bb.46:                               ;   in Loop: Header=BB142_7 Depth=1
	ds_load_2addr_stride64_b64 v[22:25], v37 offset1:1
	s_wait_dscnt 0x0
	v_min_i64 v[18:19], v[24:25], v[22:23]
	ds_store_b64 v37, v[18:19]
.LBB142_47:                             ;   in Loop: Header=BB142_7 Depth=1
	s_or_b32 exec_lo, exec_lo, s9
	s_wait_dscnt 0x0
	s_barrier_signal -1
	s_barrier_wait -1
	s_and_saveexec_b32 s9, s3
	s_cbranch_execz .LBB142_49
; %bb.48:                               ;   in Loop: Header=BB142_7 Depth=1
	ds_load_2addr_b64 v[22:25], v37 offset1:32
	s_wait_dscnt 0x0
	v_min_i64 v[18:19], v[24:25], v[22:23]
	ds_store_b64 v37, v[18:19]
.LBB142_49:                             ;   in Loop: Header=BB142_7 Depth=1
	s_or_b32 exec_lo, exec_lo, s9
	s_wait_dscnt 0x0
	s_barrier_signal -1
	s_barrier_wait -1
	s_and_saveexec_b32 s9, s4
	s_cbranch_execz .LBB142_51
; %bb.50:                               ;   in Loop: Header=BB142_7 Depth=1
	ds_load_2addr_b64 v[22:25], v37 offset1:16
	s_wait_dscnt 0x0
	v_min_i64 v[18:19], v[24:25], v[22:23]
	ds_store_b64 v37, v[18:19]
.LBB142_51:                             ;   in Loop: Header=BB142_7 Depth=1
	;; [unrolled: 12-line block ×5, first 2 shown]
	s_or_b32 exec_lo, exec_lo, s9
	s_wait_dscnt 0x0
	s_barrier_signal -1
	s_barrier_wait -1
	s_and_saveexec_b32 s9, s8
	s_cbranch_execz .LBB142_6
; %bb.58:                               ;   in Loop: Header=BB142_7 Depth=1
	ds_load_b128 v[22:25], v6
	s_wait_dscnt 0x0
	v_min_i64 v[18:19], v[24:25], v[22:23]
	ds_store_b64 v6, v[18:19]
	s_branch .LBB142_6
.LBB142_59:
	s_endpgm
	.section	.rodata,"a",@progbits
	.p2align	6, 0x0
	.amdhsa_kernel _ZN9rocsparseL38csr2bsr_block_per_row_multipass_kernelILj256ELj64EdllEEv20rocsparse_direction_T3_S2_S2_S2_S2_21rocsparse_index_base_PKT1_PKT2_PKS2_S3_PS4_PS7_PS2_
		.amdhsa_group_segment_fixed_size 32776
		.amdhsa_private_segment_fixed_size 0
		.amdhsa_kernarg_size 112
		.amdhsa_user_sgpr_count 2
		.amdhsa_user_sgpr_dispatch_ptr 0
		.amdhsa_user_sgpr_queue_ptr 0
		.amdhsa_user_sgpr_kernarg_segment_ptr 1
		.amdhsa_user_sgpr_dispatch_id 0
		.amdhsa_user_sgpr_kernarg_preload_length 0
		.amdhsa_user_sgpr_kernarg_preload_offset 0
		.amdhsa_user_sgpr_private_segment_size 0
		.amdhsa_wavefront_size32 1
		.amdhsa_uses_dynamic_stack 0
		.amdhsa_enable_private_segment 0
		.amdhsa_system_sgpr_workgroup_id_x 1
		.amdhsa_system_sgpr_workgroup_id_y 0
		.amdhsa_system_sgpr_workgroup_id_z 0
		.amdhsa_system_sgpr_workgroup_info 0
		.amdhsa_system_vgpr_workitem_id 0
		.amdhsa_next_free_vgpr 56
		.amdhsa_next_free_sgpr 54
		.amdhsa_named_barrier_count 0
		.amdhsa_reserve_vcc 1
		.amdhsa_float_round_mode_32 0
		.amdhsa_float_round_mode_16_64 0
		.amdhsa_float_denorm_mode_32 3
		.amdhsa_float_denorm_mode_16_64 3
		.amdhsa_fp16_overflow 0
		.amdhsa_memory_ordered 1
		.amdhsa_forward_progress 1
		.amdhsa_inst_pref_size 24
		.amdhsa_round_robin_scheduling 0
		.amdhsa_exception_fp_ieee_invalid_op 0
		.amdhsa_exception_fp_denorm_src 0
		.amdhsa_exception_fp_ieee_div_zero 0
		.amdhsa_exception_fp_ieee_overflow 0
		.amdhsa_exception_fp_ieee_underflow 0
		.amdhsa_exception_fp_ieee_inexact 0
		.amdhsa_exception_int_div_zero 0
	.end_amdhsa_kernel
	.section	.text._ZN9rocsparseL38csr2bsr_block_per_row_multipass_kernelILj256ELj64EdllEEv20rocsparse_direction_T3_S2_S2_S2_S2_21rocsparse_index_base_PKT1_PKT2_PKS2_S3_PS4_PS7_PS2_,"axG",@progbits,_ZN9rocsparseL38csr2bsr_block_per_row_multipass_kernelILj256ELj64EdllEEv20rocsparse_direction_T3_S2_S2_S2_S2_21rocsparse_index_base_PKT1_PKT2_PKS2_S3_PS4_PS7_PS2_,comdat
.Lfunc_end142:
	.size	_ZN9rocsparseL38csr2bsr_block_per_row_multipass_kernelILj256ELj64EdllEEv20rocsparse_direction_T3_S2_S2_S2_S2_21rocsparse_index_base_PKT1_PKT2_PKS2_S3_PS4_PS7_PS2_, .Lfunc_end142-_ZN9rocsparseL38csr2bsr_block_per_row_multipass_kernelILj256ELj64EdllEEv20rocsparse_direction_T3_S2_S2_S2_S2_21rocsparse_index_base_PKT1_PKT2_PKS2_S3_PS4_PS7_PS2_
                                        ; -- End function
	.set _ZN9rocsparseL38csr2bsr_block_per_row_multipass_kernelILj256ELj64EdllEEv20rocsparse_direction_T3_S2_S2_S2_S2_21rocsparse_index_base_PKT1_PKT2_PKS2_S3_PS4_PS7_PS2_.num_vgpr, 56
	.set _ZN9rocsparseL38csr2bsr_block_per_row_multipass_kernelILj256ELj64EdllEEv20rocsparse_direction_T3_S2_S2_S2_S2_21rocsparse_index_base_PKT1_PKT2_PKS2_S3_PS4_PS7_PS2_.num_agpr, 0
	.set _ZN9rocsparseL38csr2bsr_block_per_row_multipass_kernelILj256ELj64EdllEEv20rocsparse_direction_T3_S2_S2_S2_S2_21rocsparse_index_base_PKT1_PKT2_PKS2_S3_PS4_PS7_PS2_.numbered_sgpr, 54
	.set _ZN9rocsparseL38csr2bsr_block_per_row_multipass_kernelILj256ELj64EdllEEv20rocsparse_direction_T3_S2_S2_S2_S2_21rocsparse_index_base_PKT1_PKT2_PKS2_S3_PS4_PS7_PS2_.num_named_barrier, 0
	.set _ZN9rocsparseL38csr2bsr_block_per_row_multipass_kernelILj256ELj64EdllEEv20rocsparse_direction_T3_S2_S2_S2_S2_21rocsparse_index_base_PKT1_PKT2_PKS2_S3_PS4_PS7_PS2_.private_seg_size, 0
	.set _ZN9rocsparseL38csr2bsr_block_per_row_multipass_kernelILj256ELj64EdllEEv20rocsparse_direction_T3_S2_S2_S2_S2_21rocsparse_index_base_PKT1_PKT2_PKS2_S3_PS4_PS7_PS2_.uses_vcc, 1
	.set _ZN9rocsparseL38csr2bsr_block_per_row_multipass_kernelILj256ELj64EdllEEv20rocsparse_direction_T3_S2_S2_S2_S2_21rocsparse_index_base_PKT1_PKT2_PKS2_S3_PS4_PS7_PS2_.uses_flat_scratch, 0
	.set _ZN9rocsparseL38csr2bsr_block_per_row_multipass_kernelILj256ELj64EdllEEv20rocsparse_direction_T3_S2_S2_S2_S2_21rocsparse_index_base_PKT1_PKT2_PKS2_S3_PS4_PS7_PS2_.has_dyn_sized_stack, 0
	.set _ZN9rocsparseL38csr2bsr_block_per_row_multipass_kernelILj256ELj64EdllEEv20rocsparse_direction_T3_S2_S2_S2_S2_21rocsparse_index_base_PKT1_PKT2_PKS2_S3_PS4_PS7_PS2_.has_recursion, 0
	.set _ZN9rocsparseL38csr2bsr_block_per_row_multipass_kernelILj256ELj64EdllEEv20rocsparse_direction_T3_S2_S2_S2_S2_21rocsparse_index_base_PKT1_PKT2_PKS2_S3_PS4_PS7_PS2_.has_indirect_call, 0
	.section	.AMDGPU.csdata,"",@progbits
; Kernel info:
; codeLenInByte = 2980
; TotalNumSgprs: 56
; NumVgprs: 56
; ScratchSize: 0
; MemoryBound: 0
; FloatMode: 240
; IeeeMode: 1
; LDSByteSize: 32776 bytes/workgroup (compile time only)
; SGPRBlocks: 0
; VGPRBlocks: 3
; NumSGPRsForWavesPerEU: 56
; NumVGPRsForWavesPerEU: 56
; NamedBarCnt: 0
; Occupancy: 16
; WaveLimiterHint : 1
; COMPUTE_PGM_RSRC2:SCRATCH_EN: 0
; COMPUTE_PGM_RSRC2:USER_SGPR: 2
; COMPUTE_PGM_RSRC2:TRAP_HANDLER: 0
; COMPUTE_PGM_RSRC2:TGID_X_EN: 1
; COMPUTE_PGM_RSRC2:TGID_Y_EN: 0
; COMPUTE_PGM_RSRC2:TGID_Z_EN: 0
; COMPUTE_PGM_RSRC2:TIDIG_COMP_CNT: 0
	.section	.text._ZN9rocsparseL21csr2bsr_65_inf_kernelILj32EdllEEv20rocsparse_direction_T2_S2_S2_S2_S2_S2_21rocsparse_index_base_PKT0_PKT1_PKS2_S3_PS4_PS7_PS2_SD_SE_SC_,"axG",@progbits,_ZN9rocsparseL21csr2bsr_65_inf_kernelILj32EdllEEv20rocsparse_direction_T2_S2_S2_S2_S2_S2_21rocsparse_index_base_PKT0_PKT1_PKS2_S3_PS4_PS7_PS2_SD_SE_SC_,comdat
	.globl	_ZN9rocsparseL21csr2bsr_65_inf_kernelILj32EdllEEv20rocsparse_direction_T2_S2_S2_S2_S2_S2_21rocsparse_index_base_PKT0_PKT1_PKS2_S3_PS4_PS7_PS2_SD_SE_SC_ ; -- Begin function _ZN9rocsparseL21csr2bsr_65_inf_kernelILj32EdllEEv20rocsparse_direction_T2_S2_S2_S2_S2_S2_21rocsparse_index_base_PKT0_PKT1_PKS2_S3_PS4_PS7_PS2_SD_SE_SC_
	.p2align	8
	.type	_ZN9rocsparseL21csr2bsr_65_inf_kernelILj32EdllEEv20rocsparse_direction_T2_S2_S2_S2_S2_S2_21rocsparse_index_base_PKT0_PKT1_PKS2_S3_PS4_PS7_PS2_SD_SE_SC_,@function
_ZN9rocsparseL21csr2bsr_65_inf_kernelILj32EdllEEv20rocsparse_direction_T2_S2_S2_S2_S2_S2_21rocsparse_index_base_PKT0_PKT1_PKS2_S3_PS4_PS7_PS2_SD_SE_SC_: ; @_ZN9rocsparseL21csr2bsr_65_inf_kernelILj32EdllEEv20rocsparse_direction_T2_S2_S2_S2_S2_S2_21rocsparse_index_base_PKT0_PKT1_PKS2_S3_PS4_PS7_PS2_SD_SE_SC_
; %bb.0:
	s_clause 0x1
	s_load_b64 s[8:9], s[0:1], 0x18
	s_load_b128 s[4:7], s[0:1], 0x8
	s_bfe_u32 s10, ttmp6, 0x4000c
	s_clause 0x1
	s_load_b64 s[2:3], s[0:1], 0x78
	s_load_b32 s12, s[0:1], 0x58
	s_add_co_i32 s10, s10, 1
	s_and_b32 s11, ttmp6, 15
	s_mul_i32 s10, ttmp9, s10
	s_getreg_b32 s13, hwreg(HW_REG_IB_STS2, 6, 4)
	s_add_co_i32 s11, s11, s10
	s_cmp_eq_u32 s13, 0
	s_mov_b32 s21, 0
	s_cselect_b32 s20, ttmp9, s11
	s_mov_b64 s[22:23], 0
	s_wait_kmcnt 0x0
	v_cmp_le_i64_e64 s8, s[8:9], s[20:21]
	s_and_b32 vcc_lo, exec_lo, s8
	s_cbranch_vccnz .LBB143_2
; %bb.1:
	s_load_b64 s[8:9], s[0:1], 0x68
	s_lshl_b64 s[10:11], s[20:21], 3
	s_mov_b32 s13, s21
	s_wait_kmcnt 0x0
	s_add_nc_u64 s[8:9], s[8:9], s[10:11]
	s_load_b64 s[8:9], s[8:9], 0x0
	s_wait_kmcnt 0x0
	s_sub_nc_u64 s[22:23], s[8:9], s[12:13]
.LBB143_2:
	s_clause 0x1
	s_load_b128 s[8:11], s[0:1], 0x28
	s_load_b32 s14, s[0:1], 0x38
	v_mov_b32_e32 v1, 0
	s_wait_kmcnt 0x0
	s_delay_alu instid0(VALU_DEP_1)
	v_mul_u64_e32 v[2:3], s[10:11], v[0:1]
	s_mul_u64 s[16:17], s[20:21], s[10:11]
	s_lshl_b64 s[18:19], s[10:11], 8
	s_lshl_b64 s[16:17], s[16:17], 9
	v_cmp_lt_i64_e64 s13, s[10:11], 1
	s_add_nc_u64 s[2:3], s[2:3], s[16:17]
	v_cmp_gt_i64_e64 s33, s[10:11], 0
	s_add_nc_u64 s[16:17], s[2:3], s[18:19]
	s_and_b32 vcc_lo, exec_lo, s13
	v_lshlrev_b64_e32 v[8:9], 3, v[2:3]
	s_delay_alu instid0(VALU_DEP_1)
	v_add_nc_u64_e32 v[2:3], s[2:3], v[8:9]
	v_add_nc_u64_e32 v[4:5], s[16:17], v[8:9]
	s_cbranch_vccnz .LBB143_7
; %bb.3:
	s_load_b64 s[2:3], s[0:1], 0x48
	s_mul_u64 s[16:17], s[8:9], s[20:21]
	s_delay_alu instid0(VALU_DEP_1)
	v_mov_b64_e32 v[12:13], v[4:5]
	v_add_nc_u64_e32 v[6:7], s[16:17], v[0:1]
	v_mov_b64_e32 v[14:15], v[0:1]
	v_mov_b64_e32 v[16:17], v[2:3]
	s_mov_b32 s15, 0
	s_mov_b64 s[18:19], s[10:11]
	s_wait_kmcnt 0x0
	s_delay_alu instid0(VALU_DEP_3) | instskip(SKIP_1) | instid1(VALU_DEP_2)
	v_lshl_add_u64 v[10:11], v[6:7], 3, s[2:3]
	v_mov_b64_e32 v[6:7], 0
	v_add_nc_u64_e32 v[10:11], 8, v[10:11]
	s_branch .LBB143_5
.LBB143_4:                              ;   in Loop: Header=BB143_5 Depth=1
	s_wait_xcnt 0x0
	s_or_b32 exec_lo, exec_lo, s2
	v_add_nc_u64_e32 v[16:17], 8, v[16:17]
	v_add_nc_u64_e32 v[10:11], 0x100, v[10:11]
	;; [unrolled: 1-line block ×4, first 2 shown]
	s_add_nc_u64 s[18:19], s[18:19], -1
	s_delay_alu instid0(SALU_CYCLE_1)
	s_cmp_eq_u64 s[18:19], 0
	s_cbranch_scc1 .LBB143_7
.LBB143_5:                              ; =>This Inner Loop Header: Depth=1
	s_delay_alu instid0(VALU_DEP_2)
	v_add_nc_u64_e32 v[18:19], s[16:17], v[14:15]
	v_cmp_gt_i64_e64 s2, s[8:9], v[14:15]
	global_store_b64 v[16:17], v[6:7], off
	global_store_b64 v[12:13], v[6:7], off
	v_cmp_gt_i64_e32 vcc_lo, s[4:5], v[18:19]
	s_and_b32 s3, vcc_lo, s2
	s_wait_xcnt 0x0
	s_and_saveexec_b32 s2, s3
	s_cbranch_execz .LBB143_4
; %bb.6:                                ;   in Loop: Header=BB143_5 Depth=1
	global_load_b128 v[18:21], v[10:11], off offset:-8
	s_wait_loadcnt 0x0
	v_sub_nc_u64_e64 v[18:19], v[18:19], s[14:15]
	v_sub_nc_u64_e64 v[20:21], v[20:21], s[14:15]
	global_store_b64 v[16:17], v[18:19], off
	global_store_b64 v[12:13], v[20:21], off
	s_branch .LBB143_4
.LBB143_7:
	v_cmp_lt_i64_e64 s2, s[6:7], 1
	s_and_b32 vcc_lo, exec_lo, s2
	s_cbranch_vccnz .LBB143_52
; %bb.8:
	v_mbcnt_lo_u32_b32 v10, -1, 0
	s_clause 0x5
	s_load_b128 s[24:27], s[0:1], 0x80
	s_load_b64 s[28:29], s[0:1], 0x70
	s_load_b64 s[2:3], s[0:1], 0x60
	;; [unrolled: 1-line block ×4, first 2 shown]
	s_load_b32 s18, s[0:1], 0x0
	s_lshl_b64 s[30:31], s[10:11], 5
	v_mov_b64_e32 v[20:21], 0
	v_xor_b32_e32 v15, 1, v10
	v_xor_b32_e32 v13, 2, v10
	;; [unrolled: 1-line block ×5, first 2 shown]
	s_wait_xcnt 0x0
	s_mul_u64 s[0:1], s[30:31], s[20:21]
	v_mov_b64_e32 v[18:19], 0
	s_lshl_b64 s[0:1], s[0:1], 3
	v_mov_b64_e32 v[16:17], 0
	v_cmp_gt_i32_e32 vcc_lo, 32, v6
	v_mov_b32_e32 v45, 0x7c
	s_mov_b32 s19, 0
	s_mov_b32 s40, 0
	;; [unrolled: 1-line block ×3, first 2 shown]
	v_cndmask_b32_e32 v14, v10, v6, vcc_lo
	v_cmp_gt_i32_e32 vcc_lo, 32, v11
	s_wait_kmcnt 0x0
	s_add_nc_u64 s[20:21], s[24:25], s[0:1]
	s_add_nc_u64 s[0:1], s[26:27], s[0:1]
	v_add_nc_u64_e32 v[6:7], s[20:21], v[8:9]
	v_add_nc_u64_e32 v[8:9], s[0:1], v[8:9]
	v_cndmask_b32_e32 v11, v10, v11, vcc_lo
	v_cmp_gt_i32_e32 vcc_lo, 32, v12
	v_cmp_eq_u32_e64 s0, 31, v0
	s_lshl_b64 s[20:21], s[22:23], 3
	s_cmp_lg_u32 s18, 0
	v_dual_cndmask_b32 v12, v10, v12 :: v_dual_lshlrev_b32 v41, 2, v11
	v_cmp_gt_i32_e32 vcc_lo, 32, v13
	s_mov_b32 s13, s19
	s_add_nc_u64 s[20:21], s[28:29], s[20:21]
	s_cselect_b32 s38, -1, 0
	v_dual_cndmask_b32 v13, v10, v13 :: v_dual_lshlrev_b32 v42, 2, v12
	v_cmp_gt_i32_e32 vcc_lo, 32, v15
	v_lshlrev_b32_e32 v40, 2, v14
	s_add_nc_u64 s[22:23], s[22:23], -1
	s_lshl_b64 s[24:25], s[8:9], 3
	v_dual_cndmask_b32 v10, v10, v15 :: v_dual_lshlrev_b32 v43, 2, v13
	v_mov_b64_e32 v[14:15], 0
	s_mov_b64 s[26:27], 0xffffffff
	s_lshl_b64 s[28:29], s[8:9], 8
	s_ashr_i32 s30, s9, 31
	v_dual_lshlrev_b32 v44, 2, v10 :: v_dual_mov_b32 v10, 0
	v_lshlrev_b32_e32 v12, 3, v0
	s_sub_co_i32 s39, 0, s8
	s_delay_alu instid0(VALU_DEP_2) | instskip(NEXT) | instid1(VALU_DEP_1)
	v_mov_b32_e32 v13, v10
	v_add_nc_u64_e32 v[12:13], s[2:3], v[12:13]
	s_branch .LBB143_10
.LBB143_9:                              ;   in Loop: Header=BB143_10 Depth=1
	s_wait_dscnt 0x2
	v_add_nc_u64_e32 v[20:21], 1, v[20:21]
	s_delay_alu instid0(VALU_DEP_1) | instskip(SKIP_1) | instid1(SALU_CYCLE_1)
	v_cmp_le_i64_e32 vcc_lo, s[6:7], v[20:21]
	s_or_b32 s40, vcc_lo, s40
	s_and_not1_b32 exec_lo, exec_lo, s40
	s_cbranch_execz .LBB143_52
.LBB143_10:                             ; =>This Loop Header: Depth=1
                                        ;     Child Loop BB143_14 Depth 2
                                        ;       Child Loop BB143_17 Depth 3
                                        ;     Child Loop BB143_33 Depth 2
	v_mov_b64_e32 v[22:23], s[6:7]
	s_and_not1_b32 vcc_lo, exec_lo, s33
	s_cbranch_vccnz .LBB143_23
; %bb.11:                               ;   in Loop: Header=BB143_10 Depth=1
	v_mov_b64_e32 v[22:23], s[6:7]
	s_mov_b64 s[34:35], 0
	s_branch .LBB143_14
.LBB143_12:                             ;   in Loop: Header=BB143_14 Depth=2
	s_wait_xcnt 0x0
	s_or_b32 exec_lo, exec_lo, s18
.LBB143_13:                             ;   in Loop: Header=BB143_14 Depth=2
	s_delay_alu instid0(SALU_CYCLE_1) | instskip(SKIP_1) | instid1(SALU_CYCLE_1)
	s_or_b32 exec_lo, exec_lo, s1
	s_add_nc_u64 s[34:35], s[34:35], 1
	s_cmp_eq_u64 s[34:35], s[10:11]
	s_cbranch_scc1 .LBB143_23
.LBB143_14:                             ;   Parent Loop BB143_10 Depth=1
                                        ; =>  This Loop Header: Depth=2
                                        ;       Child Loop BB143_17 Depth 3
	s_lshl_b64 s[36:37], s[34:35], 3
	v_mov_b64_e32 v[30:31], s[6:7]
	v_add_nc_u64_e32 v[24:25], s[36:37], v[2:3]
	v_add_nc_u64_e32 v[26:27], s[36:37], v[4:5]
	;; [unrolled: 1-line block ×3, first 2 shown]
	s_mov_b32 s1, exec_lo
	s_clause 0x1
	global_load_b64 v[36:37], v[24:25], off
	global_load_b64 v[34:35], v[26:27], off
	s_wait_xcnt 0x0
	v_add_nc_u64_e32 v[26:27], s[36:37], v[8:9]
	global_store_b64 v[26:27], v[14:15], off
	global_store_b64 v[28:29], v[30:31], off
	s_wait_loadcnt 0x0
	s_wait_xcnt 0x0
	v_cmpx_lt_i64_e64 v[36:37], v[34:35]
	s_cbranch_execz .LBB143_13
; %bb.15:                               ;   in Loop: Header=BB143_14 Depth=2
	v_lshl_add_u64 v[38:39], v[36:37], 3, s[4:5]
	s_mov_b32 s18, 0
                                        ; implicit-def: $sgpr31
                                        ; implicit-def: $sgpr37
                                        ; implicit-def: $sgpr36
	s_branch .LBB143_17
.LBB143_16:                             ;   in Loop: Header=BB143_17 Depth=3
	s_or_b32 exec_lo, exec_lo, s41
	s_delay_alu instid0(SALU_CYCLE_1) | instskip(NEXT) | instid1(SALU_CYCLE_1)
	s_and_b32 s41, exec_lo, s37
	s_or_b32 s18, s41, s18
	s_and_not1_b32 s31, s31, exec_lo
	s_and_b32 s41, s36, exec_lo
	s_delay_alu instid0(SALU_CYCLE_1)
	s_or_b32 s31, s31, s41
	s_and_not1_b32 exec_lo, exec_lo, s18
	s_cbranch_execz .LBB143_19
.LBB143_17:                             ;   Parent Loop BB143_10 Depth=1
                                        ;     Parent Loop BB143_14 Depth=2
                                        ; =>    This Inner Loop Header: Depth=3
	global_load_b64 v[30:31], v[38:39], off
	s_or_b32 s36, s36, exec_lo
	s_or_b32 s37, s37, exec_lo
	s_mov_b32 s41, exec_lo
	s_wait_loadcnt 0x0
	v_sub_nc_u64_e64 v[32:33], v[30:31], s[14:15]
	v_mov_b64_e32 v[30:31], v[36:37]
                                        ; implicit-def: $vgpr36_vgpr37
	s_wait_xcnt 0x0
	s_delay_alu instid0(VALU_DEP_2)
	v_cmpx_lt_i64_e64 v[32:33], v[20:21]
	s_cbranch_execz .LBB143_16
; %bb.18:                               ;   in Loop: Header=BB143_17 Depth=3
	s_delay_alu instid0(VALU_DEP_2) | instskip(SKIP_3) | instid1(VALU_DEP_2)
	v_add_nc_u64_e32 v[36:37], 1, v[30:31]
	v_add_nc_u64_e32 v[38:39], 8, v[38:39]
	s_and_not1_b32 s37, s37, exec_lo
	s_and_not1_b32 s36, s36, exec_lo
	v_cmp_ge_i64_e32 vcc_lo, v[36:37], v[34:35]
	s_and_b32 s42, vcc_lo, exec_lo
	s_delay_alu instid0(SALU_CYCLE_1)
	s_or_b32 s37, s37, s42
	s_branch .LBB143_16
.LBB143_19:                             ;   in Loop: Header=BB143_14 Depth=2
	s_or_b32 exec_lo, exec_lo, s18
	v_lshl_add_u64 v[34:35], v[30:31], 3, s[16:17]
	s_xor_b32 s18, s31, -1
	s_delay_alu instid0(SALU_CYCLE_1) | instskip(NEXT) | instid1(SALU_CYCLE_1)
	s_and_saveexec_b32 s31, s18
	s_xor_b32 s18, exec_lo, s31
	s_cbranch_execz .LBB143_21
; %bb.20:                               ;   in Loop: Header=BB143_14 Depth=2
	global_load_b64 v[24:25], v[34:35], off
                                        ; implicit-def: $vgpr34_vgpr35
	s_wait_loadcnt 0x0
	global_store_b64 v[26:27], v[24:25], off
	global_store_b64 v[28:29], v[32:33], off
                                        ; implicit-def: $vgpr26_vgpr27
                                        ; implicit-def: $vgpr28_vgpr29
                                        ; implicit-def: $vgpr24_vgpr25
.LBB143_21:                             ;   in Loop: Header=BB143_14 Depth=2
	s_wait_xcnt 0x0
	s_and_not1_saveexec_b32 s18, s18
	s_cbranch_execz .LBB143_12
; %bb.22:                               ;   in Loop: Header=BB143_14 Depth=2
	global_load_b64 v[34:35], v[34:35], off
	v_min_i64 v[22:23], v[32:33], v[22:23]
	global_store_b64 v[28:29], v[32:33], off
	s_wait_loadcnt 0x0
	global_store_b64 v[26:27], v[34:35], off
	global_store_b64 v[24:25], v[30:31], off
	s_branch .LBB143_12
.LBB143_23:                             ;   in Loop: Header=BB143_10 Depth=1
	ds_bpermute_b32 v20, v40, v22
	ds_bpermute_b32 v21, v40, v23
	s_wait_dscnt 0x0
	v_min_i64 v[20:21], v[20:21], v[22:23]
	ds_bpermute_b32 v22, v41, v20
	ds_bpermute_b32 v23, v41, v21
	s_wait_dscnt 0x0
	v_min_i64 v[20:21], v[22:23], v[20:21]
	;; [unrolled: 4-line block ×5, first 2 shown]
	s_delay_alu instid0(VALU_DEP_1) | instskip(SKIP_1) | instid1(SALU_CYCLE_1)
	v_cmp_gt_i64_e32 vcc_lo, s[6:7], v[20:21]
	s_and_b32 s1, s0, vcc_lo
	s_and_saveexec_b32 s36, s1
	s_cbranch_execz .LBB143_29
; %bb.24:                               ;   in Loop: Header=BB143_10 Depth=1
	v_or_b32_e32 v11, s9, v21
                                        ; implicit-def: $vgpr22_vgpr23
	s_mov_b32 s1, exec_lo
	s_delay_alu instid0(VALU_DEP_1)
	v_cmpx_ne_u64_e32 0, v[10:11]
	s_xor_b32 s37, exec_lo, s1
	s_cbranch_execnz .LBB143_50
; %bb.25:                               ;   in Loop: Header=BB143_10 Depth=1
	s_and_not1_saveexec_b32 s1, s37
	s_cbranch_execnz .LBB143_51
.LBB143_26:                             ;   in Loop: Header=BB143_10 Depth=1
	s_or_b32 exec_lo, exec_lo, s1
	s_delay_alu instid0(SALU_CYCLE_1) | instskip(NEXT) | instid1(VALU_DEP_1)
	s_mov_b32 s1, exec_lo
	v_cmpx_ge_i64_e64 v[22:23], v[18:19]
	s_cbranch_execz .LBB143_28
.LBB143_27:                             ;   in Loop: Header=BB143_10 Depth=1
	v_add_nc_u64_e32 v[24:25], s[12:13], v[22:23]
	v_lshl_add_u64 v[26:27], v[16:17], 3, s[20:21]
	v_add_nc_u64_e32 v[16:17], 1, v[16:17]
	v_add_nc_u64_e32 v[18:19], 1, v[22:23]
	global_store_b64 v[26:27], v[24:25], off
.LBB143_28:                             ;   in Loop: Header=BB143_10 Depth=1
	s_wait_xcnt 0x0
	s_or_b32 exec_lo, exec_lo, s1
.LBB143_29:                             ;   in Loop: Header=BB143_10 Depth=1
	s_delay_alu instid0(SALU_CYCLE_1)
	s_or_b32 exec_lo, exec_lo, s36
	ds_bpermute_b32 v20, v45, v20
	ds_bpermute_b32 v21, v45, v21
	;; [unrolled: 1-line block ×4, first 2 shown]
	s_and_not1_b32 vcc_lo, exec_lo, s33
	s_cbranch_vccnz .LBB143_9
; %bb.30:                               ;   in Loop: Header=BB143_10 Depth=1
	s_wait_dscnt 0x0
	v_dual_mov_b32 v11, v17 :: v_dual_mov_b32 v24, v16
	v_mov_b32_e32 v25, v10
	v_mov_b64_e32 v[30:31], v[12:13]
	s_mov_b64 s[34:35], s[10:11]
	s_delay_alu instid0(VALU_DEP_3) | instskip(NEXT) | instid1(VALU_DEP_1)
	v_add_nc_u64_e32 v[22:23], s[22:23], v[10:11]
	v_add_nc_u64_e32 v[26:27], v[22:23], v[24:25]
	;; [unrolled: 1-line block ×3, first 2 shown]
	s_delay_alu instid0(VALU_DEP_2) | instskip(NEXT) | instid1(VALU_DEP_2)
	v_mad_nc_u64_u32 v[28:29], s8, v26, v[0:1]
	v_mul_u64_e32 v[24:25], s[8:9], v[24:25]
	s_delay_alu instid0(VALU_DEP_2) | instskip(NEXT) | instid1(VALU_DEP_3)
	v_mad_u32 v11, s9, v26, v29
	v_mad_nc_u64_u32 v[22:23], s24, v28, s[2:3]
	s_delay_alu instid0(VALU_DEP_2) | instskip(NEXT) | instid1(VALU_DEP_2)
	v_mad_u32 v11, s8, v27, v11
	v_mad_u32 v23, s25, v28, v23
	v_mov_b64_e32 v[26:27], v[6:7]
	v_mov_b64_e32 v[28:29], v[8:9]
	s_delay_alu instid0(VALU_DEP_3)
	v_mad_u32 v23, s24, v11, v23
	s_branch .LBB143_33
.LBB143_31:                             ;   in Loop: Header=BB143_33 Depth=2
	s_or_b32 exec_lo, exec_lo, s1
	global_load_b64 v[32:33], v[28:29], off
	v_lshl_add_u64 v[34:35], v[34:35], 3, v[22:23]
	s_wait_loadcnt 0x0
	global_store_b64 v[34:35], v[32:33], off
.LBB143_32:                             ;   in Loop: Header=BB143_33 Depth=2
	s_wait_xcnt 0x0
	s_or_b32 exec_lo, exec_lo, s41
	v_add_nc_u64_e32 v[22:23], s[28:29], v[22:23]
	v_add_nc_u64_e32 v[30:31], 0x100, v[30:31]
	;; [unrolled: 1-line block ×4, first 2 shown]
	s_add_nc_u64 s[34:35], s[34:35], -1
	s_delay_alu instid0(SALU_CYCLE_1)
	s_cmp_eq_u64 s[34:35], 0
	s_cbranch_scc1 .LBB143_9
.LBB143_33:                             ;   Parent Loop BB143_10 Depth=1
                                        ; =>  This Inner Loop Header: Depth=2
	global_load_b64 v[32:33], v[26:27], off
	s_mov_b32 s41, exec_lo
	s_wait_loadcnt 0x0
	v_cmpx_gt_i64_e64 s[6:7], v[32:33]
	s_cbranch_execz .LBB143_32
; %bb.34:                               ;   in Loop: Header=BB143_33 Depth=2
	v_or_b32_e32 v38, s9, v33
                                        ; implicit-def: $vgpr34_vgpr35
	s_mov_b32 s1, exec_lo
	s_delay_alu instid0(VALU_DEP_1) | instskip(NEXT) | instid1(VALU_DEP_1)
	v_mov_b32_e32 v11, v38
	v_cmpx_ne_u64_e32 0, v[10:11]
	s_xor_b32 s42, exec_lo, s1
	s_cbranch_execz .LBB143_36
; %bb.35:                               ;   in Loop: Header=BB143_33 Depth=2
	s_mov_b32 s31, s30
	v_dual_mov_b32 v47, v10 :: v_dual_ashrrev_i32 v34, 31, v33
	s_add_nc_u64 s[36:37], s[8:9], s[30:31]
	v_mov_b32_e32 v55, v10
	s_xor_b64 s[36:37], s[36:37], s[30:31]
	s_delay_alu instid0(VALU_DEP_2) | instskip(SKIP_3) | instid1(VALU_DEP_1)
	v_mov_b32_e32 v35, v34
	s_cvt_f32_u32 s1, s36
	s_cvt_f32_u32 s18, s37
	s_sub_nc_u64 s[46:47], 0, s[36:37]
	v_add_nc_u64_e32 v[36:37], v[32:33], v[34:35]
	s_delay_alu instid0(SALU_CYCLE_1) | instskip(SKIP_1) | instid1(SALU_CYCLE_2)
	s_fmamk_f32 s1, s18, 0x4f800000, s1
	v_mov_b32_e32 v51, v10
	v_s_rcp_f32 s1, s1
	s_delay_alu instid0(VALU_DEP_2) | instskip(NEXT) | instid1(VALU_DEP_3)
	v_xor_b32_e32 v46, v36, v34
	v_xor_b32_e32 v50, v37, v34
	;; [unrolled: 1-line block ×3, first 2 shown]
	s_delay_alu instid0(TRANS32_DEP_1) | instskip(NEXT) | instid1(SALU_CYCLE_3)
	s_mul_f32 s1, s1, 0x5f7ffffc
	s_mul_f32 s18, s1, 0x2f800000
	s_delay_alu instid0(SALU_CYCLE_3) | instskip(NEXT) | instid1(SALU_CYCLE_3)
	s_trunc_f32 s18, s18
	s_fmamk_f32 s1, s18, 0xcf800000, s1
	s_cvt_u32_f32 s45, s18
	s_delay_alu instid0(SALU_CYCLE_2) | instskip(NEXT) | instid1(SALU_CYCLE_3)
	s_cvt_u32_f32 s44, s1
	s_mul_u64 s[48:49], s[46:47], s[44:45]
	s_delay_alu instid0(SALU_CYCLE_1)
	s_mul_hi_u32 s51, s44, s49
	s_mul_i32 s50, s44, s49
	s_mul_hi_u32 s18, s44, s48
	s_mul_i32 s31, s45, s48
	s_add_nc_u64 s[50:51], s[18:19], s[50:51]
	s_mul_hi_u32 s1, s45, s48
	s_mul_hi_u32 s43, s45, s49
	s_add_co_u32 s18, s50, s31
	s_add_co_ci_u32 s18, s51, s1
	s_mul_i32 s48, s45, s49
	s_add_co_ci_u32 s49, s43, 0
	s_delay_alu instid0(SALU_CYCLE_1) | instskip(NEXT) | instid1(SALU_CYCLE_1)
	s_add_nc_u64 s[48:49], s[18:19], s[48:49]
	s_add_co_u32 s44, s44, s48
	s_cselect_b32 s1, -1, 0
	s_delay_alu instid0(SALU_CYCLE_1) | instskip(SKIP_1) | instid1(SALU_CYCLE_1)
	s_cmp_lg_u32 s1, 0
	s_add_co_ci_u32 s45, s45, s49
	s_mul_u64 s[46:47], s[46:47], s[44:45]
	s_delay_alu instid0(SALU_CYCLE_1)
	s_mul_hi_u32 s49, s44, s47
	s_mul_i32 s48, s44, s47
	s_mul_hi_u32 s18, s44, s46
	s_mul_i32 s31, s45, s46
	s_add_nc_u64 s[48:49], s[18:19], s[48:49]
	s_mul_hi_u32 s1, s45, s46
	s_mul_hi_u32 s43, s45, s47
	s_add_co_u32 s18, s48, s31
	s_add_co_ci_u32 s18, s49, s1
	s_mul_i32 s46, s45, s47
	s_add_co_ci_u32 s47, s43, 0
	s_delay_alu instid0(SALU_CYCLE_1) | instskip(NEXT) | instid1(SALU_CYCLE_1)
	s_add_nc_u64 s[46:47], s[18:19], s[46:47]
	s_add_co_u32 s44, s44, s46
	s_cselect_b32 s1, -1, 0
	v_mul_hi_u32 v54, v46, s44
	s_cmp_lg_u32 s1, 0
	s_add_co_ci_u32 s18, s45, s47
	s_and_b64 s[46:47], s[44:45], s[26:27]
	v_mul_u64_e32 v[48:49], s[18:19], v[46:47]
	v_mul_u64_e32 v[36:37], s[46:47], v[50:51]
	;; [unrolled: 1-line block ×3, first 2 shown]
	s_delay_alu instid0(VALU_DEP_3) | instskip(NEXT) | instid1(VALU_DEP_1)
	v_add_nc_u64_e32 v[48:49], v[54:55], v[48:49]
	v_add_co_u32 v11, vcc_lo, v48, v36
	s_delay_alu instid0(VALU_DEP_2) | instskip(NEXT) | instid1(VALU_DEP_4)
	v_add_co_ci_u32_e32 v54, vcc_lo, v49, v37, vcc_lo
	v_add_co_ci_u32_e32 v53, vcc_lo, 0, v53, vcc_lo
	s_delay_alu instid0(VALU_DEP_1) | instskip(NEXT) | instid1(VALU_DEP_1)
	v_add_nc_u64_e32 v[36:37], v[54:55], v[52:53]
	v_mul_u64_e32 v[48:49], s[36:37], v[36:37]
	s_delay_alu instid0(VALU_DEP_1) | instskip(NEXT) | instid1(VALU_DEP_2)
	v_sub_nc_u32_e32 v11, v50, v49
	v_sub_co_u32 v35, vcc_lo, v46, v48
	s_delay_alu instid0(VALU_DEP_1) | instskip(NEXT) | instid1(VALU_DEP_3)
	v_sub_co_ci_u32_e64 v50, null, v50, v49, vcc_lo
	v_subrev_co_ci_u32_e64 v11, null, s37, v11, vcc_lo
	s_delay_alu instid0(VALU_DEP_3) | instskip(SKIP_1) | instid1(VALU_DEP_3)
	v_sub_co_u32 v39, s1, v35, s36
	v_add_nc_u64_e32 v[48:49], 1, v[36:37]
	v_subrev_co_ci_u32_e64 v11, null, 0, v11, s1
	s_delay_alu instid0(VALU_DEP_3) | instskip(SKIP_1) | instid1(VALU_DEP_3)
	v_cmp_le_u32_e32 vcc_lo, s36, v39
	v_cndmask_b32_e64 v39, 0, -1, vcc_lo
	v_cmp_le_u32_e32 vcc_lo, s37, v11
	v_cndmask_b32_e64 v46, 0, -1, vcc_lo
	;; [unrolled: 2-line block ×4, first 2 shown]
	v_cmp_eq_u32_e32 vcc_lo, s37, v11
	v_cndmask_b32_e32 v11, v46, v39, vcc_lo
	v_cmp_eq_u32_e32 vcc_lo, s37, v50
	v_add_nc_u64_e32 v[46:47], 2, v[36:37]
	v_cndmask_b32_e32 v35, v51, v35, vcc_lo
	s_delay_alu instid0(VALU_DEP_4) | instskip(NEXT) | instid1(VALU_DEP_2)
	v_cmp_ne_u32_e32 vcc_lo, 0, v11
	v_cmp_ne_u32_e64 s1, 0, v35
	s_delay_alu instid0(VALU_DEP_4) | instskip(NEXT) | instid1(VALU_DEP_1)
	v_dual_cndmask_b32 v11, v49, v47, vcc_lo :: v_dual_cndmask_b32 v35, v48, v46, vcc_lo
	v_dual_cndmask_b32 v36, v36, v35, s1 :: v_dual_mov_b32 v35, v34
	s_delay_alu instid0(VALU_DEP_1) | instskip(NEXT) | instid1(VALU_DEP_1)
	v_dual_cndmask_b32 v11, v37, v11, s1 :: v_dual_bitop2_b32 v36, v36, v34 bitop3:0x14
	v_xor_b32_e32 v37, v11, v34
	s_delay_alu instid0(VALU_DEP_1)
	v_sub_nc_u64_e32 v[34:35], v[36:37], v[34:35]
.LBB143_36:                             ;   in Loop: Header=BB143_33 Depth=2
	s_and_not1_saveexec_b32 s1, s42
	s_cbranch_execz .LBB143_38
; %bb.37:                               ;   in Loop: Header=BB143_33 Depth=2
	v_cvt_f32_u32_e32 v11, s8
	s_delay_alu instid0(VALU_DEP_1) | instskip(SKIP_1) | instid1(TRANS32_DEP_1)
	v_rcp_iflag_f32_e32 v11, v11
	v_nop
	v_mul_f32_e32 v11, 0x4f7ffffe, v11
	s_delay_alu instid0(VALU_DEP_1) | instskip(NEXT) | instid1(VALU_DEP_1)
	v_cvt_u32_f32_e32 v11, v11
	v_mul_lo_u32 v34, s39, v11
	s_delay_alu instid0(VALU_DEP_1) | instskip(NEXT) | instid1(VALU_DEP_1)
	v_mul_hi_u32 v34, v11, v34
	v_add_nc_u32_e32 v11, v11, v34
	s_delay_alu instid0(VALU_DEP_1) | instskip(NEXT) | instid1(VALU_DEP_1)
	v_mul_hi_u32 v11, v32, v11
	v_mul_lo_u32 v34, v11, s8
	s_delay_alu instid0(VALU_DEP_1) | instskip(NEXT) | instid1(VALU_DEP_1)
	v_dual_add_nc_u32 v35, 1, v11 :: v_dual_sub_nc_u32 v34, v32, v34
	v_subrev_nc_u32_e32 v36, s8, v34
	v_cmp_le_u32_e32 vcc_lo, s8, v34
	s_delay_alu instid0(VALU_DEP_2) | instskip(NEXT) | instid1(VALU_DEP_1)
	v_dual_cndmask_b32 v34, v34, v36 :: v_dual_cndmask_b32 v11, v11, v35
	v_cmp_le_u32_e32 vcc_lo, s8, v34
	s_delay_alu instid0(VALU_DEP_2) | instskip(NEXT) | instid1(VALU_DEP_1)
	v_add_nc_u32_e32 v35, 1, v11
	v_dual_cndmask_b32 v34, v11, v35 :: v_dual_mov_b32 v35, v10
.LBB143_38:                             ;   in Loop: Header=BB143_33 Depth=2
	s_or_b32 exec_lo, exec_lo, s1
	v_or_b32_e32 v11, s9, v21
                                        ; implicit-def: $vgpr36_vgpr37
	s_mov_b32 s1, exec_lo
	s_delay_alu instid0(VALU_DEP_1)
	v_cmpx_ne_u64_e32 0, v[10:11]
	s_xor_b32 s42, exec_lo, s1
	s_cbranch_execnz .LBB143_41
; %bb.39:                               ;   in Loop: Header=BB143_33 Depth=2
	s_and_not1_saveexec_b32 s1, s42
	s_cbranch_execnz .LBB143_42
.LBB143_40:                             ;   in Loop: Header=BB143_33 Depth=2
	s_or_b32 exec_lo, exec_lo, s1
	s_delay_alu instid0(VALU_DEP_1)
	v_cmp_eq_u64_e32 vcc_lo, v[34:35], v[36:37]
	s_and_b32 exec_lo, exec_lo, vcc_lo
	s_cbranch_execz .LBB143_32
	s_branch .LBB143_43
.LBB143_41:                             ;   in Loop: Header=BB143_33 Depth=2
	s_mov_b32 s31, s30
	v_dual_mov_b32 v49, v10 :: v_dual_ashrrev_i32 v36, 31, v21
	s_add_nc_u64 s[36:37], s[8:9], s[30:31]
	s_delay_alu instid0(SALU_CYCLE_1) | instskip(NEXT) | instid1(VALU_DEP_1)
	s_xor_b64 s[36:37], s[36:37], s[30:31]
	v_mov_b32_e32 v37, v36
	s_cvt_f32_u32 s1, s36
	s_cvt_f32_u32 s18, s37
	s_sub_nc_u64 s[46:47], 0, s[36:37]
	s_delay_alu instid0(VALU_DEP_1) | instskip(NEXT) | instid1(SALU_CYCLE_1)
	v_add_nc_u64_e32 v[46:47], v[20:21], v[36:37]
	s_fmamk_f32 s1, s18, 0x4f800000, s1
	v_mov_b32_e32 v53, v10
	s_delay_alu instid0(SALU_CYCLE_2) | instskip(NEXT) | instid1(VALU_DEP_2)
	v_s_rcp_f32 s1, s1
	v_xor_b32_e32 v48, v46, v36
	s_delay_alu instid0(VALU_DEP_3) | instskip(NEXT) | instid1(TRANS32_DEP_1)
	v_dual_mov_b32 v57, v10 :: v_dual_bitop2_b32 v52, v47, v36 bitop3:0x14
	s_mul_f32 s1, s1, 0x5f7ffffc
	s_delay_alu instid0(SALU_CYCLE_3) | instskip(NEXT) | instid1(SALU_CYCLE_3)
	s_mul_f32 s18, s1, 0x2f800000
	s_trunc_f32 s18, s18
	s_delay_alu instid0(SALU_CYCLE_3) | instskip(SKIP_1) | instid1(SALU_CYCLE_2)
	s_fmamk_f32 s1, s18, 0xcf800000, s1
	s_cvt_u32_f32 s45, s18
	s_cvt_u32_f32 s44, s1
	s_delay_alu instid0(SALU_CYCLE_3) | instskip(NEXT) | instid1(SALU_CYCLE_1)
	s_mul_u64 s[48:49], s[46:47], s[44:45]
	s_mul_hi_u32 s51, s44, s49
	s_mul_i32 s50, s44, s49
	s_mul_hi_u32 s18, s44, s48
	s_mul_i32 s31, s45, s48
	s_add_nc_u64 s[50:51], s[18:19], s[50:51]
	s_mul_hi_u32 s1, s45, s48
	s_mul_hi_u32 s43, s45, s49
	s_add_co_u32 s18, s50, s31
	s_add_co_ci_u32 s18, s51, s1
	s_mul_i32 s48, s45, s49
	s_add_co_ci_u32 s49, s43, 0
	s_delay_alu instid0(SALU_CYCLE_1) | instskip(NEXT) | instid1(SALU_CYCLE_1)
	s_add_nc_u64 s[48:49], s[18:19], s[48:49]
	s_add_co_u32 s44, s44, s48
	s_cselect_b32 s1, -1, 0
	s_delay_alu instid0(SALU_CYCLE_1) | instskip(SKIP_1) | instid1(SALU_CYCLE_1)
	s_cmp_lg_u32 s1, 0
	s_add_co_ci_u32 s45, s45, s49
	s_mul_u64 s[46:47], s[46:47], s[44:45]
	s_delay_alu instid0(SALU_CYCLE_1)
	s_mul_hi_u32 s49, s44, s47
	s_mul_i32 s48, s44, s47
	s_mul_hi_u32 s18, s44, s46
	s_mul_i32 s31, s45, s46
	s_add_nc_u64 s[48:49], s[18:19], s[48:49]
	s_mul_hi_u32 s1, s45, s46
	s_mul_hi_u32 s43, s45, s47
	s_add_co_u32 s18, s48, s31
	s_add_co_ci_u32 s18, s49, s1
	s_mul_i32 s46, s45, s47
	s_add_co_ci_u32 s47, s43, 0
	s_delay_alu instid0(SALU_CYCLE_1) | instskip(NEXT) | instid1(SALU_CYCLE_1)
	s_add_nc_u64 s[46:47], s[18:19], s[46:47]
	s_add_co_u32 s44, s44, s46
	s_cselect_b32 s1, -1, 0
	v_mul_hi_u32 v56, v48, s44
	s_cmp_lg_u32 s1, 0
	s_add_co_ci_u32 s18, s45, s47
	s_and_b64 s[46:47], s[44:45], s[26:27]
	v_mul_u64_e32 v[50:51], s[18:19], v[48:49]
	v_mul_u64_e32 v[46:47], s[46:47], v[52:53]
	;; [unrolled: 1-line block ×3, first 2 shown]
	s_delay_alu instid0(VALU_DEP_3) | instskip(NEXT) | instid1(VALU_DEP_1)
	v_add_nc_u64_e32 v[50:51], v[56:57], v[50:51]
	v_add_co_u32 v11, vcc_lo, v50, v46
	s_delay_alu instid0(VALU_DEP_2) | instskip(NEXT) | instid1(VALU_DEP_4)
	v_add_co_ci_u32_e32 v56, vcc_lo, v51, v47, vcc_lo
	v_add_co_ci_u32_e32 v55, vcc_lo, 0, v55, vcc_lo
	s_delay_alu instid0(VALU_DEP_1) | instskip(NEXT) | instid1(VALU_DEP_1)
	v_add_nc_u64_e32 v[46:47], v[56:57], v[54:55]
	v_mul_u64_e32 v[50:51], s[36:37], v[46:47]
	s_delay_alu instid0(VALU_DEP_1) | instskip(NEXT) | instid1(VALU_DEP_2)
	v_sub_nc_u32_e32 v11, v52, v51
	v_sub_co_u32 v37, vcc_lo, v48, v50
	s_delay_alu instid0(VALU_DEP_1) | instskip(NEXT) | instid1(VALU_DEP_3)
	v_sub_co_ci_u32_e64 v52, null, v52, v51, vcc_lo
	v_subrev_co_ci_u32_e64 v11, null, s37, v11, vcc_lo
	s_delay_alu instid0(VALU_DEP_3) | instskip(SKIP_1) | instid1(VALU_DEP_3)
	v_sub_co_u32 v39, s1, v37, s36
	v_add_nc_u64_e32 v[50:51], 1, v[46:47]
	v_subrev_co_ci_u32_e64 v11, null, 0, v11, s1
	s_delay_alu instid0(VALU_DEP_3) | instskip(SKIP_1) | instid1(VALU_DEP_3)
	v_cmp_le_u32_e32 vcc_lo, s36, v39
	v_cndmask_b32_e64 v39, 0, -1, vcc_lo
	v_cmp_le_u32_e32 vcc_lo, s37, v11
	v_cndmask_b32_e64 v48, 0, -1, vcc_lo
	;; [unrolled: 2-line block ×4, first 2 shown]
	v_cmp_eq_u32_e32 vcc_lo, s37, v11
	v_cndmask_b32_e32 v11, v48, v39, vcc_lo
	v_cmp_eq_u32_e32 vcc_lo, s37, v52
	v_add_nc_u64_e32 v[48:49], 2, v[46:47]
	v_cndmask_b32_e32 v37, v53, v37, vcc_lo
	s_delay_alu instid0(VALU_DEP_4) | instskip(NEXT) | instid1(VALU_DEP_2)
	v_cmp_ne_u32_e32 vcc_lo, 0, v11
	v_cmp_ne_u32_e64 s1, 0, v37
	s_delay_alu instid0(VALU_DEP_4) | instskip(NEXT) | instid1(VALU_DEP_1)
	v_dual_cndmask_b32 v11, v51, v49, vcc_lo :: v_dual_cndmask_b32 v37, v50, v48, vcc_lo
	v_dual_cndmask_b32 v11, v47, v11, s1 :: v_dual_bitop2_b32 v36, s30, v36 bitop3:0x14
	s_delay_alu instid0(VALU_DEP_1) | instskip(NEXT) | instid1(VALU_DEP_2)
	v_dual_cndmask_b32 v39, v46, v37, s1 :: v_dual_mov_b32 v37, v36
	v_xor_b32_e32 v47, v11, v36
	s_delay_alu instid0(VALU_DEP_2) | instskip(NEXT) | instid1(VALU_DEP_1)
	v_xor_b32_e32 v46, v39, v36
	v_sub_nc_u64_e32 v[36:37], v[46:47], v[36:37]
	s_and_not1_saveexec_b32 s1, s42
	s_cbranch_execz .LBB143_40
.LBB143_42:                             ;   in Loop: Header=BB143_33 Depth=2
	v_cvt_f32_u32_e32 v11, s8
	s_delay_alu instid0(VALU_DEP_1) | instskip(SKIP_1) | instid1(TRANS32_DEP_1)
	v_rcp_iflag_f32_e32 v11, v11
	v_nop
	v_mul_f32_e32 v11, 0x4f7ffffe, v11
	s_delay_alu instid0(VALU_DEP_1) | instskip(NEXT) | instid1(VALU_DEP_1)
	v_cvt_u32_f32_e32 v11, v11
	v_mul_lo_u32 v36, s39, v11
	s_delay_alu instid0(VALU_DEP_1) | instskip(NEXT) | instid1(VALU_DEP_1)
	v_mul_hi_u32 v36, v11, v36
	v_add_nc_u32_e32 v11, v11, v36
	s_delay_alu instid0(VALU_DEP_1) | instskip(NEXT) | instid1(VALU_DEP_1)
	v_mul_hi_u32 v11, v20, v11
	v_mul_lo_u32 v36, v11, s8
	s_delay_alu instid0(VALU_DEP_1) | instskip(NEXT) | instid1(VALU_DEP_1)
	v_dual_add_nc_u32 v37, 1, v11 :: v_dual_sub_nc_u32 v36, v20, v36
	v_subrev_nc_u32_e32 v39, s8, v36
	v_cmp_le_u32_e32 vcc_lo, s8, v36
	s_delay_alu instid0(VALU_DEP_2) | instskip(NEXT) | instid1(VALU_DEP_1)
	v_dual_cndmask_b32 v36, v36, v39 :: v_dual_cndmask_b32 v11, v11, v37
	v_cmp_le_u32_e32 vcc_lo, s8, v36
	s_delay_alu instid0(VALU_DEP_2) | instskip(NEXT) | instid1(VALU_DEP_1)
	v_add_nc_u32_e32 v37, 1, v11
	v_dual_cndmask_b32 v36, v11, v37 :: v_dual_mov_b32 v37, v10
	s_or_b32 exec_lo, exec_lo, s1
	s_delay_alu instid0(VALU_DEP_1)
	v_cmp_eq_u64_e32 vcc_lo, v[34:35], v[36:37]
	s_and_b32 exec_lo, exec_lo, vcc_lo
	s_cbranch_execz .LBB143_32
.LBB143_43:                             ;   in Loop: Header=BB143_33 Depth=2
	s_and_b32 vcc_lo, exec_lo, s38
	s_cbranch_vccz .LBB143_45
; %bb.44:                               ;   in Loop: Header=BB143_33 Depth=2
	global_load_b64 v[36:37], v[28:29], off
	v_mul_u64_e32 v[34:35], s[8:9], v[34:35]
	s_delay_alu instid0(VALU_DEP_1) | instskip(NEXT) | instid1(VALU_DEP_1)
	v_sub_nc_u64_e32 v[34:35], v[32:33], v[34:35]
	v_add_nc_u64_e32 v[34:35], v[34:35], v[24:25]
	s_delay_alu instid0(VALU_DEP_1) | instskip(NEXT) | instid1(VALU_DEP_1)
	v_mad_nc_u64_u32 v[46:47], s24, v34, v[30:31]
	v_mad_u32 v11, s25, v34, v47
	s_delay_alu instid0(VALU_DEP_1)
	v_mad_u32 v47, s24, v35, v11
	s_wait_loadcnt 0x0
	global_store_b64 v[46:47], v[36:37], off
	s_cbranch_execnz .LBB143_32
	s_branch .LBB143_46
.LBB143_45:                             ;   in Loop: Header=BB143_33 Depth=2
.LBB143_46:                             ;   in Loop: Header=BB143_33 Depth=2
	v_mov_b32_e32 v11, v38
                                        ; implicit-def: $vgpr34_vgpr35
	s_mov_b32 s1, exec_lo
	s_wait_xcnt 0x0
	s_delay_alu instid0(VALU_DEP_1)
	v_cmpx_ne_u64_e32 0, v[10:11]
	s_xor_b32 s42, exec_lo, s1
	s_cbranch_execz .LBB143_48
; %bb.47:                               ;   in Loop: Header=BB143_33 Depth=2
	s_mov_b32 s31, s30
	v_dual_mov_b32 v37, v10 :: v_dual_ashrrev_i32 v34, 31, v33
	s_add_nc_u64 s[36:37], s[8:9], s[30:31]
	v_mov_b32_e32 v51, v10
	s_xor_b64 s[36:37], s[36:37], s[30:31]
	s_delay_alu instid0(VALU_DEP_2) | instskip(SKIP_3) | instid1(VALU_DEP_1)
	v_mov_b32_e32 v35, v34
	s_cvt_f32_u32 s1, s36
	s_cvt_f32_u32 s18, s37
	s_sub_nc_u64 s[46:47], 0, s[36:37]
	v_add_nc_u64_e32 v[32:33], v[32:33], v[34:35]
	s_delay_alu instid0(SALU_CYCLE_1) | instskip(SKIP_1) | instid1(SALU_CYCLE_2)
	s_fmamk_f32 s1, s18, 0x4f800000, s1
	v_mov_b32_e32 v47, v10
	v_s_rcp_f32 s1, s1
	s_delay_alu instid0(VALU_DEP_2) | instskip(NEXT) | instid1(VALU_DEP_3)
	v_xor_b32_e32 v36, v32, v34
	v_xor_b32_e32 v46, v33, v34
	s_delay_alu instid0(TRANS32_DEP_1) | instskip(NEXT) | instid1(SALU_CYCLE_3)
	s_mul_f32 s1, s1, 0x5f7ffffc
	s_mul_f32 s18, s1, 0x2f800000
	s_delay_alu instid0(SALU_CYCLE_3) | instskip(NEXT) | instid1(SALU_CYCLE_3)
	s_trunc_f32 s18, s18
	s_fmamk_f32 s1, s18, 0xcf800000, s1
	s_cvt_u32_f32 s45, s18
	s_delay_alu instid0(SALU_CYCLE_2) | instskip(NEXT) | instid1(SALU_CYCLE_3)
	s_cvt_u32_f32 s44, s1
	s_mul_u64 s[48:49], s[46:47], s[44:45]
	s_delay_alu instid0(SALU_CYCLE_1)
	s_mul_hi_u32 s51, s44, s49
	s_mul_i32 s50, s44, s49
	s_mul_hi_u32 s18, s44, s48
	s_mul_i32 s31, s45, s48
	s_add_nc_u64 s[50:51], s[18:19], s[50:51]
	s_mul_hi_u32 s1, s45, s48
	s_mul_hi_u32 s43, s45, s49
	s_add_co_u32 s18, s50, s31
	s_add_co_ci_u32 s18, s51, s1
	s_mul_i32 s48, s45, s49
	s_add_co_ci_u32 s49, s43, 0
	s_delay_alu instid0(SALU_CYCLE_1) | instskip(NEXT) | instid1(SALU_CYCLE_1)
	s_add_nc_u64 s[48:49], s[18:19], s[48:49]
	s_add_co_u32 s44, s44, s48
	s_cselect_b32 s1, -1, 0
	s_delay_alu instid0(SALU_CYCLE_1) | instskip(SKIP_1) | instid1(SALU_CYCLE_1)
	s_cmp_lg_u32 s1, 0
	s_add_co_ci_u32 s45, s45, s49
	s_mul_u64 s[46:47], s[46:47], s[44:45]
	s_delay_alu instid0(SALU_CYCLE_1)
	s_mul_hi_u32 s49, s44, s47
	s_mul_i32 s48, s44, s47
	s_mul_hi_u32 s18, s44, s46
	s_mul_i32 s31, s45, s46
	s_add_nc_u64 s[48:49], s[18:19], s[48:49]
	s_mul_hi_u32 s1, s45, s46
	s_mul_hi_u32 s43, s45, s47
	s_add_co_u32 s18, s48, s31
	s_add_co_ci_u32 s18, s49, s1
	s_mul_i32 s46, s45, s47
	s_add_co_ci_u32 s47, s43, 0
	s_delay_alu instid0(SALU_CYCLE_1) | instskip(NEXT) | instid1(SALU_CYCLE_1)
	s_add_nc_u64 s[46:47], s[18:19], s[46:47]
	s_add_co_u32 s44, s44, s46
	s_cselect_b32 s1, -1, 0
	v_mul_hi_u32 v50, v36, s44
	s_cmp_lg_u32 s1, 0
	s_add_co_ci_u32 s18, s45, s47
	s_and_b64 s[46:47], s[44:45], s[26:27]
	v_mul_u64_e32 v[38:39], s[18:19], v[36:37]
	v_mul_u64_e32 v[32:33], s[46:47], v[46:47]
	;; [unrolled: 1-line block ×3, first 2 shown]
	s_delay_alu instid0(VALU_DEP_3) | instskip(NEXT) | instid1(VALU_DEP_1)
	v_add_nc_u64_e32 v[38:39], v[50:51], v[38:39]
	v_add_co_u32 v11, vcc_lo, v38, v32
	s_delay_alu instid0(VALU_DEP_2) | instskip(NEXT) | instid1(VALU_DEP_4)
	v_add_co_ci_u32_e32 v50, vcc_lo, v39, v33, vcc_lo
	v_add_co_ci_u32_e32 v49, vcc_lo, 0, v49, vcc_lo
	s_delay_alu instid0(VALU_DEP_1) | instskip(NEXT) | instid1(VALU_DEP_1)
	v_add_nc_u64_e32 v[32:33], v[50:51], v[48:49]
	v_mul_u64_e32 v[32:33], s[36:37], v[32:33]
	s_delay_alu instid0(VALU_DEP_1) | instskip(NEXT) | instid1(VALU_DEP_2)
	v_sub_nc_u32_e32 v11, v46, v33
	v_sub_co_u32 v32, vcc_lo, v36, v32
	s_delay_alu instid0(VALU_DEP_1) | instskip(NEXT) | instid1(VALU_DEP_3)
	v_sub_co_ci_u32_e64 v33, null, v46, v33, vcc_lo
	v_subrev_co_ci_u32_e64 v11, null, s37, v11, vcc_lo
	s_delay_alu instid0(VALU_DEP_3) | instskip(SKIP_1) | instid1(VALU_DEP_3)
	v_sub_co_u32 v36, vcc_lo, v32, s36
	v_cmp_le_u32_e64 s1, s36, v32
	v_subrev_co_ci_u32_e64 v37, null, 0, v11, vcc_lo
	v_subrev_co_ci_u32_e64 v11, null, s37, v11, vcc_lo
	s_delay_alu instid0(VALU_DEP_3) | instskip(SKIP_2) | instid1(VALU_DEP_2)
	v_cndmask_b32_e64 v38, 0, -1, s1
	v_cmp_le_u32_e64 s1, s36, v36
	v_cmp_le_u32_e32 vcc_lo, s37, v33
	v_cndmask_b32_e64 v39, 0, -1, s1
	v_cmp_le_u32_e64 s1, s37, v37
	v_cndmask_b32_e64 v47, 0, -1, vcc_lo
	v_cmp_eq_u32_e32 vcc_lo, s37, v37
	s_delay_alu instid0(VALU_DEP_3) | instskip(SKIP_1) | instid1(VALU_DEP_2)
	v_cndmask_b32_e64 v46, 0, -1, s1
	v_cmp_eq_u32_e64 s1, s37, v33
	v_cndmask_b32_e32 v39, v46, v39, vcc_lo
	v_sub_co_u32 v46, vcc_lo, v36, s36
	s_delay_alu instid0(VALU_DEP_1) | instskip(NEXT) | instid1(VALU_DEP_3)
	v_subrev_co_ci_u32_e64 v11, null, 0, v11, vcc_lo
	v_cmp_ne_u32_e32 vcc_lo, 0, v39
	s_delay_alu instid0(VALU_DEP_2) | instskip(NEXT) | instid1(VALU_DEP_4)
	v_dual_cndmask_b32 v38, v47, v38, s1 :: v_dual_cndmask_b32 v11, v37, v11, vcc_lo
	v_cndmask_b32_e32 v36, v36, v46, vcc_lo
	s_delay_alu instid0(VALU_DEP_2) | instskip(NEXT) | instid1(VALU_DEP_2)
	v_cmp_ne_u32_e32 vcc_lo, 0, v38
	v_dual_cndmask_b32 v11, v33, v11 :: v_dual_cndmask_b32 v32, v32, v36
	s_delay_alu instid0(VALU_DEP_1) | instskip(NEXT) | instid1(VALU_DEP_2)
	v_xor_b32_e32 v33, v11, v34
	v_xor_b32_e32 v32, v32, v34
	s_delay_alu instid0(VALU_DEP_1)
	v_sub_nc_u64_e32 v[34:35], v[32:33], v[34:35]
                                        ; implicit-def: $vgpr32_vgpr33
.LBB143_48:                             ;   in Loop: Header=BB143_33 Depth=2
	s_and_not1_saveexec_b32 s1, s42
	s_cbranch_execz .LBB143_31
; %bb.49:                               ;   in Loop: Header=BB143_33 Depth=2
	v_cvt_f32_u32_e32 v11, s8
	v_mov_b32_e32 v35, v10
	s_delay_alu instid0(VALU_DEP_2) | instskip(SKIP_1) | instid1(TRANS32_DEP_1)
	v_rcp_iflag_f32_e32 v11, v11
	v_nop
	v_mul_f32_e32 v11, 0x4f7ffffe, v11
	s_delay_alu instid0(VALU_DEP_1) | instskip(NEXT) | instid1(VALU_DEP_1)
	v_cvt_u32_f32_e32 v11, v11
	v_mul_lo_u32 v33, s39, v11
	s_delay_alu instid0(VALU_DEP_1) | instskip(NEXT) | instid1(VALU_DEP_1)
	v_mul_hi_u32 v33, v11, v33
	v_add_nc_u32_e32 v11, v11, v33
	s_delay_alu instid0(VALU_DEP_1) | instskip(NEXT) | instid1(VALU_DEP_1)
	v_mul_hi_u32 v11, v32, v11
	v_mul_lo_u32 v11, v11, s8
	s_delay_alu instid0(VALU_DEP_1) | instskip(NEXT) | instid1(VALU_DEP_1)
	v_sub_nc_u32_e32 v11, v32, v11
	v_subrev_nc_u32_e32 v32, s8, v11
	v_cmp_le_u32_e32 vcc_lo, s8, v11
	s_delay_alu instid0(VALU_DEP_2) | instskip(NEXT) | instid1(VALU_DEP_1)
	v_cndmask_b32_e32 v11, v11, v32, vcc_lo
	v_subrev_nc_u32_e32 v32, s8, v11
	v_cmp_le_u32_e32 vcc_lo, s8, v11
	s_delay_alu instid0(VALU_DEP_2)
	v_cndmask_b32_e32 v34, v11, v32, vcc_lo
	s_branch .LBB143_31
.LBB143_50:                             ;   in Loop: Header=BB143_10 Depth=1
	s_mov_b32 s31, s30
	v_dual_mov_b32 v27, v10 :: v_dual_ashrrev_i32 v22, 31, v21
	s_add_nc_u64 s[34:35], s[8:9], s[30:31]
	v_mov_b32_e32 v35, v10
	s_xor_b64 s[34:35], s[34:35], s[30:31]
	s_delay_alu instid0(VALU_DEP_2) | instskip(SKIP_3) | instid1(VALU_DEP_1)
	v_mov_b32_e32 v23, v22
	s_cvt_f32_u32 s1, s34
	s_cvt_f32_u32 s18, s35
	s_sub_nc_u64 s[44:45], 0, s[34:35]
	v_add_nc_u64_e32 v[24:25], v[20:21], v[22:23]
	s_delay_alu instid0(SALU_CYCLE_1) | instskip(SKIP_1) | instid1(SALU_CYCLE_2)
	s_fmamk_f32 s1, s18, 0x4f800000, s1
	v_mov_b32_e32 v31, v10
	v_s_rcp_f32 s1, s1
	s_delay_alu instid0(VALU_DEP_2) | instskip(NEXT) | instid1(VALU_DEP_3)
	v_xor_b32_e32 v26, v24, v22
	v_xor_b32_e32 v30, v25, v22
	s_delay_alu instid0(TRANS32_DEP_1) | instskip(NEXT) | instid1(SALU_CYCLE_3)
	s_mul_f32 s1, s1, 0x5f7ffffc
	s_mul_f32 s18, s1, 0x2f800000
	s_delay_alu instid0(SALU_CYCLE_3) | instskip(NEXT) | instid1(SALU_CYCLE_3)
	s_trunc_f32 s18, s18
	s_fmamk_f32 s1, s18, 0xcf800000, s1
	s_cvt_u32_f32 s43, s18
	s_delay_alu instid0(SALU_CYCLE_2) | instskip(NEXT) | instid1(SALU_CYCLE_3)
	s_cvt_u32_f32 s42, s1
	s_mul_u64 s[46:47], s[44:45], s[42:43]
	s_delay_alu instid0(SALU_CYCLE_1)
	s_mul_hi_u32 s49, s42, s47
	s_mul_i32 s48, s42, s47
	s_mul_hi_u32 s18, s42, s46
	s_mul_i32 s31, s43, s46
	s_add_nc_u64 s[48:49], s[18:19], s[48:49]
	s_mul_hi_u32 s1, s43, s46
	s_mul_hi_u32 s41, s43, s47
	s_add_co_u32 s18, s48, s31
	s_add_co_ci_u32 s18, s49, s1
	s_mul_i32 s46, s43, s47
	s_add_co_ci_u32 s47, s41, 0
	s_delay_alu instid0(SALU_CYCLE_1) | instskip(NEXT) | instid1(SALU_CYCLE_1)
	s_add_nc_u64 s[46:47], s[18:19], s[46:47]
	s_add_co_u32 s42, s42, s46
	s_cselect_b32 s1, -1, 0
	s_delay_alu instid0(SALU_CYCLE_1) | instskip(SKIP_1) | instid1(SALU_CYCLE_1)
	s_cmp_lg_u32 s1, 0
	s_add_co_ci_u32 s43, s43, s47
	s_mul_u64 s[44:45], s[44:45], s[42:43]
	s_delay_alu instid0(SALU_CYCLE_1)
	s_mul_hi_u32 s47, s42, s45
	s_mul_i32 s46, s42, s45
	s_mul_hi_u32 s18, s42, s44
	s_mul_i32 s31, s43, s44
	s_add_nc_u64 s[46:47], s[18:19], s[46:47]
	s_mul_hi_u32 s1, s43, s44
	s_mul_hi_u32 s41, s43, s45
	s_add_co_u32 s18, s46, s31
	s_add_co_ci_u32 s18, s47, s1
	s_mul_i32 s44, s43, s45
	s_add_co_ci_u32 s45, s41, 0
	s_delay_alu instid0(SALU_CYCLE_1) | instskip(NEXT) | instid1(SALU_CYCLE_1)
	s_add_nc_u64 s[44:45], s[18:19], s[44:45]
	s_add_co_u32 s42, s42, s44
	s_cselect_b32 s1, -1, 0
	v_mul_hi_u32 v34, v26, s42
	s_cmp_lg_u32 s1, 0
	s_add_co_ci_u32 s18, s43, s45
	s_and_b64 s[44:45], s[42:43], s[26:27]
	v_mul_u64_e32 v[28:29], s[18:19], v[26:27]
	v_mul_u64_e32 v[24:25], s[44:45], v[30:31]
	;; [unrolled: 1-line block ×3, first 2 shown]
	s_delay_alu instid0(VALU_DEP_3) | instskip(NEXT) | instid1(VALU_DEP_1)
	v_add_nc_u64_e32 v[28:29], v[34:35], v[28:29]
	v_add_co_u32 v11, vcc_lo, v28, v24
	s_delay_alu instid0(VALU_DEP_2) | instskip(NEXT) | instid1(VALU_DEP_4)
	v_add_co_ci_u32_e32 v34, vcc_lo, v29, v25, vcc_lo
	v_add_co_ci_u32_e32 v33, vcc_lo, 0, v33, vcc_lo
	s_delay_alu instid0(VALU_DEP_1) | instskip(NEXT) | instid1(VALU_DEP_1)
	v_add_nc_u64_e32 v[24:25], v[34:35], v[32:33]
	v_mul_u64_e32 v[28:29], s[34:35], v[24:25]
	s_delay_alu instid0(VALU_DEP_1) | instskip(NEXT) | instid1(VALU_DEP_2)
	v_sub_nc_u32_e32 v11, v30, v29
	v_sub_co_u32 v23, vcc_lo, v26, v28
	s_delay_alu instid0(VALU_DEP_1) | instskip(NEXT) | instid1(VALU_DEP_3)
	v_sub_co_ci_u32_e64 v30, null, v30, v29, vcc_lo
	v_subrev_co_ci_u32_e64 v11, null, s35, v11, vcc_lo
	s_delay_alu instid0(VALU_DEP_3) | instskip(SKIP_1) | instid1(VALU_DEP_3)
	v_sub_co_u32 v26, s1, v23, s34
	v_add_nc_u64_e32 v[28:29], 1, v[24:25]
	v_subrev_co_ci_u32_e64 v11, null, 0, v11, s1
	s_delay_alu instid0(VALU_DEP_3) | instskip(SKIP_1) | instid1(VALU_DEP_3)
	v_cmp_le_u32_e32 vcc_lo, s34, v26
	v_cndmask_b32_e64 v26, 0, -1, vcc_lo
	v_cmp_le_u32_e32 vcc_lo, s35, v11
	v_cndmask_b32_e64 v27, 0, -1, vcc_lo
	;; [unrolled: 2-line block ×4, first 2 shown]
	v_cmp_eq_u32_e32 vcc_lo, s35, v11
	v_cndmask_b32_e32 v11, v27, v26, vcc_lo
	v_cmp_eq_u32_e32 vcc_lo, s35, v30
	v_add_nc_u64_e32 v[26:27], 2, v[24:25]
	v_cndmask_b32_e32 v23, v31, v23, vcc_lo
	s_delay_alu instid0(VALU_DEP_4) | instskip(NEXT) | instid1(VALU_DEP_2)
	v_cmp_ne_u32_e32 vcc_lo, 0, v11
	v_cmp_ne_u32_e64 s1, 0, v23
	s_delay_alu instid0(VALU_DEP_4) | instskip(NEXT) | instid1(VALU_DEP_1)
	v_dual_cndmask_b32 v11, v29, v27, vcc_lo :: v_dual_cndmask_b32 v23, v28, v26, vcc_lo
	v_dual_cndmask_b32 v11, v25, v11, s1 :: v_dual_bitop2_b32 v22, s30, v22 bitop3:0x14
	s_delay_alu instid0(VALU_DEP_1) | instskip(NEXT) | instid1(VALU_DEP_2)
	v_dual_cndmask_b32 v24, v24, v23, s1 :: v_dual_mov_b32 v23, v22
	v_xor_b32_e32 v25, v11, v22
	s_delay_alu instid0(VALU_DEP_2) | instskip(NEXT) | instid1(VALU_DEP_1)
	v_xor_b32_e32 v24, v24, v22
	v_sub_nc_u64_e32 v[22:23], v[24:25], v[22:23]
	s_and_not1_saveexec_b32 s1, s37
	s_cbranch_execz .LBB143_26
.LBB143_51:                             ;   in Loop: Header=BB143_10 Depth=1
	v_cvt_f32_u32_e32 v11, s8
	s_delay_alu instid0(VALU_DEP_1) | instskip(SKIP_1) | instid1(TRANS32_DEP_1)
	v_rcp_iflag_f32_e32 v11, v11
	v_nop
	v_mul_f32_e32 v11, 0x4f7ffffe, v11
	s_delay_alu instid0(VALU_DEP_1) | instskip(NEXT) | instid1(VALU_DEP_1)
	v_cvt_u32_f32_e32 v11, v11
	v_mul_lo_u32 v22, s39, v11
	s_delay_alu instid0(VALU_DEP_1) | instskip(NEXT) | instid1(VALU_DEP_1)
	v_mul_hi_u32 v22, v11, v22
	v_add_nc_u32_e32 v11, v11, v22
	s_delay_alu instid0(VALU_DEP_1) | instskip(NEXT) | instid1(VALU_DEP_1)
	v_mul_hi_u32 v11, v20, v11
	v_mul_lo_u32 v22, v11, s8
	s_delay_alu instid0(VALU_DEP_1) | instskip(NEXT) | instid1(VALU_DEP_1)
	v_dual_add_nc_u32 v23, 1, v11 :: v_dual_sub_nc_u32 v22, v20, v22
	v_subrev_nc_u32_e32 v24, s8, v22
	v_cmp_le_u32_e32 vcc_lo, s8, v22
	s_delay_alu instid0(VALU_DEP_2) | instskip(NEXT) | instid1(VALU_DEP_1)
	v_dual_cndmask_b32 v22, v22, v24 :: v_dual_cndmask_b32 v11, v11, v23
	v_cmp_le_u32_e32 vcc_lo, s8, v22
	s_delay_alu instid0(VALU_DEP_2) | instskip(NEXT) | instid1(VALU_DEP_1)
	v_add_nc_u32_e32 v23, 1, v11
	v_dual_cndmask_b32 v22, v11, v23 :: v_dual_mov_b32 v23, v10
	s_or_b32 exec_lo, exec_lo, s1
	s_delay_alu instid0(SALU_CYCLE_1) | instskip(NEXT) | instid1(VALU_DEP_1)
	s_mov_b32 s1, exec_lo
	v_cmpx_ge_i64_e64 v[22:23], v[18:19]
	s_cbranch_execnz .LBB143_27
	s_branch .LBB143_28
.LBB143_52:
	s_endpgm
	.section	.rodata,"a",@progbits
	.p2align	6, 0x0
	.amdhsa_kernel _ZN9rocsparseL21csr2bsr_65_inf_kernelILj32EdllEEv20rocsparse_direction_T2_S2_S2_S2_S2_S2_21rocsparse_index_base_PKT0_PKT1_PKS2_S3_PS4_PS7_PS2_SD_SE_SC_
		.amdhsa_group_segment_fixed_size 0
		.amdhsa_private_segment_fixed_size 0
		.amdhsa_kernarg_size 144
		.amdhsa_user_sgpr_count 2
		.amdhsa_user_sgpr_dispatch_ptr 0
		.amdhsa_user_sgpr_queue_ptr 0
		.amdhsa_user_sgpr_kernarg_segment_ptr 1
		.amdhsa_user_sgpr_dispatch_id 0
		.amdhsa_user_sgpr_kernarg_preload_length 0
		.amdhsa_user_sgpr_kernarg_preload_offset 0
		.amdhsa_user_sgpr_private_segment_size 0
		.amdhsa_wavefront_size32 1
		.amdhsa_uses_dynamic_stack 0
		.amdhsa_enable_private_segment 0
		.amdhsa_system_sgpr_workgroup_id_x 1
		.amdhsa_system_sgpr_workgroup_id_y 0
		.amdhsa_system_sgpr_workgroup_id_z 0
		.amdhsa_system_sgpr_workgroup_info 0
		.amdhsa_system_vgpr_workitem_id 0
		.amdhsa_next_free_vgpr 58
		.amdhsa_next_free_sgpr 52
		.amdhsa_named_barrier_count 0
		.amdhsa_reserve_vcc 1
		.amdhsa_float_round_mode_32 0
		.amdhsa_float_round_mode_16_64 0
		.amdhsa_float_denorm_mode_32 3
		.amdhsa_float_denorm_mode_16_64 3
		.amdhsa_fp16_overflow 0
		.amdhsa_memory_ordered 1
		.amdhsa_forward_progress 1
		.amdhsa_inst_pref_size 39
		.amdhsa_round_robin_scheduling 0
		.amdhsa_exception_fp_ieee_invalid_op 0
		.amdhsa_exception_fp_denorm_src 0
		.amdhsa_exception_fp_ieee_div_zero 0
		.amdhsa_exception_fp_ieee_overflow 0
		.amdhsa_exception_fp_ieee_underflow 0
		.amdhsa_exception_fp_ieee_inexact 0
		.amdhsa_exception_int_div_zero 0
	.end_amdhsa_kernel
	.section	.text._ZN9rocsparseL21csr2bsr_65_inf_kernelILj32EdllEEv20rocsparse_direction_T2_S2_S2_S2_S2_S2_21rocsparse_index_base_PKT0_PKT1_PKS2_S3_PS4_PS7_PS2_SD_SE_SC_,"axG",@progbits,_ZN9rocsparseL21csr2bsr_65_inf_kernelILj32EdllEEv20rocsparse_direction_T2_S2_S2_S2_S2_S2_21rocsparse_index_base_PKT0_PKT1_PKS2_S3_PS4_PS7_PS2_SD_SE_SC_,comdat
.Lfunc_end143:
	.size	_ZN9rocsparseL21csr2bsr_65_inf_kernelILj32EdllEEv20rocsparse_direction_T2_S2_S2_S2_S2_S2_21rocsparse_index_base_PKT0_PKT1_PKS2_S3_PS4_PS7_PS2_SD_SE_SC_, .Lfunc_end143-_ZN9rocsparseL21csr2bsr_65_inf_kernelILj32EdllEEv20rocsparse_direction_T2_S2_S2_S2_S2_S2_21rocsparse_index_base_PKT0_PKT1_PKS2_S3_PS4_PS7_PS2_SD_SE_SC_
                                        ; -- End function
	.set _ZN9rocsparseL21csr2bsr_65_inf_kernelILj32EdllEEv20rocsparse_direction_T2_S2_S2_S2_S2_S2_21rocsparse_index_base_PKT0_PKT1_PKS2_S3_PS4_PS7_PS2_SD_SE_SC_.num_vgpr, 58
	.set _ZN9rocsparseL21csr2bsr_65_inf_kernelILj32EdllEEv20rocsparse_direction_T2_S2_S2_S2_S2_S2_21rocsparse_index_base_PKT0_PKT1_PKS2_S3_PS4_PS7_PS2_SD_SE_SC_.num_agpr, 0
	.set _ZN9rocsparseL21csr2bsr_65_inf_kernelILj32EdllEEv20rocsparse_direction_T2_S2_S2_S2_S2_S2_21rocsparse_index_base_PKT0_PKT1_PKS2_S3_PS4_PS7_PS2_SD_SE_SC_.numbered_sgpr, 52
	.set _ZN9rocsparseL21csr2bsr_65_inf_kernelILj32EdllEEv20rocsparse_direction_T2_S2_S2_S2_S2_S2_21rocsparse_index_base_PKT0_PKT1_PKS2_S3_PS4_PS7_PS2_SD_SE_SC_.num_named_barrier, 0
	.set _ZN9rocsparseL21csr2bsr_65_inf_kernelILj32EdllEEv20rocsparse_direction_T2_S2_S2_S2_S2_S2_21rocsparse_index_base_PKT0_PKT1_PKS2_S3_PS4_PS7_PS2_SD_SE_SC_.private_seg_size, 0
	.set _ZN9rocsparseL21csr2bsr_65_inf_kernelILj32EdllEEv20rocsparse_direction_T2_S2_S2_S2_S2_S2_21rocsparse_index_base_PKT0_PKT1_PKS2_S3_PS4_PS7_PS2_SD_SE_SC_.uses_vcc, 1
	.set _ZN9rocsparseL21csr2bsr_65_inf_kernelILj32EdllEEv20rocsparse_direction_T2_S2_S2_S2_S2_S2_21rocsparse_index_base_PKT0_PKT1_PKS2_S3_PS4_PS7_PS2_SD_SE_SC_.uses_flat_scratch, 0
	.set _ZN9rocsparseL21csr2bsr_65_inf_kernelILj32EdllEEv20rocsparse_direction_T2_S2_S2_S2_S2_S2_21rocsparse_index_base_PKT0_PKT1_PKS2_S3_PS4_PS7_PS2_SD_SE_SC_.has_dyn_sized_stack, 0
	.set _ZN9rocsparseL21csr2bsr_65_inf_kernelILj32EdllEEv20rocsparse_direction_T2_S2_S2_S2_S2_S2_21rocsparse_index_base_PKT0_PKT1_PKS2_S3_PS4_PS7_PS2_SD_SE_SC_.has_recursion, 0
	.set _ZN9rocsparseL21csr2bsr_65_inf_kernelILj32EdllEEv20rocsparse_direction_T2_S2_S2_S2_S2_S2_21rocsparse_index_base_PKT0_PKT1_PKS2_S3_PS4_PS7_PS2_SD_SE_SC_.has_indirect_call, 0
	.section	.AMDGPU.csdata,"",@progbits
; Kernel info:
; codeLenInByte = 4888
; TotalNumSgprs: 54
; NumVgprs: 58
; ScratchSize: 0
; MemoryBound: 0
; FloatMode: 240
; IeeeMode: 1
; LDSByteSize: 0 bytes/workgroup (compile time only)
; SGPRBlocks: 0
; VGPRBlocks: 3
; NumSGPRsForWavesPerEU: 54
; NumVGPRsForWavesPerEU: 58
; NamedBarCnt: 0
; Occupancy: 16
; WaveLimiterHint : 1
; COMPUTE_PGM_RSRC2:SCRATCH_EN: 0
; COMPUTE_PGM_RSRC2:USER_SGPR: 2
; COMPUTE_PGM_RSRC2:TRAP_HANDLER: 0
; COMPUTE_PGM_RSRC2:TGID_X_EN: 1
; COMPUTE_PGM_RSRC2:TGID_Y_EN: 0
; COMPUTE_PGM_RSRC2:TGID_Z_EN: 0
; COMPUTE_PGM_RSRC2:TIDIG_COMP_CNT: 0
	.section	.text._ZN9rocsparseL35csr2bsr_block_dim_equals_one_kernelILj256E21rocsparse_complex_numIdEiiEEvT2_S3_S3_S3_21rocsparse_index_base_PKT0_PKT1_PKS3_S4_PS5_PS8_PS3_,"axG",@progbits,_ZN9rocsparseL35csr2bsr_block_dim_equals_one_kernelILj256E21rocsparse_complex_numIdEiiEEvT2_S3_S3_S3_21rocsparse_index_base_PKT0_PKT1_PKS3_S4_PS5_PS8_PS3_,comdat
	.globl	_ZN9rocsparseL35csr2bsr_block_dim_equals_one_kernelILj256E21rocsparse_complex_numIdEiiEEvT2_S3_S3_S3_21rocsparse_index_base_PKT0_PKT1_PKS3_S4_PS5_PS8_PS3_ ; -- Begin function _ZN9rocsparseL35csr2bsr_block_dim_equals_one_kernelILj256E21rocsparse_complex_numIdEiiEEvT2_S3_S3_S3_21rocsparse_index_base_PKT0_PKT1_PKS3_S4_PS5_PS8_PS3_
	.p2align	8
	.type	_ZN9rocsparseL35csr2bsr_block_dim_equals_one_kernelILj256E21rocsparse_complex_numIdEiiEEvT2_S3_S3_S3_21rocsparse_index_base_PKT0_PKT1_PKS3_S4_PS5_PS8_PS3_,@function
_ZN9rocsparseL35csr2bsr_block_dim_equals_one_kernelILj256E21rocsparse_complex_numIdEiiEEvT2_S3_S3_S3_21rocsparse_index_base_PKT0_PKT1_PKS3_S4_PS5_PS8_PS3_: ; @_ZN9rocsparseL35csr2bsr_block_dim_equals_one_kernelILj256E21rocsparse_complex_numIdEiiEEvT2_S3_S3_S3_21rocsparse_index_base_PKT0_PKT1_PKS3_S4_PS5_PS8_PS3_
; %bb.0:
	s_clause 0x1
	s_load_b32 s2, s[0:1], 0x0
	s_load_b128 s[4:7], s[0:1], 0x18
	s_bfe_u32 s3, ttmp6, 0x4000c
	s_and_b32 s8, ttmp6, 15
	s_add_co_i32 s3, s3, 1
	s_getreg_b32 s9, hwreg(HW_REG_IB_STS2, 6, 4)
	s_mul_i32 s3, ttmp9, s3
	s_delay_alu instid0(SALU_CYCLE_1)
	s_add_co_i32 s8, s8, s3
	s_wait_kmcnt 0x0
	s_ashr_i32 s3, s2, 31
	s_cmp_eq_u32 s9, 0
	s_cselect_b32 s8, ttmp9, s8
	s_lshl_b64 s[2:3], s[2:3], 2
	v_lshl_or_b32 v0, s8, 8, v0
	s_add_nc_u64 s[2:3], s[6:7], s[2:3]
	s_clause 0x1
	s_load_b32 s9, s[2:3], 0x0
	s_load_b32 s10, s[6:7], 0x0
	s_wait_xcnt 0x0
	s_mov_b32 s7, 0
	s_mov_b32 s2, exec_lo
	s_wait_kmcnt 0x0
	s_sub_co_i32 s6, s9, s10
	s_delay_alu instid0(SALU_CYCLE_1)
	v_cmpx_gt_i32_e64 s6, v0
	s_cbranch_execz .LBB144_3
; %bb.1:
	s_clause 0x3
	s_load_b96 s[8:10], s[0:1], 0x28
	s_load_b64 s[2:3], s[0:1], 0x38
	s_load_b32 s11, s[0:1], 0x10
	s_load_b96 s[12:14], s[0:1], 0x48
	s_wait_kmcnt 0x0
	s_sub_co_i32 s0, s10, s11
	s_lshl_b32 s1, s14, 8
.LBB144_2:                              ; =>This Inner Loop Header: Depth=1
	global_load_b32 v1, v0, s[8:9] scale_offset
	s_wait_loadcnt 0x0
	v_add_nc_u32_e32 v1, s0, v1
	s_clause 0x1
	global_store_b32 v0, v1, s[12:13] scale_offset
	global_load_b128 v[2:5], v0, s[4:5] scale_offset
	s_wait_loadcnt 0x0
	global_store_b128 v0, v[2:5], s[2:3] scale_offset
	s_wait_xcnt 0x0
	v_add_nc_u32_e32 v0, s1, v0
	s_delay_alu instid0(VALU_DEP_1) | instskip(SKIP_1) | instid1(SALU_CYCLE_1)
	v_cmp_le_i32_e32 vcc_lo, s6, v0
	s_or_b32 s7, vcc_lo, s7
	s_and_not1_b32 exec_lo, exec_lo, s7
	s_cbranch_execnz .LBB144_2
.LBB144_3:
	s_endpgm
	.section	.rodata,"a",@progbits
	.p2align	6, 0x0
	.amdhsa_kernel _ZN9rocsparseL35csr2bsr_block_dim_equals_one_kernelILj256E21rocsparse_complex_numIdEiiEEvT2_S3_S3_S3_21rocsparse_index_base_PKT0_PKT1_PKS3_S4_PS5_PS8_PS3_
		.amdhsa_group_segment_fixed_size 0
		.amdhsa_private_segment_fixed_size 0
		.amdhsa_kernarg_size 336
		.amdhsa_user_sgpr_count 2
		.amdhsa_user_sgpr_dispatch_ptr 0
		.amdhsa_user_sgpr_queue_ptr 0
		.amdhsa_user_sgpr_kernarg_segment_ptr 1
		.amdhsa_user_sgpr_dispatch_id 0
		.amdhsa_user_sgpr_kernarg_preload_length 0
		.amdhsa_user_sgpr_kernarg_preload_offset 0
		.amdhsa_user_sgpr_private_segment_size 0
		.amdhsa_wavefront_size32 1
		.amdhsa_uses_dynamic_stack 0
		.amdhsa_enable_private_segment 0
		.amdhsa_system_sgpr_workgroup_id_x 1
		.amdhsa_system_sgpr_workgroup_id_y 0
		.amdhsa_system_sgpr_workgroup_id_z 0
		.amdhsa_system_sgpr_workgroup_info 0
		.amdhsa_system_vgpr_workitem_id 0
		.amdhsa_next_free_vgpr 6
		.amdhsa_next_free_sgpr 15
		.amdhsa_named_barrier_count 0
		.amdhsa_reserve_vcc 1
		.amdhsa_float_round_mode_32 0
		.amdhsa_float_round_mode_16_64 0
		.amdhsa_float_denorm_mode_32 3
		.amdhsa_float_denorm_mode_16_64 3
		.amdhsa_fp16_overflow 0
		.amdhsa_memory_ordered 1
		.amdhsa_forward_progress 1
		.amdhsa_inst_pref_size 3
		.amdhsa_round_robin_scheduling 0
		.amdhsa_exception_fp_ieee_invalid_op 0
		.amdhsa_exception_fp_denorm_src 0
		.amdhsa_exception_fp_ieee_div_zero 0
		.amdhsa_exception_fp_ieee_overflow 0
		.amdhsa_exception_fp_ieee_underflow 0
		.amdhsa_exception_fp_ieee_inexact 0
		.amdhsa_exception_int_div_zero 0
	.end_amdhsa_kernel
	.section	.text._ZN9rocsparseL35csr2bsr_block_dim_equals_one_kernelILj256E21rocsparse_complex_numIdEiiEEvT2_S3_S3_S3_21rocsparse_index_base_PKT0_PKT1_PKS3_S4_PS5_PS8_PS3_,"axG",@progbits,_ZN9rocsparseL35csr2bsr_block_dim_equals_one_kernelILj256E21rocsparse_complex_numIdEiiEEvT2_S3_S3_S3_21rocsparse_index_base_PKT0_PKT1_PKS3_S4_PS5_PS8_PS3_,comdat
.Lfunc_end144:
	.size	_ZN9rocsparseL35csr2bsr_block_dim_equals_one_kernelILj256E21rocsparse_complex_numIdEiiEEvT2_S3_S3_S3_21rocsparse_index_base_PKT0_PKT1_PKS3_S4_PS5_PS8_PS3_, .Lfunc_end144-_ZN9rocsparseL35csr2bsr_block_dim_equals_one_kernelILj256E21rocsparse_complex_numIdEiiEEvT2_S3_S3_S3_21rocsparse_index_base_PKT0_PKT1_PKS3_S4_PS5_PS8_PS3_
                                        ; -- End function
	.set _ZN9rocsparseL35csr2bsr_block_dim_equals_one_kernelILj256E21rocsparse_complex_numIdEiiEEvT2_S3_S3_S3_21rocsparse_index_base_PKT0_PKT1_PKS3_S4_PS5_PS8_PS3_.num_vgpr, 6
	.set _ZN9rocsparseL35csr2bsr_block_dim_equals_one_kernelILj256E21rocsparse_complex_numIdEiiEEvT2_S3_S3_S3_21rocsparse_index_base_PKT0_PKT1_PKS3_S4_PS5_PS8_PS3_.num_agpr, 0
	.set _ZN9rocsparseL35csr2bsr_block_dim_equals_one_kernelILj256E21rocsparse_complex_numIdEiiEEvT2_S3_S3_S3_21rocsparse_index_base_PKT0_PKT1_PKS3_S4_PS5_PS8_PS3_.numbered_sgpr, 15
	.set _ZN9rocsparseL35csr2bsr_block_dim_equals_one_kernelILj256E21rocsparse_complex_numIdEiiEEvT2_S3_S3_S3_21rocsparse_index_base_PKT0_PKT1_PKS3_S4_PS5_PS8_PS3_.num_named_barrier, 0
	.set _ZN9rocsparseL35csr2bsr_block_dim_equals_one_kernelILj256E21rocsparse_complex_numIdEiiEEvT2_S3_S3_S3_21rocsparse_index_base_PKT0_PKT1_PKS3_S4_PS5_PS8_PS3_.private_seg_size, 0
	.set _ZN9rocsparseL35csr2bsr_block_dim_equals_one_kernelILj256E21rocsparse_complex_numIdEiiEEvT2_S3_S3_S3_21rocsparse_index_base_PKT0_PKT1_PKS3_S4_PS5_PS8_PS3_.uses_vcc, 1
	.set _ZN9rocsparseL35csr2bsr_block_dim_equals_one_kernelILj256E21rocsparse_complex_numIdEiiEEvT2_S3_S3_S3_21rocsparse_index_base_PKT0_PKT1_PKS3_S4_PS5_PS8_PS3_.uses_flat_scratch, 0
	.set _ZN9rocsparseL35csr2bsr_block_dim_equals_one_kernelILj256E21rocsparse_complex_numIdEiiEEvT2_S3_S3_S3_21rocsparse_index_base_PKT0_PKT1_PKS3_S4_PS5_PS8_PS3_.has_dyn_sized_stack, 0
	.set _ZN9rocsparseL35csr2bsr_block_dim_equals_one_kernelILj256E21rocsparse_complex_numIdEiiEEvT2_S3_S3_S3_21rocsparse_index_base_PKT0_PKT1_PKS3_S4_PS5_PS8_PS3_.has_recursion, 0
	.set _ZN9rocsparseL35csr2bsr_block_dim_equals_one_kernelILj256E21rocsparse_complex_numIdEiiEEvT2_S3_S3_S3_21rocsparse_index_base_PKT0_PKT1_PKS3_S4_PS5_PS8_PS3_.has_indirect_call, 0
	.section	.AMDGPU.csdata,"",@progbits
; Kernel info:
; codeLenInByte = 284
; TotalNumSgprs: 17
; NumVgprs: 6
; ScratchSize: 0
; MemoryBound: 0
; FloatMode: 240
; IeeeMode: 1
; LDSByteSize: 0 bytes/workgroup (compile time only)
; SGPRBlocks: 0
; VGPRBlocks: 0
; NumSGPRsForWavesPerEU: 17
; NumVGPRsForWavesPerEU: 6
; NamedBarCnt: 0
; Occupancy: 16
; WaveLimiterHint : 0
; COMPUTE_PGM_RSRC2:SCRATCH_EN: 0
; COMPUTE_PGM_RSRC2:USER_SGPR: 2
; COMPUTE_PGM_RSRC2:TRAP_HANDLER: 0
; COMPUTE_PGM_RSRC2:TGID_X_EN: 1
; COMPUTE_PGM_RSRC2:TGID_Y_EN: 0
; COMPUTE_PGM_RSRC2:TGID_Z_EN: 0
; COMPUTE_PGM_RSRC2:TIDIG_COMP_CNT: 0
	.section	.text._ZN9rocsparseL42csr2bsr_wavefront_per_row_multipass_kernelILj256ELj16ELj4E21rocsparse_complex_numIdEiiEEv20rocsparse_direction_T4_S4_S4_S4_S4_21rocsparse_index_base_PKT2_PKT3_PKS4_S5_PS6_PS9_PS4_,"axG",@progbits,_ZN9rocsparseL42csr2bsr_wavefront_per_row_multipass_kernelILj256ELj16ELj4E21rocsparse_complex_numIdEiiEEv20rocsparse_direction_T4_S4_S4_S4_S4_21rocsparse_index_base_PKT2_PKT3_PKS4_S5_PS6_PS9_PS4_,comdat
	.globl	_ZN9rocsparseL42csr2bsr_wavefront_per_row_multipass_kernelILj256ELj16ELj4E21rocsparse_complex_numIdEiiEEv20rocsparse_direction_T4_S4_S4_S4_S4_21rocsparse_index_base_PKT2_PKT3_PKS4_S5_PS6_PS9_PS4_ ; -- Begin function _ZN9rocsparseL42csr2bsr_wavefront_per_row_multipass_kernelILj256ELj16ELj4E21rocsparse_complex_numIdEiiEEv20rocsparse_direction_T4_S4_S4_S4_S4_21rocsparse_index_base_PKT2_PKT3_PKS4_S5_PS6_PS9_PS4_
	.p2align	8
	.type	_ZN9rocsparseL42csr2bsr_wavefront_per_row_multipass_kernelILj256ELj16ELj4E21rocsparse_complex_numIdEiiEEv20rocsparse_direction_T4_S4_S4_S4_S4_21rocsparse_index_base_PKT2_PKT3_PKS4_S5_PS6_PS9_PS4_,@function
_ZN9rocsparseL42csr2bsr_wavefront_per_row_multipass_kernelILj256ELj16ELj4E21rocsparse_complex_numIdEiiEEv20rocsparse_direction_T4_S4_S4_S4_S4_21rocsparse_index_base_PKT2_PKT3_PKS4_S5_PS6_PS9_PS4_: ; @_ZN9rocsparseL42csr2bsr_wavefront_per_row_multipass_kernelILj256ELj16ELj4E21rocsparse_complex_numIdEiiEEv20rocsparse_direction_T4_S4_S4_S4_S4_21rocsparse_index_base_PKT2_PKT3_PKS4_S5_PS6_PS9_PS4_
; %bb.0:
	s_clause 0x1
	s_load_b128 s[4:7], s[0:1], 0xc
	s_load_b64 s[16:17], s[0:1], 0x0
	s_bfe_u32 s2, ttmp6, 0x4000c
	s_and_b32 s3, ttmp6, 15
	s_add_co_i32 s2, s2, 1
	s_getreg_b32 s8, hwreg(HW_REG_IB_STS2, 6, 4)
	s_mul_i32 s2, ttmp9, s2
	v_dual_lshrrev_b32 v12, 4, v0 :: v_dual_mov_b32 v4, 0
	s_add_co_i32 s3, s3, s2
	s_cmp_eq_u32 s8, 0
	v_bfe_u32 v1, v0, 2, 2
	s_cselect_b32 s2, ttmp9, s3
	s_load_b64 s[8:9], s[0:1], 0x28
	v_lshl_or_b32 v2, s2, 4, v12
	v_mov_b32_e32 v10, 0
	s_wait_kmcnt 0x0
	s_delay_alu instid0(VALU_DEP_2) | instskip(SKIP_1) | instid1(VALU_DEP_2)
	v_mad_u32 v3, v2, s6, v1
	v_cmp_gt_i32_e32 vcc_lo, s6, v1
	v_cmp_gt_i32_e64 s2, s17, v3
	s_and_b32 s2, vcc_lo, s2
	s_delay_alu instid0(SALU_CYCLE_1)
	s_and_saveexec_b32 s3, s2
	s_cbranch_execz .LBB145_2
; %bb.1:
	global_load_b32 v5, v3, s[8:9] scale_offset
	s_wait_loadcnt 0x0
	v_subrev_nc_u32_e32 v10, s7, v5
.LBB145_2:
	s_or_b32 exec_lo, exec_lo, s3
	v_mov_b32_e32 v13, 0
	s_and_saveexec_b32 s3, s2
	s_cbranch_execz .LBB145_4
; %bb.3:
	global_load_b32 v3, v3, s[8:9] offset:4 scale_offset
	s_wait_loadcnt 0x0
	v_subrev_nc_u32_e32 v13, s7, v3
.LBB145_4:
	s_or_b32 exec_lo, exec_lo, s3
	s_load_b32 s17, s[0:1], 0x38
	s_mov_b32 s3, exec_lo
	v_cmpx_gt_i32_e64 s4, v2
	s_cbranch_execz .LBB145_6
; %bb.5:
	s_load_b64 s[8:9], s[0:1], 0x48
	s_wait_kmcnt 0x0
	global_load_b32 v2, v2, s[8:9] scale_offset
	s_wait_loadcnt 0x0
	v_subrev_nc_u32_e32 v4, s17, v2
.LBB145_6:
	s_or_b32 exec_lo, exec_lo, s3
	s_cmp_lt_i32 s5, 1
	s_cbranch_scc1 .LBB145_21
; %bb.7:
	s_load_b64 s[18:19], s[0:1], 0x40
	v_dual_mov_b32 v7, 0 :: v_dual_bitop2_b32 v14, 3, v0 bitop3:0x40
	s_clause 0x2
	s_load_b64 s[2:3], s[0:1], 0x50
	s_load_b64 s[8:9], s[0:1], 0x30
	;; [unrolled: 1-line block ×3, first 2 shown]
	v_and_b32_e32 v0, 0xf0, v0
	v_mbcnt_lo_u32_b32 v20, -1, 0
	v_mul_lo_u32 v6, s6, v14
	s_wait_xcnt 0x0
	v_cmp_gt_u32_e64 s0, s6, v14
	v_dual_mov_b32 v19, v7 :: v_dual_lshlrev_b32 v18, 4, v14
	v_dual_lshlrev_b32 v22, 2, v20 :: v_dual_bitop2_b32 v21, 1, v20 bitop3:0x14
	s_and_b32 s1, vcc_lo, s0
	s_cmp_eq_u32 s16, 0
	v_xor_b32_e32 v23, 4, v20
	s_cselect_b32 vcc_lo, -1, 0
	s_abs_i32 s4, s6
	s_mov_b32 s13, 0
	s_cvt_f32_u32 s0, s4
	s_mov_b32 s12, s6
	s_wait_kmcnt 0x0
	v_lshl_add_u64 v[2:3], v[6:7], 4, s[18:19]
	v_dual_lshlrev_b32 v6, 4, v1 :: v_dual_lshlrev_b32 v11, 6, v1
	s_mul_u64 s[14:15], s[12:13], s[12:13]
	v_dual_mov_b32 v15, 1 :: v_dual_mov_b32 v5, 0
	s_delay_alu instid0(VALU_DEP_2) | instskip(SKIP_4) | instid1(VALU_DEP_2)
	v_add_nc_u64_e32 v[8:9], v[2:3], v[6:7]
	v_mul_lo_u32 v6, s6, v1
	v_lshl_or_b32 v16, v0, 4, v11
	v_dual_mov_b32 v3, v7 :: v_dual_bitop2_b32 v11, 2, v20 bitop3:0x14
	s_ashr_i32 s16, s6, 31
	v_dual_mov_b32 v2, v7 :: v_dual_bitop2_b32 v17, v16, v18 bitop3:0x54
	s_delay_alu instid0(VALU_DEP_4) | instskip(SKIP_2) | instid1(VALU_DEP_2)
	v_lshl_add_u64 v[0:1], v[6:7], 4, s[18:19]
	v_xor_b32_e32 v6, 8, v20
	s_mov_b32 s18, s13
	v_add_nc_u64_e32 v[24:25], v[0:1], v[18:19]
	v_rcp_iflag_f32_e32 v19, s0
	v_cmp_gt_i32_e64 s0, 32, v11
	v_dual_mov_b32 v0, v7 :: v_dual_mov_b32 v1, v7
	s_delay_alu instid0(VALU_DEP_2) | instskip(SKIP_1) | instid1(TRANS32_DEP_1)
	v_cndmask_b32_e64 v11, v20, v11, s0
	v_cmp_gt_i32_e64 s0, 32, v21
	v_readfirstlane_b32 s12, v19
	v_dual_cndmask_b32 v9, v9, v25 :: v_dual_cndmask_b32 v8, v8, v24
	s_delay_alu instid0(VALU_DEP_3) | instskip(SKIP_1) | instid1(VALU_DEP_2)
	v_cndmask_b32_e64 v21, v20, v21, s0
	v_cmp_gt_i32_e64 s0, 32, v6
	v_dual_lshlrev_b32 v21, 2, v21 :: v_dual_bitop2_b32 v19, 60, v22 bitop3:0x54
	s_delay_alu instid0(VALU_DEP_2) | instskip(SKIP_1) | instid1(VALU_DEP_1)
	v_cndmask_b32_e64 v6, v20, v6, s0
	v_cmp_gt_i32_e64 s0, 32, v23
	v_dual_cndmask_b32 v23, v20, v23, s0 :: v_dual_bitop2_b32 v18, 12, v22 bitop3:0x54
	s_mul_f32 s0, s12, 0x4f7ffffe
	s_sub_co_i32 s12, 0, s4
	v_dual_lshlrev_b32 v20, 2, v11 :: v_dual_lshlrev_b32 v22, 2, v6
	s_delay_alu instid0(VALU_DEP_2) | instskip(SKIP_1) | instid1(SALU_CYCLE_3)
	v_lshlrev_b32_e32 v23, 2, v23
	s_cvt_u32_f32 s0, s0
	s_mul_i32 s12, s12, s0
	s_delay_alu instid0(SALU_CYCLE_1) | instskip(NEXT) | instid1(SALU_CYCLE_1)
	s_mul_hi_u32 s12, s0, s12
	s_add_co_i32 s12, s0, s12
	s_branch .LBB145_10
.LBB145_8:                              ;   in Loop: Header=BB145_10 Depth=1
	s_wait_xcnt 0x0
	s_or_b32 exec_lo, exec_lo, s19
	v_mov_b32_e32 v6, 1
.LBB145_9:                              ;   in Loop: Header=BB145_10 Depth=1
	s_or_b32 exec_lo, exec_lo, s0
	ds_bpermute_b32 v5, v22, v24
	s_wait_storecnt_dscnt 0x0
	v_add_nc_u32_e32 v4, v6, v4
	v_min_i32_e32 v5, v5, v24
	ds_bpermute_b32 v11, v23, v5
	s_wait_dscnt 0x0
	v_min_i32_e32 v5, v11, v5
	ds_bpermute_b32 v11, v20, v5
	s_wait_dscnt 0x0
	;; [unrolled: 3-line block ×4, first 2 shown]
	v_cmp_le_i32_e32 vcc_lo, s5, v5
	s_or_b32 s18, vcc_lo, s18
	s_delay_alu instid0(SALU_CYCLE_1)
	s_and_not1_b32 exec_lo, exec_lo, s18
	s_cbranch_execz .LBB145_21
.LBB145_10:                             ; =>This Loop Header: Depth=1
                                        ;     Child Loop BB145_13 Depth 2
	v_dual_add_nc_u32 v10, v10, v14 :: v_dual_mov_b32 v24, s5
	v_mov_b32_e32 v11, v13
	s_mov_b32 s19, exec_lo
	ds_store_b8 v12, v7 offset:4096
	ds_store_b128 v17, v[0:3]
	s_wait_dscnt 0x0
	v_cmpx_lt_i32_e64 v10, v13
	s_cbranch_execz .LBB145_18
; %bb.11:                               ;   in Loop: Header=BB145_10 Depth=1
	v_mul_lo_u32 v25, v5, s6
	v_dual_mov_b32 v24, s5 :: v_dual_mov_b32 v11, v13
	s_mov_b32 s20, 0
	s_branch .LBB145_13
.LBB145_12:                             ;   in Loop: Header=BB145_13 Depth=2
	s_wait_xcnt 0x0
	s_or_b32 exec_lo, exec_lo, s0
	v_add_nc_u32_e32 v10, 4, v10
	s_xor_b32 s21, vcc_lo, -1
	s_delay_alu instid0(VALU_DEP_1) | instskip(SKIP_1) | instid1(SALU_CYCLE_1)
	v_cmp_ge_i32_e64 s0, v10, v13
	s_or_b32 s0, s21, s0
	s_and_b32 s0, exec_lo, s0
	s_delay_alu instid0(SALU_CYCLE_1) | instskip(NEXT) | instid1(SALU_CYCLE_1)
	s_or_b32 s20, s0, s20
	s_and_not1_b32 exec_lo, exec_lo, s20
	s_cbranch_execz .LBB145_17
.LBB145_13:                             ;   Parent Loop BB145_10 Depth=1
                                        ; =>  This Inner Loop Header: Depth=2
	global_load_b32 v6, v10, s[8:9] scale_offset
	s_wait_loadcnt 0x0
	v_subrev_nc_u32_e32 v26, s7, v6
	s_delay_alu instid0(VALU_DEP_1) | instskip(NEXT) | instid1(VALU_DEP_1)
	v_sub_nc_u32_e32 v6, 0, v26
	v_max_i32_e32 v6, v26, v6
	s_delay_alu instid0(VALU_DEP_1) | instskip(NEXT) | instid1(VALU_DEP_1)
	v_mul_u64_e32 v[28:29], s[12:13], v[6:7]
	v_mul_lo_u32 v27, v29, s4
	s_delay_alu instid0(VALU_DEP_1) | instskip(NEXT) | instid1(VALU_DEP_1)
	v_dual_sub_nc_u32 v6, v6, v27 :: v_dual_add_nc_u32 v27, 1, v29
	v_cmp_le_u32_e32 vcc_lo, s4, v6
	s_delay_alu instid0(VALU_DEP_2) | instskip(SKIP_1) | instid1(VALU_DEP_1)
	v_dual_cndmask_b32 v27, v29, v27, vcc_lo :: v_dual_ashrrev_i32 v29, 31, v26
	v_subrev_nc_u32_e32 v28, s4, v6
	v_dual_cndmask_b32 v6, v6, v28, vcc_lo :: v_dual_add_nc_u32 v28, 1, v27
	s_delay_alu instid0(VALU_DEP_1) | instskip(NEXT) | instid1(VALU_DEP_2)
	v_cmp_le_u32_e32 vcc_lo, s4, v6
	v_dual_cndmask_b32 v6, v27, v28, vcc_lo :: v_dual_bitop2_b32 v29, s16, v29 bitop3:0x14
	s_delay_alu instid0(VALU_DEP_1) | instskip(NEXT) | instid1(VALU_DEP_1)
	v_xor_b32_e32 v6, v6, v29
	v_dual_mov_b32 v6, v11 :: v_dual_sub_nc_u32 v27, v6, v29
	s_delay_alu instid0(VALU_DEP_1) | instskip(SKIP_3) | instid1(SALU_CYCLE_1)
	v_cmp_ne_u32_e64 s0, v27, v5
	v_cmp_eq_u32_e32 vcc_lo, v27, v5
	s_wait_xcnt 0x0
	s_and_saveexec_b32 s21, s0
	s_xor_b32 s0, exec_lo, s21
; %bb.14:                               ;   in Loop: Header=BB145_13 Depth=2
	v_min_i32_e32 v24, v27, v24
                                        ; implicit-def: $vgpr26
                                        ; implicit-def: $vgpr6
; %bb.15:                               ;   in Loop: Header=BB145_13 Depth=2
	s_or_saveexec_b32 s0, s0
	v_mov_b32_e32 v11, v10
	s_xor_b32 exec_lo, exec_lo, s0
	s_cbranch_execz .LBB145_12
; %bb.16:                               ;   in Loop: Header=BB145_13 Depth=2
	v_ashrrev_i32_e32 v11, 31, v10
	s_delay_alu instid0(VALU_DEP_1)
	v_lshl_add_u64 v[28:29], v[10:11], 4, s[10:11]
	v_sub_nc_u32_e32 v11, v26, v25
	global_load_b128 v[28:31], v[28:29], off
	v_lshl_add_u32 v26, v11, 4, v16
	v_mov_b32_e32 v11, v6
	ds_store_b8 v12, v15 offset:4096
	s_wait_loadcnt 0x0
	ds_store_2addr_b64 v26, v[28:29], v[30:31] offset1:1
	s_branch .LBB145_12
.LBB145_17:                             ;   in Loop: Header=BB145_10 Depth=1
	s_or_b32 exec_lo, exec_lo, s20
.LBB145_18:                             ;   in Loop: Header=BB145_10 Depth=1
	s_delay_alu instid0(SALU_CYCLE_1)
	s_or_b32 exec_lo, exec_lo, s19
	ds_bpermute_b32 v6, v20, v11
	s_wait_dscnt 0x0
	v_min_i32_e32 v6, v6, v11
	ds_load_u8 v11, v12 offset:4096
	ds_bpermute_b32 v10, v21, v6
	s_wait_dscnt 0x0
	v_min_i32_e32 v6, v10, v6
	ds_bpermute_b32 v10, v18, v6
	v_and_b32_e32 v6, 1, v11
	s_delay_alu instid0(VALU_DEP_1)
	v_cmp_eq_u32_e32 vcc_lo, 1, v6
	v_mov_b32_e32 v6, 0
	s_and_saveexec_b32 s0, vcc_lo
	s_cbranch_execz .LBB145_9
; %bb.19:                               ;   in Loop: Header=BB145_10 Depth=1
	v_add_nc_u32_e32 v5, s17, v5
	global_store_b32 v4, v5, s[2:3] scale_offset
	s_wait_xcnt 0x0
	s_and_saveexec_b32 s19, s1
	s_cbranch_execz .LBB145_8
; %bb.20:                               ;   in Loop: Header=BB145_10 Depth=1
	v_ashrrev_i32_e32 v5, 31, v4
	ds_load_2addr_b64 v[26:29], v17 offset1:1
	v_mul_u64_e32 v[30:31], s[14:15], v[4:5]
	s_delay_alu instid0(VALU_DEP_1)
	v_lshl_add_u64 v[30:31], v[30:31], 4, v[8:9]
	s_wait_dscnt 0x0
	global_store_b128 v[30:31], v[26:29], off
	s_branch .LBB145_8
.LBB145_21:
	s_endpgm
	.section	.rodata,"a",@progbits
	.p2align	6, 0x0
	.amdhsa_kernel _ZN9rocsparseL42csr2bsr_wavefront_per_row_multipass_kernelILj256ELj16ELj4E21rocsparse_complex_numIdEiiEEv20rocsparse_direction_T4_S4_S4_S4_S4_21rocsparse_index_base_PKT2_PKT3_PKS4_S5_PS6_PS9_PS4_
		.amdhsa_group_segment_fixed_size 4112
		.amdhsa_private_segment_fixed_size 0
		.amdhsa_kernarg_size 88
		.amdhsa_user_sgpr_count 2
		.amdhsa_user_sgpr_dispatch_ptr 0
		.amdhsa_user_sgpr_queue_ptr 0
		.amdhsa_user_sgpr_kernarg_segment_ptr 1
		.amdhsa_user_sgpr_dispatch_id 0
		.amdhsa_user_sgpr_kernarg_preload_length 0
		.amdhsa_user_sgpr_kernarg_preload_offset 0
		.amdhsa_user_sgpr_private_segment_size 0
		.amdhsa_wavefront_size32 1
		.amdhsa_uses_dynamic_stack 0
		.amdhsa_enable_private_segment 0
		.amdhsa_system_sgpr_workgroup_id_x 1
		.amdhsa_system_sgpr_workgroup_id_y 0
		.amdhsa_system_sgpr_workgroup_id_z 0
		.amdhsa_system_sgpr_workgroup_info 0
		.amdhsa_system_vgpr_workitem_id 0
		.amdhsa_next_free_vgpr 32
		.amdhsa_next_free_sgpr 22
		.amdhsa_named_barrier_count 0
		.amdhsa_reserve_vcc 1
		.amdhsa_float_round_mode_32 0
		.amdhsa_float_round_mode_16_64 0
		.amdhsa_float_denorm_mode_32 3
		.amdhsa_float_denorm_mode_16_64 3
		.amdhsa_fp16_overflow 0
		.amdhsa_memory_ordered 1
		.amdhsa_forward_progress 1
		.amdhsa_inst_pref_size 11
		.amdhsa_round_robin_scheduling 0
		.amdhsa_exception_fp_ieee_invalid_op 0
		.amdhsa_exception_fp_denorm_src 0
		.amdhsa_exception_fp_ieee_div_zero 0
		.amdhsa_exception_fp_ieee_overflow 0
		.amdhsa_exception_fp_ieee_underflow 0
		.amdhsa_exception_fp_ieee_inexact 0
		.amdhsa_exception_int_div_zero 0
	.end_amdhsa_kernel
	.section	.text._ZN9rocsparseL42csr2bsr_wavefront_per_row_multipass_kernelILj256ELj16ELj4E21rocsparse_complex_numIdEiiEEv20rocsparse_direction_T4_S4_S4_S4_S4_21rocsparse_index_base_PKT2_PKT3_PKS4_S5_PS6_PS9_PS4_,"axG",@progbits,_ZN9rocsparseL42csr2bsr_wavefront_per_row_multipass_kernelILj256ELj16ELj4E21rocsparse_complex_numIdEiiEEv20rocsparse_direction_T4_S4_S4_S4_S4_21rocsparse_index_base_PKT2_PKT3_PKS4_S5_PS6_PS9_PS4_,comdat
.Lfunc_end145:
	.size	_ZN9rocsparseL42csr2bsr_wavefront_per_row_multipass_kernelILj256ELj16ELj4E21rocsparse_complex_numIdEiiEEv20rocsparse_direction_T4_S4_S4_S4_S4_21rocsparse_index_base_PKT2_PKT3_PKS4_S5_PS6_PS9_PS4_, .Lfunc_end145-_ZN9rocsparseL42csr2bsr_wavefront_per_row_multipass_kernelILj256ELj16ELj4E21rocsparse_complex_numIdEiiEEv20rocsparse_direction_T4_S4_S4_S4_S4_21rocsparse_index_base_PKT2_PKT3_PKS4_S5_PS6_PS9_PS4_
                                        ; -- End function
	.set _ZN9rocsparseL42csr2bsr_wavefront_per_row_multipass_kernelILj256ELj16ELj4E21rocsparse_complex_numIdEiiEEv20rocsparse_direction_T4_S4_S4_S4_S4_21rocsparse_index_base_PKT2_PKT3_PKS4_S5_PS6_PS9_PS4_.num_vgpr, 32
	.set _ZN9rocsparseL42csr2bsr_wavefront_per_row_multipass_kernelILj256ELj16ELj4E21rocsparse_complex_numIdEiiEEv20rocsparse_direction_T4_S4_S4_S4_S4_21rocsparse_index_base_PKT2_PKT3_PKS4_S5_PS6_PS9_PS4_.num_agpr, 0
	.set _ZN9rocsparseL42csr2bsr_wavefront_per_row_multipass_kernelILj256ELj16ELj4E21rocsparse_complex_numIdEiiEEv20rocsparse_direction_T4_S4_S4_S4_S4_21rocsparse_index_base_PKT2_PKT3_PKS4_S5_PS6_PS9_PS4_.numbered_sgpr, 22
	.set _ZN9rocsparseL42csr2bsr_wavefront_per_row_multipass_kernelILj256ELj16ELj4E21rocsparse_complex_numIdEiiEEv20rocsparse_direction_T4_S4_S4_S4_S4_21rocsparse_index_base_PKT2_PKT3_PKS4_S5_PS6_PS9_PS4_.num_named_barrier, 0
	.set _ZN9rocsparseL42csr2bsr_wavefront_per_row_multipass_kernelILj256ELj16ELj4E21rocsparse_complex_numIdEiiEEv20rocsparse_direction_T4_S4_S4_S4_S4_21rocsparse_index_base_PKT2_PKT3_PKS4_S5_PS6_PS9_PS4_.private_seg_size, 0
	.set _ZN9rocsparseL42csr2bsr_wavefront_per_row_multipass_kernelILj256ELj16ELj4E21rocsparse_complex_numIdEiiEEv20rocsparse_direction_T4_S4_S4_S4_S4_21rocsparse_index_base_PKT2_PKT3_PKS4_S5_PS6_PS9_PS4_.uses_vcc, 1
	.set _ZN9rocsparseL42csr2bsr_wavefront_per_row_multipass_kernelILj256ELj16ELj4E21rocsparse_complex_numIdEiiEEv20rocsparse_direction_T4_S4_S4_S4_S4_21rocsparse_index_base_PKT2_PKT3_PKS4_S5_PS6_PS9_PS4_.uses_flat_scratch, 0
	.set _ZN9rocsparseL42csr2bsr_wavefront_per_row_multipass_kernelILj256ELj16ELj4E21rocsparse_complex_numIdEiiEEv20rocsparse_direction_T4_S4_S4_S4_S4_21rocsparse_index_base_PKT2_PKT3_PKS4_S5_PS6_PS9_PS4_.has_dyn_sized_stack, 0
	.set _ZN9rocsparseL42csr2bsr_wavefront_per_row_multipass_kernelILj256ELj16ELj4E21rocsparse_complex_numIdEiiEEv20rocsparse_direction_T4_S4_S4_S4_S4_21rocsparse_index_base_PKT2_PKT3_PKS4_S5_PS6_PS9_PS4_.has_recursion, 0
	.set _ZN9rocsparseL42csr2bsr_wavefront_per_row_multipass_kernelILj256ELj16ELj4E21rocsparse_complex_numIdEiiEEv20rocsparse_direction_T4_S4_S4_S4_S4_21rocsparse_index_base_PKT2_PKT3_PKS4_S5_PS6_PS9_PS4_.has_indirect_call, 0
	.section	.AMDGPU.csdata,"",@progbits
; Kernel info:
; codeLenInByte = 1352
; TotalNumSgprs: 24
; NumVgprs: 32
; ScratchSize: 0
; MemoryBound: 0
; FloatMode: 240
; IeeeMode: 1
; LDSByteSize: 4112 bytes/workgroup (compile time only)
; SGPRBlocks: 0
; VGPRBlocks: 1
; NumSGPRsForWavesPerEU: 24
; NumVGPRsForWavesPerEU: 32
; NamedBarCnt: 0
; Occupancy: 16
; WaveLimiterHint : 0
; COMPUTE_PGM_RSRC2:SCRATCH_EN: 0
; COMPUTE_PGM_RSRC2:USER_SGPR: 2
; COMPUTE_PGM_RSRC2:TRAP_HANDLER: 0
; COMPUTE_PGM_RSRC2:TGID_X_EN: 1
; COMPUTE_PGM_RSRC2:TGID_Y_EN: 0
; COMPUTE_PGM_RSRC2:TGID_Z_EN: 0
; COMPUTE_PGM_RSRC2:TIDIG_COMP_CNT: 0
	.section	.text._ZN9rocsparseL42csr2bsr_wavefront_per_row_multipass_kernelILj256ELj64ELj8E21rocsparse_complex_numIdEiiEEv20rocsparse_direction_T4_S4_S4_S4_S4_21rocsparse_index_base_PKT2_PKT3_PKS4_S5_PS6_PS9_PS4_,"axG",@progbits,_ZN9rocsparseL42csr2bsr_wavefront_per_row_multipass_kernelILj256ELj64ELj8E21rocsparse_complex_numIdEiiEEv20rocsparse_direction_T4_S4_S4_S4_S4_21rocsparse_index_base_PKT2_PKT3_PKS4_S5_PS6_PS9_PS4_,comdat
	.globl	_ZN9rocsparseL42csr2bsr_wavefront_per_row_multipass_kernelILj256ELj64ELj8E21rocsparse_complex_numIdEiiEEv20rocsparse_direction_T4_S4_S4_S4_S4_21rocsparse_index_base_PKT2_PKT3_PKS4_S5_PS6_PS9_PS4_ ; -- Begin function _ZN9rocsparseL42csr2bsr_wavefront_per_row_multipass_kernelILj256ELj64ELj8E21rocsparse_complex_numIdEiiEEv20rocsparse_direction_T4_S4_S4_S4_S4_21rocsparse_index_base_PKT2_PKT3_PKS4_S5_PS6_PS9_PS4_
	.p2align	8
	.type	_ZN9rocsparseL42csr2bsr_wavefront_per_row_multipass_kernelILj256ELj64ELj8E21rocsparse_complex_numIdEiiEEv20rocsparse_direction_T4_S4_S4_S4_S4_21rocsparse_index_base_PKT2_PKT3_PKS4_S5_PS6_PS9_PS4_,@function
_ZN9rocsparseL42csr2bsr_wavefront_per_row_multipass_kernelILj256ELj64ELj8E21rocsparse_complex_numIdEiiEEv20rocsparse_direction_T4_S4_S4_S4_S4_21rocsparse_index_base_PKT2_PKT3_PKS4_S5_PS6_PS9_PS4_: ; @_ZN9rocsparseL42csr2bsr_wavefront_per_row_multipass_kernelILj256ELj64ELj8E21rocsparse_complex_numIdEiiEEv20rocsparse_direction_T4_S4_S4_S4_S4_21rocsparse_index_base_PKT2_PKT3_PKS4_S5_PS6_PS9_PS4_
; %bb.0:
	s_clause 0x1
	s_load_b128 s[4:7], s[0:1], 0xc
	s_load_b64 s[16:17], s[0:1], 0x0
	s_bfe_u32 s2, ttmp6, 0x4000c
	s_and_b32 s3, ttmp6, 15
	s_add_co_i32 s2, s2, 1
	s_getreg_b32 s8, hwreg(HW_REG_IB_STS2, 6, 4)
	s_mul_i32 s2, ttmp9, s2
	v_dual_lshrrev_b32 v12, 6, v0 :: v_dual_mov_b32 v4, 0
	s_add_co_i32 s3, s3, s2
	s_cmp_eq_u32 s8, 0
	v_bfe_u32 v1, v0, 3, 3
	s_cselect_b32 s2, ttmp9, s3
	s_load_b64 s[8:9], s[0:1], 0x28
	v_lshl_or_b32 v2, s2, 2, v12
	v_mov_b32_e32 v10, 0
	s_wait_kmcnt 0x0
	s_delay_alu instid0(VALU_DEP_2) | instskip(SKIP_1) | instid1(VALU_DEP_2)
	v_mad_u32 v3, v2, s6, v1
	v_cmp_gt_i32_e32 vcc_lo, s6, v1
	v_cmp_gt_i32_e64 s2, s17, v3
	s_and_b32 s2, vcc_lo, s2
	s_delay_alu instid0(SALU_CYCLE_1)
	s_and_saveexec_b32 s3, s2
	s_cbranch_execz .LBB146_2
; %bb.1:
	global_load_b32 v5, v3, s[8:9] scale_offset
	s_wait_loadcnt 0x0
	v_subrev_nc_u32_e32 v10, s7, v5
.LBB146_2:
	s_or_b32 exec_lo, exec_lo, s3
	v_mov_b32_e32 v13, 0
	s_and_saveexec_b32 s3, s2
	s_cbranch_execz .LBB146_4
; %bb.3:
	global_load_b32 v3, v3, s[8:9] offset:4 scale_offset
	s_wait_loadcnt 0x0
	v_subrev_nc_u32_e32 v13, s7, v3
.LBB146_4:
	s_or_b32 exec_lo, exec_lo, s3
	s_load_b32 s17, s[0:1], 0x38
	s_mov_b32 s3, exec_lo
	v_cmpx_gt_i32_e64 s4, v2
	s_cbranch_execz .LBB146_6
; %bb.5:
	s_load_b64 s[8:9], s[0:1], 0x48
	s_wait_kmcnt 0x0
	global_load_b32 v2, v2, s[8:9] scale_offset
	s_wait_loadcnt 0x0
	v_subrev_nc_u32_e32 v4, s17, v2
.LBB146_6:
	s_or_b32 exec_lo, exec_lo, s3
	s_cmp_lt_i32 s5, 1
	s_cbranch_scc1 .LBB146_21
; %bb.7:
	s_load_b64 s[18:19], s[0:1], 0x40
	v_dual_lshlrev_b32 v8, 7, v1 :: v_dual_bitop2_b32 v14, 7, v0 bitop3:0x40
	v_dual_mov_b32 v7, 0 :: v_dual_mov_b32 v16, 1
	v_mov_b32_e32 v5, 0
	s_delay_alu instid0(VALU_DEP_3)
	v_mul_lo_u32 v6, s6, v14
	v_and_b32_e32 v0, 0xc0, v0
	v_mbcnt_lo_u32_b32 v11, -1, 0
	s_clause 0x2
	s_load_b64 s[2:3], s[0:1], 0x50
	s_load_b64 s[8:9], s[0:1], 0x30
	;; [unrolled: 1-line block ×3, first 2 shown]
	s_wait_xcnt 0x0
	v_cmp_gt_u32_e64 s0, s6, v14
	v_mov_b32_e32 v9, v7
	v_lshl_or_b32 v17, v0, 4, v8
	v_dual_lshlrev_b32 v8, 4, v14 :: v_dual_bitop2_b32 v22, 4, v11 bitop3:0x14
	v_xor_b32_e32 v23, 2, v11
	s_and_b32 s1, vcc_lo, s0
	v_dual_mov_b32 v0, v7 :: v_dual_bitop2_b32 v24, 1, v11 bitop3:0x14
	s_delay_alu instid0(VALU_DEP_3)
	v_cmp_gt_i32_e64 s0, 32, v22
	s_wait_kmcnt 0x0
	v_lshl_add_u64 v[2:3], v[6:7], 4, s[18:19]
	v_dual_lshlrev_b32 v6, 4, v1 :: v_dual_bitop2_b32 v19, v17, v8 bitop3:0x54
	v_or_b32_e32 v25, 32, v11
	s_cmp_eq_u32 s16, 0
	s_mov_b32 s13, 0
	s_delay_alu instid0(VALU_DEP_2)
	v_add_nc_u64_e32 v[26:27], v[2:3], v[6:7]
	v_mul_lo_u32 v6, s6, v1
	s_mov_b32 s12, s6
	s_cselect_b32 vcc_lo, -1, 0
	s_abs_i32 s4, s6
	s_mul_u64 s[14:15], s[12:13], s[12:13]
	s_cvt_f32_u32 s12, s4
	v_dual_mov_b32 v2, v7 :: v_dual_bitop2_b32 v30, 16, v11 bitop3:0x14
	v_dual_mov_b32 v1, v7 :: v_dual_bitop2_b32 v31, 8, v11 bitop3:0x14
	v_mov_b32_e32 v3, v7
	s_delay_alu instid0(VALU_DEP_4)
	v_lshl_add_u64 v[20:21], v[6:7], 4, s[18:19]
	v_cndmask_b32_e64 v6, v11, v22, s0
	v_cmp_gt_i32_e64 s0, 32, v23
	v_bfrev_b32_e32 v15, 0.5
	v_lshl_or_b32 v18, v11, 2, 28
	v_add_nc_u64_e32 v[28:29], v[20:21], v[8:9]
	v_rcp_iflag_f32_e32 v9, s12
	v_cndmask_b32_e64 v8, v11, v23, s0
	v_cmp_gt_i32_e64 s0, 32, v24
	s_ashr_i32 s16, s6, 31
	s_mov_b32 s18, s13
	v_dual_lshlrev_b32 v20, 2, v6 :: v_dual_cndmask_b32 v22, v11, v24, s0
	v_cmp_gt_i32_e64 s0, 32, v25
	v_readfirstlane_b32 s12, v9
	v_lshlrev_b32_e32 v21, 2, v8
	s_delay_alu instid0(VALU_DEP_4) | instskip(NEXT) | instid1(VALU_DEP_4)
	v_dual_cndmask_b32 v8, v26, v28, vcc_lo :: v_dual_lshlrev_b32 v22, 2, v22
	v_cndmask_b32_e64 v23, v11, v25, s0
	v_cmp_gt_i32_e64 s0, 32, v30
	s_delay_alu instid0(VALU_DEP_1) | instskip(SKIP_1) | instid1(VALU_DEP_2)
	v_cndmask_b32_e64 v24, v11, v30, s0
	v_cmp_gt_i32_e64 s0, 32, v31
	v_dual_lshlrev_b32 v23, 2, v23 :: v_dual_lshlrev_b32 v24, 2, v24
	s_delay_alu instid0(VALU_DEP_2) | instskip(SKIP_2) | instid1(SALU_CYCLE_2)
	v_cndmask_b32_e64 v9, v11, v31, s0
	s_mul_f32 s0, s12, 0x4f7ffffe
	s_sub_co_i32 s12, 0, s4
	s_cvt_u32_f32 s0, s0
	s_delay_alu instid0(VALU_DEP_1) | instskip(SKIP_1) | instid1(SALU_CYCLE_1)
	v_lshlrev_b32_e32 v25, 2, v9
	v_cndmask_b32_e32 v9, v27, v29, vcc_lo
	s_mul_i32 s12, s12, s0
	s_delay_alu instid0(SALU_CYCLE_1) | instskip(NEXT) | instid1(SALU_CYCLE_1)
	s_mul_hi_u32 s12, s0, s12
	s_add_co_i32 s12, s0, s12
	s_branch .LBB146_10
.LBB146_8:                              ;   in Loop: Header=BB146_10 Depth=1
	s_wait_xcnt 0x0
	s_or_b32 exec_lo, exec_lo, s19
	v_mov_b32_e32 v6, 1
.LBB146_9:                              ;   in Loop: Header=BB146_10 Depth=1
	s_or_b32 exec_lo, exec_lo, s0
	ds_bpermute_b32 v5, v23, v26
	s_wait_storecnt_dscnt 0x0
	v_dual_add_nc_u32 v4, v6, v4 :: v_dual_min_i32 v5, v5, v26
	ds_bpermute_b32 v11, v24, v5
	s_wait_dscnt 0x0
	v_min_i32_e32 v5, v11, v5
	ds_bpermute_b32 v11, v25, v5
	s_wait_dscnt 0x0
	v_min_i32_e32 v5, v11, v5
	;; [unrolled: 3-line block ×5, first 2 shown]
	ds_bpermute_b32 v5, v15, v5
	s_wait_dscnt 0x0
	v_cmp_le_i32_e32 vcc_lo, s5, v5
	s_or_b32 s18, vcc_lo, s18
	s_delay_alu instid0(SALU_CYCLE_1)
	s_and_not1_b32 exec_lo, exec_lo, s18
	s_cbranch_execz .LBB146_21
.LBB146_10:                             ; =>This Loop Header: Depth=1
                                        ;     Child Loop BB146_13 Depth 2
	v_dual_add_nc_u32 v10, v10, v14 :: v_dual_mov_b32 v26, s5
	v_mov_b32_e32 v11, v13
	s_mov_b32 s19, exec_lo
	ds_store_b8 v12, v7 offset:4096
	ds_store_b128 v19, v[0:3]
	s_wait_dscnt 0x0
	v_cmpx_lt_i32_e64 v10, v13
	s_cbranch_execz .LBB146_18
; %bb.11:                               ;   in Loop: Header=BB146_10 Depth=1
	v_mul_lo_u32 v27, v5, s6
	v_dual_mov_b32 v26, s5 :: v_dual_mov_b32 v11, v13
	s_mov_b32 s20, 0
	s_branch .LBB146_13
.LBB146_12:                             ;   in Loop: Header=BB146_13 Depth=2
	s_wait_xcnt 0x0
	s_or_b32 exec_lo, exec_lo, s0
	v_add_nc_u32_e32 v10, 8, v10
	s_xor_b32 s21, vcc_lo, -1
	s_delay_alu instid0(VALU_DEP_1) | instskip(SKIP_1) | instid1(SALU_CYCLE_1)
	v_cmp_ge_i32_e64 s0, v10, v13
	s_or_b32 s0, s21, s0
	s_and_b32 s0, exec_lo, s0
	s_delay_alu instid0(SALU_CYCLE_1) | instskip(NEXT) | instid1(SALU_CYCLE_1)
	s_or_b32 s20, s0, s20
	s_and_not1_b32 exec_lo, exec_lo, s20
	s_cbranch_execz .LBB146_17
.LBB146_13:                             ;   Parent Loop BB146_10 Depth=1
                                        ; =>  This Inner Loop Header: Depth=2
	global_load_b32 v6, v10, s[8:9] scale_offset
	s_wait_loadcnt 0x0
	v_subrev_nc_u32_e32 v28, s7, v6
	s_delay_alu instid0(VALU_DEP_1) | instskip(NEXT) | instid1(VALU_DEP_1)
	v_sub_nc_u32_e32 v6, 0, v28
	v_max_i32_e32 v6, v28, v6
	s_delay_alu instid0(VALU_DEP_1) | instskip(NEXT) | instid1(VALU_DEP_1)
	v_mul_u64_e32 v[30:31], s[12:13], v[6:7]
	v_mul_lo_u32 v29, v31, s4
	s_delay_alu instid0(VALU_DEP_1) | instskip(NEXT) | instid1(VALU_DEP_1)
	v_dual_sub_nc_u32 v6, v6, v29 :: v_dual_add_nc_u32 v29, 1, v31
	v_cmp_le_u32_e32 vcc_lo, s4, v6
	s_delay_alu instid0(VALU_DEP_2) | instskip(SKIP_1) | instid1(VALU_DEP_1)
	v_dual_cndmask_b32 v29, v31, v29, vcc_lo :: v_dual_ashrrev_i32 v31, 31, v28
	v_subrev_nc_u32_e32 v30, s4, v6
	v_dual_cndmask_b32 v6, v6, v30, vcc_lo :: v_dual_add_nc_u32 v30, 1, v29
	s_delay_alu instid0(VALU_DEP_1) | instskip(NEXT) | instid1(VALU_DEP_2)
	v_cmp_le_u32_e32 vcc_lo, s4, v6
	v_dual_cndmask_b32 v6, v29, v30, vcc_lo :: v_dual_bitop2_b32 v31, s16, v31 bitop3:0x14
	s_delay_alu instid0(VALU_DEP_1) | instskip(NEXT) | instid1(VALU_DEP_1)
	v_xor_b32_e32 v6, v6, v31
	v_dual_mov_b32 v6, v11 :: v_dual_sub_nc_u32 v29, v6, v31
	s_delay_alu instid0(VALU_DEP_1) | instskip(SKIP_3) | instid1(SALU_CYCLE_1)
	v_cmp_ne_u32_e64 s0, v29, v5
	v_cmp_eq_u32_e32 vcc_lo, v29, v5
	s_wait_xcnt 0x0
	s_and_saveexec_b32 s21, s0
	s_xor_b32 s0, exec_lo, s21
; %bb.14:                               ;   in Loop: Header=BB146_13 Depth=2
	v_min_i32_e32 v26, v29, v26
                                        ; implicit-def: $vgpr28
                                        ; implicit-def: $vgpr6
; %bb.15:                               ;   in Loop: Header=BB146_13 Depth=2
	s_or_saveexec_b32 s0, s0
	v_mov_b32_e32 v11, v10
	s_xor_b32 exec_lo, exec_lo, s0
	s_cbranch_execz .LBB146_12
; %bb.16:                               ;   in Loop: Header=BB146_13 Depth=2
	v_ashrrev_i32_e32 v11, 31, v10
	s_delay_alu instid0(VALU_DEP_1)
	v_lshl_add_u64 v[30:31], v[10:11], 4, s[10:11]
	v_sub_nc_u32_e32 v11, v28, v27
	global_load_b128 v[30:33], v[30:31], off
	v_lshl_add_u32 v28, v11, 4, v17
	v_mov_b32_e32 v11, v6
	ds_store_b8 v12, v16 offset:4096
	s_wait_loadcnt 0x0
	ds_store_2addr_b64 v28, v[30:31], v[32:33] offset1:1
	s_branch .LBB146_12
.LBB146_17:                             ;   in Loop: Header=BB146_10 Depth=1
	s_or_b32 exec_lo, exec_lo, s20
.LBB146_18:                             ;   in Loop: Header=BB146_10 Depth=1
	s_delay_alu instid0(SALU_CYCLE_1)
	s_or_b32 exec_lo, exec_lo, s19
	ds_bpermute_b32 v6, v20, v11
	s_wait_dscnt 0x0
	v_min_i32_e32 v6, v6, v11
	ds_load_u8 v11, v12 offset:4096
	ds_bpermute_b32 v10, v21, v6
	s_wait_dscnt 0x0
	v_min_i32_e32 v6, v10, v6
	ds_bpermute_b32 v10, v22, v6
	s_wait_dscnt 0x0
	v_min_i32_e32 v6, v10, v6
	ds_bpermute_b32 v10, v18, v6
	v_and_b32_e32 v6, 1, v11
	s_delay_alu instid0(VALU_DEP_1)
	v_cmp_eq_u32_e32 vcc_lo, 1, v6
	v_mov_b32_e32 v6, 0
	s_and_saveexec_b32 s0, vcc_lo
	s_cbranch_execz .LBB146_9
; %bb.19:                               ;   in Loop: Header=BB146_10 Depth=1
	v_add_nc_u32_e32 v5, s17, v5
	global_store_b32 v4, v5, s[2:3] scale_offset
	s_wait_xcnt 0x0
	s_and_saveexec_b32 s19, s1
	s_cbranch_execz .LBB146_8
; %bb.20:                               ;   in Loop: Header=BB146_10 Depth=1
	v_ashrrev_i32_e32 v5, 31, v4
	ds_load_2addr_b64 v[28:31], v19 offset1:1
	v_mul_u64_e32 v[32:33], s[14:15], v[4:5]
	s_delay_alu instid0(VALU_DEP_1)
	v_lshl_add_u64 v[32:33], v[32:33], 4, v[8:9]
	s_wait_dscnt 0x0
	global_store_b128 v[32:33], v[28:31], off
	s_branch .LBB146_8
.LBB146_21:
	s_endpgm
	.section	.rodata,"a",@progbits
	.p2align	6, 0x0
	.amdhsa_kernel _ZN9rocsparseL42csr2bsr_wavefront_per_row_multipass_kernelILj256ELj64ELj8E21rocsparse_complex_numIdEiiEEv20rocsparse_direction_T4_S4_S4_S4_S4_21rocsparse_index_base_PKT2_PKT3_PKS4_S5_PS6_PS9_PS4_
		.amdhsa_group_segment_fixed_size 4104
		.amdhsa_private_segment_fixed_size 0
		.amdhsa_kernarg_size 88
		.amdhsa_user_sgpr_count 2
		.amdhsa_user_sgpr_dispatch_ptr 0
		.amdhsa_user_sgpr_queue_ptr 0
		.amdhsa_user_sgpr_kernarg_segment_ptr 1
		.amdhsa_user_sgpr_dispatch_id 0
		.amdhsa_user_sgpr_kernarg_preload_length 0
		.amdhsa_user_sgpr_kernarg_preload_offset 0
		.amdhsa_user_sgpr_private_segment_size 0
		.amdhsa_wavefront_size32 1
		.amdhsa_uses_dynamic_stack 0
		.amdhsa_enable_private_segment 0
		.amdhsa_system_sgpr_workgroup_id_x 1
		.amdhsa_system_sgpr_workgroup_id_y 0
		.amdhsa_system_sgpr_workgroup_id_z 0
		.amdhsa_system_sgpr_workgroup_info 0
		.amdhsa_system_vgpr_workitem_id 0
		.amdhsa_next_free_vgpr 34
		.amdhsa_next_free_sgpr 22
		.amdhsa_named_barrier_count 0
		.amdhsa_reserve_vcc 1
		.amdhsa_float_round_mode_32 0
		.amdhsa_float_round_mode_16_64 0
		.amdhsa_float_denorm_mode_32 3
		.amdhsa_float_denorm_mode_16_64 3
		.amdhsa_fp16_overflow 0
		.amdhsa_memory_ordered 1
		.amdhsa_forward_progress 1
		.amdhsa_inst_pref_size 12
		.amdhsa_round_robin_scheduling 0
		.amdhsa_exception_fp_ieee_invalid_op 0
		.amdhsa_exception_fp_denorm_src 0
		.amdhsa_exception_fp_ieee_div_zero 0
		.amdhsa_exception_fp_ieee_overflow 0
		.amdhsa_exception_fp_ieee_underflow 0
		.amdhsa_exception_fp_ieee_inexact 0
		.amdhsa_exception_int_div_zero 0
	.end_amdhsa_kernel
	.section	.text._ZN9rocsparseL42csr2bsr_wavefront_per_row_multipass_kernelILj256ELj64ELj8E21rocsparse_complex_numIdEiiEEv20rocsparse_direction_T4_S4_S4_S4_S4_21rocsparse_index_base_PKT2_PKT3_PKS4_S5_PS6_PS9_PS4_,"axG",@progbits,_ZN9rocsparseL42csr2bsr_wavefront_per_row_multipass_kernelILj256ELj64ELj8E21rocsparse_complex_numIdEiiEEv20rocsparse_direction_T4_S4_S4_S4_S4_21rocsparse_index_base_PKT2_PKT3_PKS4_S5_PS6_PS9_PS4_,comdat
.Lfunc_end146:
	.size	_ZN9rocsparseL42csr2bsr_wavefront_per_row_multipass_kernelILj256ELj64ELj8E21rocsparse_complex_numIdEiiEEv20rocsparse_direction_T4_S4_S4_S4_S4_21rocsparse_index_base_PKT2_PKT3_PKS4_S5_PS6_PS9_PS4_, .Lfunc_end146-_ZN9rocsparseL42csr2bsr_wavefront_per_row_multipass_kernelILj256ELj64ELj8E21rocsparse_complex_numIdEiiEEv20rocsparse_direction_T4_S4_S4_S4_S4_21rocsparse_index_base_PKT2_PKT3_PKS4_S5_PS6_PS9_PS4_
                                        ; -- End function
	.set _ZN9rocsparseL42csr2bsr_wavefront_per_row_multipass_kernelILj256ELj64ELj8E21rocsparse_complex_numIdEiiEEv20rocsparse_direction_T4_S4_S4_S4_S4_21rocsparse_index_base_PKT2_PKT3_PKS4_S5_PS6_PS9_PS4_.num_vgpr, 34
	.set _ZN9rocsparseL42csr2bsr_wavefront_per_row_multipass_kernelILj256ELj64ELj8E21rocsparse_complex_numIdEiiEEv20rocsparse_direction_T4_S4_S4_S4_S4_21rocsparse_index_base_PKT2_PKT3_PKS4_S5_PS6_PS9_PS4_.num_agpr, 0
	.set _ZN9rocsparseL42csr2bsr_wavefront_per_row_multipass_kernelILj256ELj64ELj8E21rocsparse_complex_numIdEiiEEv20rocsparse_direction_T4_S4_S4_S4_S4_21rocsparse_index_base_PKT2_PKT3_PKS4_S5_PS6_PS9_PS4_.numbered_sgpr, 22
	.set _ZN9rocsparseL42csr2bsr_wavefront_per_row_multipass_kernelILj256ELj64ELj8E21rocsparse_complex_numIdEiiEEv20rocsparse_direction_T4_S4_S4_S4_S4_21rocsparse_index_base_PKT2_PKT3_PKS4_S5_PS6_PS9_PS4_.num_named_barrier, 0
	.set _ZN9rocsparseL42csr2bsr_wavefront_per_row_multipass_kernelILj256ELj64ELj8E21rocsparse_complex_numIdEiiEEv20rocsparse_direction_T4_S4_S4_S4_S4_21rocsparse_index_base_PKT2_PKT3_PKS4_S5_PS6_PS9_PS4_.private_seg_size, 0
	.set _ZN9rocsparseL42csr2bsr_wavefront_per_row_multipass_kernelILj256ELj64ELj8E21rocsparse_complex_numIdEiiEEv20rocsparse_direction_T4_S4_S4_S4_S4_21rocsparse_index_base_PKT2_PKT3_PKS4_S5_PS6_PS9_PS4_.uses_vcc, 1
	.set _ZN9rocsparseL42csr2bsr_wavefront_per_row_multipass_kernelILj256ELj64ELj8E21rocsparse_complex_numIdEiiEEv20rocsparse_direction_T4_S4_S4_S4_S4_21rocsparse_index_base_PKT2_PKT3_PKS4_S5_PS6_PS9_PS4_.uses_flat_scratch, 0
	.set _ZN9rocsparseL42csr2bsr_wavefront_per_row_multipass_kernelILj256ELj64ELj8E21rocsparse_complex_numIdEiiEEv20rocsparse_direction_T4_S4_S4_S4_S4_21rocsparse_index_base_PKT2_PKT3_PKS4_S5_PS6_PS9_PS4_.has_dyn_sized_stack, 0
	.set _ZN9rocsparseL42csr2bsr_wavefront_per_row_multipass_kernelILj256ELj64ELj8E21rocsparse_complex_numIdEiiEEv20rocsparse_direction_T4_S4_S4_S4_S4_21rocsparse_index_base_PKT2_PKT3_PKS4_S5_PS6_PS9_PS4_.has_recursion, 0
	.set _ZN9rocsparseL42csr2bsr_wavefront_per_row_multipass_kernelILj256ELj64ELj8E21rocsparse_complex_numIdEiiEEv20rocsparse_direction_T4_S4_S4_S4_S4_21rocsparse_index_base_PKT2_PKT3_PKS4_S5_PS6_PS9_PS4_.has_indirect_call, 0
	.section	.AMDGPU.csdata,"",@progbits
; Kernel info:
; codeLenInByte = 1460
; TotalNumSgprs: 24
; NumVgprs: 34
; ScratchSize: 0
; MemoryBound: 0
; FloatMode: 240
; IeeeMode: 1
; LDSByteSize: 4104 bytes/workgroup (compile time only)
; SGPRBlocks: 0
; VGPRBlocks: 2
; NumSGPRsForWavesPerEU: 24
; NumVGPRsForWavesPerEU: 34
; NamedBarCnt: 0
; Occupancy: 16
; WaveLimiterHint : 0
; COMPUTE_PGM_RSRC2:SCRATCH_EN: 0
; COMPUTE_PGM_RSRC2:USER_SGPR: 2
; COMPUTE_PGM_RSRC2:TRAP_HANDLER: 0
; COMPUTE_PGM_RSRC2:TGID_X_EN: 1
; COMPUTE_PGM_RSRC2:TGID_Y_EN: 0
; COMPUTE_PGM_RSRC2:TGID_Z_EN: 0
; COMPUTE_PGM_RSRC2:TIDIG_COMP_CNT: 0
	.section	.text._ZN9rocsparseL42csr2bsr_wavefront_per_row_multipass_kernelILj256ELj32ELj8E21rocsparse_complex_numIdEiiEEv20rocsparse_direction_T4_S4_S4_S4_S4_21rocsparse_index_base_PKT2_PKT3_PKS4_S5_PS6_PS9_PS4_,"axG",@progbits,_ZN9rocsparseL42csr2bsr_wavefront_per_row_multipass_kernelILj256ELj32ELj8E21rocsparse_complex_numIdEiiEEv20rocsparse_direction_T4_S4_S4_S4_S4_21rocsparse_index_base_PKT2_PKT3_PKS4_S5_PS6_PS9_PS4_,comdat
	.globl	_ZN9rocsparseL42csr2bsr_wavefront_per_row_multipass_kernelILj256ELj32ELj8E21rocsparse_complex_numIdEiiEEv20rocsparse_direction_T4_S4_S4_S4_S4_21rocsparse_index_base_PKT2_PKT3_PKS4_S5_PS6_PS9_PS4_ ; -- Begin function _ZN9rocsparseL42csr2bsr_wavefront_per_row_multipass_kernelILj256ELj32ELj8E21rocsparse_complex_numIdEiiEEv20rocsparse_direction_T4_S4_S4_S4_S4_21rocsparse_index_base_PKT2_PKT3_PKS4_S5_PS6_PS9_PS4_
	.p2align	8
	.type	_ZN9rocsparseL42csr2bsr_wavefront_per_row_multipass_kernelILj256ELj32ELj8E21rocsparse_complex_numIdEiiEEv20rocsparse_direction_T4_S4_S4_S4_S4_21rocsparse_index_base_PKT2_PKT3_PKS4_S5_PS6_PS9_PS4_,@function
_ZN9rocsparseL42csr2bsr_wavefront_per_row_multipass_kernelILj256ELj32ELj8E21rocsparse_complex_numIdEiiEEv20rocsparse_direction_T4_S4_S4_S4_S4_21rocsparse_index_base_PKT2_PKT3_PKS4_S5_PS6_PS9_PS4_: ; @_ZN9rocsparseL42csr2bsr_wavefront_per_row_multipass_kernelILj256ELj32ELj8E21rocsparse_complex_numIdEiiEEv20rocsparse_direction_T4_S4_S4_S4_S4_21rocsparse_index_base_PKT2_PKT3_PKS4_S5_PS6_PS9_PS4_
; %bb.0:
	s_clause 0x1
	s_load_b128 s[4:7], s[0:1], 0xc
	s_load_b64 s[14:15], s[0:1], 0x0
	s_bfe_u32 s2, ttmp6, 0x4000c
	s_and_b32 s3, ttmp6, 15
	s_add_co_i32 s2, s2, 1
	s_getreg_b32 s8, hwreg(HW_REG_IB_STS2, 6, 4)
	s_mul_i32 s2, ttmp9, s2
	v_dual_mov_b32 v4, 0 :: v_dual_lshrrev_b32 v7, 5, v0
	s_add_co_i32 s3, s3, s2
	s_cmp_eq_u32 s8, 0
	v_bfe_u32 v1, v0, 2, 3
	s_cselect_b32 s2, ttmp9, s3
	s_load_b64 s[8:9], s[0:1], 0x28
	v_lshl_or_b32 v2, s2, 3, v7
	v_mov_b32_e32 v34, 0
	s_wait_kmcnt 0x0
	s_delay_alu instid0(VALU_DEP_2) | instskip(SKIP_1) | instid1(VALU_DEP_2)
	v_mad_u32 v3, v2, s6, v1
	v_cmp_gt_i32_e32 vcc_lo, s6, v1
	v_cmp_gt_i32_e64 s2, s15, v3
	s_and_b32 s2, vcc_lo, s2
	s_delay_alu instid0(SALU_CYCLE_1)
	s_and_saveexec_b32 s3, s2
	s_cbranch_execz .LBB147_2
; %bb.1:
	global_load_b32 v5, v3, s[8:9] scale_offset
	s_wait_loadcnt 0x0
	v_subrev_nc_u32_e32 v34, s7, v5
.LBB147_2:
	s_or_b32 exec_lo, exec_lo, s3
	v_mov_b32_e32 v24, 0
	s_and_saveexec_b32 s3, s2
	s_cbranch_execz .LBB147_4
; %bb.3:
	global_load_b32 v3, v3, s[8:9] offset:4 scale_offset
	s_wait_loadcnt 0x0
	v_subrev_nc_u32_e32 v24, s7, v3
.LBB147_4:
	s_or_b32 exec_lo, exec_lo, s3
	s_load_b32 s16, s[0:1], 0x38
	s_mov_b32 s3, exec_lo
	v_cmpx_gt_i32_e64 s4, v2
	s_cbranch_execz .LBB147_6
; %bb.5:
	s_load_b64 s[8:9], s[0:1], 0x48
	s_wait_kmcnt 0x0
	global_load_b32 v2, v2, s[8:9] scale_offset
	s_wait_loadcnt 0x0
	v_subrev_nc_u32_e32 v4, s16, v2
.LBB147_6:
	s_or_b32 exec_lo, exec_lo, s3
	s_cmp_lt_i32 s5, 1
	s_cbranch_scc1 .LBB147_26
; %bb.7:
	v_mbcnt_lo_u32_b32 v2, -1, 0
	v_lshlrev_b32_e32 v3, 7, v1
	s_load_b64 s[18:19], s[0:1], 0x40
	v_and_b32_e32 v6, 3, v0
	s_clause 0x2
	s_load_b64 s[8:9], s[0:1], 0x50
	s_load_b64 s[10:11], s[0:1], 0x30
	;; [unrolled: 1-line block ×3, first 2 shown]
	v_xor_b32_e32 v5, 2, v2
	v_lshl_or_b32 v25, v7, 10, v3
	s_cmp_eq_u32 s14, 0
	s_mov_b32 s3, 0
	s_wait_xcnt 0x0
	s_cselect_b32 s0, -1, 0
	v_cmp_gt_i32_e64 s2, 32, v5
	v_xor_b32_e32 v8, 1, v2
	s_cmp_lg_u32 s14, 0
	v_lshl_or_b32 v29, v2, 2, 12
	s_cselect_b32 s4, -1, 0
	v_cndmask_b32_e64 v0, v2, v5, s2
	v_cmp_gt_i32_e64 s2, 32, v8
	s_abs_i32 s17, s6
	s_mov_b32 s20, s3
	s_mov_b32 s21, s3
	v_lshlrev_b32_e32 v27, 2, v0
	v_dual_cndmask_b32 v3, v2, v8, s2 :: v_dual_lshlrev_b32 v8, 4, v1
	s_mov_b32 s2, s6
	v_mul_lo_u32 v14, v6, s6
	s_delay_alu instid0(VALU_DEP_2)
	v_dual_mov_b32 v9, 0 :: v_dual_lshlrev_b32 v28, 2, v3
	s_mul_u64 s[14:15], s[2:3], s[2:3]
	s_cvt_f32_u32 s2, s17
	v_lshl_or_b32 v26, v6, 4, v25
	s_wait_kmcnt 0x0
	v_add_nc_u64_e32 v[10:11], s[18:19], v[8:9]
	v_mul_lo_u32 v8, s6, v1
	v_xor_b32_e32 v1, 8, v2
	v_xor_b32_e32 v0, 16, v2
	s_mov_b32 s22, s3
	s_mov_b32 s23, s3
	v_dual_mov_b32 v17, v9 :: v_dual_bitop2_b32 v35, 64, v26 bitop3:0x54
	s_delay_alu instid0(VALU_DEP_2) | instskip(SKIP_3) | instid1(VALU_DEP_4)
	v_cmp_gt_i32_e64 s1, 32, v0
	v_lshl_add_u32 v16, s6, 2, v14
	v_dual_mov_b32 v36, 1 :: v_dual_lshlrev_b32 v18, 4, v6
	v_lshl_add_u64 v[12:13], v[8:9], 4, s[18:19]
	v_dual_cndmask_b32 v0, v2, v0, s1 :: v_dual_bitop2_b32 v3, 4, v2 bitop3:0x14
	v_cmp_gt_i32_e64 s1, 32, v1
	v_dual_mov_b32 v15, v9 :: v_dual_mov_b32 v19, 0
	s_delay_alu instid0(VALU_DEP_3) | instskip(NEXT) | instid1(VALU_DEP_3)
	v_dual_lshlrev_b32 v30, 2, v0 :: v_dual_bitop2_b32 v0, 4, v6 bitop3:0x54
	v_cndmask_b32_e64 v1, v2, v1, s1
	v_cmp_gt_i32_e64 s1, 32, v3
	v_mov_b32_e32 v33, 0x7c
	s_delay_alu instid0(VALU_DEP_2) | instskip(SKIP_2) | instid1(VALU_DEP_2)
	v_dual_lshlrev_b32 v31, 2, v1 :: v_dual_cndmask_b32 v2, v2, v3, s1
	v_rcp_iflag_f32_e32 v3, s2
	v_cmp_gt_u32_e64 s1, s6, v6
	v_lshlrev_b32_e32 v32, 2, v2
	s_delay_alu instid0(TRANS32_DEP_1)
	v_readfirstlane_b32 s2, v3
	s_mul_f32 s18, s2, 0x4f7ffffe
	v_cmp_gt_u32_e64 s2, s6, v0
	v_mov_b64_e32 v[0:1], s[20:21]
	v_mov_b64_e32 v[2:3], s[22:23]
	s_cvt_u32_f32 s24, s18
	s_and_b32 s18, s1, vcc_lo
	s_sub_co_i32 s1, 0, s17
	s_and_b32 s19, vcc_lo, s2
	s_mul_i32 s1, s1, s24
	s_ashr_i32 s20, s6, 31
	s_mul_hi_u32 s1, s24, s1
	s_delay_alu instid0(SALU_CYCLE_1)
	s_add_co_i32 s2, s24, s1
	s_branch .LBB147_10
.LBB147_8:                              ;   in Loop: Header=BB147_10 Depth=1
	s_wait_xcnt 0x0
	s_or_b32 exec_lo, exec_lo, s22
	v_mov_b32_e32 v5, 1
.LBB147_9:                              ;   in Loop: Header=BB147_10 Depth=1
	s_or_b32 exec_lo, exec_lo, s1
	ds_bpermute_b32 v8, v30, v37
	s_wait_storecnt_dscnt 0x0
	v_dual_add_nc_u32 v4, v5, v4 :: v_dual_min_i32 v8, v8, v37
	ds_bpermute_b32 v19, v31, v8
	s_wait_dscnt 0x0
	v_min_i32_e32 v8, v19, v8
	ds_bpermute_b32 v19, v32, v8
	s_wait_dscnt 0x0
	v_min_i32_e32 v8, v19, v8
	;; [unrolled: 3-line block ×4, first 2 shown]
	ds_bpermute_b32 v19, v33, v8
	s_wait_dscnt 0x0
	v_cmp_le_i32_e32 vcc_lo, s5, v19
	s_or_b32 s21, vcc_lo, s21
	s_delay_alu instid0(SALU_CYCLE_1)
	s_and_not1_b32 exec_lo, exec_lo, s21
	s_cbranch_execz .LBB147_26
.LBB147_10:                             ; =>This Loop Header: Depth=1
                                        ;     Child Loop BB147_13 Depth 2
	v_dual_mov_b32 v37, s5 :: v_dual_add_nc_u32 v20, v34, v6
	v_mov_b32_e32 v21, v24
	s_mov_b32 s22, exec_lo
	ds_store_b8 v7, v9 offset:8192
	ds_store_b128 v26, v[0:3]
	ds_store_b128 v26, v[0:3] offset:64
	s_wait_dscnt 0x0
	v_cmpx_lt_i32_e64 v20, v24
	s_cbranch_execz .LBB147_18
; %bb.11:                               ;   in Loop: Header=BB147_10 Depth=1
	v_mul_lo_u32 v5, v19, s6
	v_dual_mov_b32 v37, s5 :: v_dual_mov_b32 v21, v24
	s_mov_b32 s23, 0
	s_branch .LBB147_13
.LBB147_12:                             ;   in Loop: Header=BB147_13 Depth=2
	s_wait_xcnt 0x0
	s_or_b32 exec_lo, exec_lo, s1
	v_add_nc_u32_e32 v20, 4, v20
	s_xor_b32 s24, vcc_lo, -1
	s_delay_alu instid0(VALU_DEP_1) | instskip(SKIP_1) | instid1(SALU_CYCLE_1)
	v_cmp_ge_i32_e64 s1, v20, v24
	s_or_b32 s1, s24, s1
	s_and_b32 s1, exec_lo, s1
	s_delay_alu instid0(SALU_CYCLE_1) | instskip(NEXT) | instid1(SALU_CYCLE_1)
	s_or_b32 s23, s1, s23
	s_and_not1_b32 exec_lo, exec_lo, s23
	s_cbranch_execz .LBB147_17
.LBB147_13:                             ;   Parent Loop BB147_10 Depth=1
                                        ; =>  This Inner Loop Header: Depth=2
	global_load_b32 v8, v20, s[10:11] scale_offset
	s_wait_loadcnt 0x0
	v_subrev_nc_u32_e32 v22, s7, v8
	s_delay_alu instid0(VALU_DEP_1) | instskip(NEXT) | instid1(VALU_DEP_1)
	v_sub_nc_u32_e32 v8, 0, v22
	v_max_i32_e32 v8, v22, v8
	s_delay_alu instid0(VALU_DEP_1) | instskip(SKIP_1) | instid1(VALU_DEP_1)
	v_mul_u64_e32 v[38:39], s[2:3], v[8:9]
	v_ashrrev_i32_e32 v38, 31, v22
	v_xor_b32_e32 v38, s20, v38
	s_delay_alu instid0(VALU_DEP_3) | instskip(NEXT) | instid1(VALU_DEP_1)
	v_mul_lo_u32 v23, v39, s17
	v_sub_nc_u32_e32 v8, v8, v23
	v_add_nc_u32_e32 v23, 1, v39
	s_delay_alu instid0(VALU_DEP_2) | instskip(SKIP_1) | instid1(VALU_DEP_2)
	v_subrev_nc_u32_e32 v34, s17, v8
	v_cmp_le_u32_e32 vcc_lo, s17, v8
	v_dual_cndmask_b32 v23, v39, v23 :: v_dual_cndmask_b32 v8, v8, v34
	s_delay_alu instid0(VALU_DEP_1) | instskip(NEXT) | instid1(VALU_DEP_2)
	v_add_nc_u32_e32 v34, 1, v23
	v_cmp_le_u32_e32 vcc_lo, s17, v8
	s_delay_alu instid0(VALU_DEP_2) | instskip(NEXT) | instid1(VALU_DEP_1)
	v_cndmask_b32_e32 v8, v23, v34, vcc_lo
	v_xor_b32_e32 v8, v8, v38
	s_delay_alu instid0(VALU_DEP_1) | instskip(NEXT) | instid1(VALU_DEP_1)
	v_dual_mov_b32 v8, v21 :: v_dual_sub_nc_u32 v23, v8, v38
	v_cmp_ne_u32_e64 s1, v23, v19
	v_cmp_eq_u32_e32 vcc_lo, v23, v19
	s_wait_xcnt 0x0
	s_and_saveexec_b32 s24, s1
	s_delay_alu instid0(SALU_CYCLE_1)
	s_xor_b32 s1, exec_lo, s24
; %bb.14:                               ;   in Loop: Header=BB147_13 Depth=2
	v_min_i32_e32 v37, v23, v37
                                        ; implicit-def: $vgpr22
                                        ; implicit-def: $vgpr8
; %bb.15:                               ;   in Loop: Header=BB147_13 Depth=2
	s_or_saveexec_b32 s1, s1
	v_mov_b32_e32 v21, v20
	s_xor_b32 exec_lo, exec_lo, s1
	s_cbranch_execz .LBB147_12
; %bb.16:                               ;   in Loop: Header=BB147_13 Depth=2
	v_ashrrev_i32_e32 v21, 31, v20
	s_delay_alu instid0(VALU_DEP_1)
	v_lshl_add_u64 v[38:39], v[20:21], 4, s[12:13]
	v_sub_nc_u32_e32 v21, v22, v5
	global_load_b128 v[38:41], v[38:39], off
	v_lshl_add_u32 v22, v21, 4, v25
	v_mov_b32_e32 v21, v8
	ds_store_b8 v7, v36 offset:8192
	s_wait_loadcnt 0x0
	ds_store_2addr_b64 v22, v[38:39], v[40:41] offset1:1
	s_branch .LBB147_12
.LBB147_17:                             ;   in Loop: Header=BB147_10 Depth=1
	s_or_b32 exec_lo, exec_lo, s23
.LBB147_18:                             ;   in Loop: Header=BB147_10 Depth=1
	s_delay_alu instid0(SALU_CYCLE_1)
	s_or_b32 exec_lo, exec_lo, s22
	ds_bpermute_b32 v5, v27, v21
	s_wait_dscnt 0x0
	ds_load_u8 v20, v7 offset:8192
	v_min_i32_e32 v5, v5, v21
	ds_bpermute_b32 v8, v28, v5
	s_wait_dscnt 0x0
	v_min_i32_e32 v5, v8, v5
	ds_bpermute_b32 v34, v29, v5
	v_and_b32_e32 v5, 1, v20
	s_delay_alu instid0(VALU_DEP_1)
	v_cmp_eq_u32_e32 vcc_lo, 1, v5
	v_mov_b32_e32 v5, 0
	s_and_saveexec_b32 s1, vcc_lo
	s_cbranch_execz .LBB147_9
; %bb.19:                               ;   in Loop: Header=BB147_10 Depth=1
	v_ashrrev_i32_e32 v5, 31, v4
	s_delay_alu instid0(VALU_DEP_1) | instskip(SKIP_3) | instid1(VALU_DEP_1)
	v_mul_u64_e32 v[20:21], s[14:15], v[4:5]
	v_add_nc_u32_e32 v5, s16, v19
	global_store_b32 v4, v5, s[8:9] scale_offset
	v_lshlrev_b64_e32 v[20:21], 4, v[20:21]
	v_add_nc_u64_e32 v[22:23], v[10:11], v[20:21]
	v_add_nc_u64_e32 v[20:21], v[12:13], v[20:21]
	s_wait_xcnt 0x0
	s_and_saveexec_b32 s22, s18
	s_cbranch_execz .LBB147_21
; %bb.20:                               ;   in Loop: Header=BB147_10 Depth=1
	ds_load_2addr_b64 v[38:41], v26 offset1:1
	v_lshl_add_u64 v[44:45], v[14:15], 4, v[22:23]
	v_mov_b32_e32 v19, v9
	s_delay_alu instid0(VALU_DEP_1) | instskip(NEXT) | instid1(VALU_DEP_1)
	v_add_nc_u64_e32 v[42:43], v[20:21], v[18:19]
	v_dual_cndmask_b32 v43, v45, v43, s0 :: v_dual_cndmask_b32 v42, v44, v42, s0
	s_wait_dscnt 0x0
	global_store_b128 v[42:43], v[38:41], off
.LBB147_21:                             ;   in Loop: Header=BB147_10 Depth=1
	s_wait_xcnt 0x0
	s_or_b32 exec_lo, exec_lo, s22
	s_and_saveexec_b32 s22, s19
	s_cbranch_execz .LBB147_8
; %bb.22:                               ;   in Loop: Header=BB147_10 Depth=1
	s_and_not1_b32 vcc_lo, exec_lo, s4
	s_mov_b32 s23, -1
	s_cbranch_vccnz .LBB147_24
; %bb.23:                               ;   in Loop: Header=BB147_10 Depth=1
	ds_load_2addr_b64 v[38:41], v35 offset1:1
	v_lshl_add_u64 v[22:23], v[16:17], 4, v[22:23]
	s_mov_b32 s23, 0
	s_wait_dscnt 0x0
	global_store_b128 v[22:23], v[38:41], off
.LBB147_24:                             ;   in Loop: Header=BB147_10 Depth=1
	s_and_not1_b32 vcc_lo, exec_lo, s23
	s_cbranch_vccnz .LBB147_8
; %bb.25:                               ;   in Loop: Header=BB147_10 Depth=1
	s_wait_xcnt 0x0
	ds_load_2addr_b64 v[38:41], v35 offset1:1
	v_mov_b32_e32 v19, v9
	s_delay_alu instid0(VALU_DEP_1)
	v_add_nc_u64_e32 v[20:21], v[20:21], v[18:19]
	s_wait_dscnt 0x0
	global_store_b128 v[20:21], v[38:41], off offset:64
	s_branch .LBB147_8
.LBB147_26:
	s_endpgm
	.section	.rodata,"a",@progbits
	.p2align	6, 0x0
	.amdhsa_kernel _ZN9rocsparseL42csr2bsr_wavefront_per_row_multipass_kernelILj256ELj32ELj8E21rocsparse_complex_numIdEiiEEv20rocsparse_direction_T4_S4_S4_S4_S4_21rocsparse_index_base_PKT2_PKT3_PKS4_S5_PS6_PS9_PS4_
		.amdhsa_group_segment_fixed_size 8200
		.amdhsa_private_segment_fixed_size 0
		.amdhsa_kernarg_size 88
		.amdhsa_user_sgpr_count 2
		.amdhsa_user_sgpr_dispatch_ptr 0
		.amdhsa_user_sgpr_queue_ptr 0
		.amdhsa_user_sgpr_kernarg_segment_ptr 1
		.amdhsa_user_sgpr_dispatch_id 0
		.amdhsa_user_sgpr_kernarg_preload_length 0
		.amdhsa_user_sgpr_kernarg_preload_offset 0
		.amdhsa_user_sgpr_private_segment_size 0
		.amdhsa_wavefront_size32 1
		.amdhsa_uses_dynamic_stack 0
		.amdhsa_enable_private_segment 0
		.amdhsa_system_sgpr_workgroup_id_x 1
		.amdhsa_system_sgpr_workgroup_id_y 0
		.amdhsa_system_sgpr_workgroup_id_z 0
		.amdhsa_system_sgpr_workgroup_info 0
		.amdhsa_system_vgpr_workitem_id 0
		.amdhsa_next_free_vgpr 46
		.amdhsa_next_free_sgpr 25
		.amdhsa_named_barrier_count 0
		.amdhsa_reserve_vcc 1
		.amdhsa_float_round_mode_32 0
		.amdhsa_float_round_mode_16_64 0
		.amdhsa_float_denorm_mode_32 3
		.amdhsa_float_denorm_mode_16_64 3
		.amdhsa_fp16_overflow 0
		.amdhsa_memory_ordered 1
		.amdhsa_forward_progress 1
		.amdhsa_inst_pref_size 13
		.amdhsa_round_robin_scheduling 0
		.amdhsa_exception_fp_ieee_invalid_op 0
		.amdhsa_exception_fp_denorm_src 0
		.amdhsa_exception_fp_ieee_div_zero 0
		.amdhsa_exception_fp_ieee_overflow 0
		.amdhsa_exception_fp_ieee_underflow 0
		.amdhsa_exception_fp_ieee_inexact 0
		.amdhsa_exception_int_div_zero 0
	.end_amdhsa_kernel
	.section	.text._ZN9rocsparseL42csr2bsr_wavefront_per_row_multipass_kernelILj256ELj32ELj8E21rocsparse_complex_numIdEiiEEv20rocsparse_direction_T4_S4_S4_S4_S4_21rocsparse_index_base_PKT2_PKT3_PKS4_S5_PS6_PS9_PS4_,"axG",@progbits,_ZN9rocsparseL42csr2bsr_wavefront_per_row_multipass_kernelILj256ELj32ELj8E21rocsparse_complex_numIdEiiEEv20rocsparse_direction_T4_S4_S4_S4_S4_21rocsparse_index_base_PKT2_PKT3_PKS4_S5_PS6_PS9_PS4_,comdat
.Lfunc_end147:
	.size	_ZN9rocsparseL42csr2bsr_wavefront_per_row_multipass_kernelILj256ELj32ELj8E21rocsparse_complex_numIdEiiEEv20rocsparse_direction_T4_S4_S4_S4_S4_21rocsparse_index_base_PKT2_PKT3_PKS4_S5_PS6_PS9_PS4_, .Lfunc_end147-_ZN9rocsparseL42csr2bsr_wavefront_per_row_multipass_kernelILj256ELj32ELj8E21rocsparse_complex_numIdEiiEEv20rocsparse_direction_T4_S4_S4_S4_S4_21rocsparse_index_base_PKT2_PKT3_PKS4_S5_PS6_PS9_PS4_
                                        ; -- End function
	.set _ZN9rocsparseL42csr2bsr_wavefront_per_row_multipass_kernelILj256ELj32ELj8E21rocsparse_complex_numIdEiiEEv20rocsparse_direction_T4_S4_S4_S4_S4_21rocsparse_index_base_PKT2_PKT3_PKS4_S5_PS6_PS9_PS4_.num_vgpr, 46
	.set _ZN9rocsparseL42csr2bsr_wavefront_per_row_multipass_kernelILj256ELj32ELj8E21rocsparse_complex_numIdEiiEEv20rocsparse_direction_T4_S4_S4_S4_S4_21rocsparse_index_base_PKT2_PKT3_PKS4_S5_PS6_PS9_PS4_.num_agpr, 0
	.set _ZN9rocsparseL42csr2bsr_wavefront_per_row_multipass_kernelILj256ELj32ELj8E21rocsparse_complex_numIdEiiEEv20rocsparse_direction_T4_S4_S4_S4_S4_21rocsparse_index_base_PKT2_PKT3_PKS4_S5_PS6_PS9_PS4_.numbered_sgpr, 25
	.set _ZN9rocsparseL42csr2bsr_wavefront_per_row_multipass_kernelILj256ELj32ELj8E21rocsparse_complex_numIdEiiEEv20rocsparse_direction_T4_S4_S4_S4_S4_21rocsparse_index_base_PKT2_PKT3_PKS4_S5_PS6_PS9_PS4_.num_named_barrier, 0
	.set _ZN9rocsparseL42csr2bsr_wavefront_per_row_multipass_kernelILj256ELj32ELj8E21rocsparse_complex_numIdEiiEEv20rocsparse_direction_T4_S4_S4_S4_S4_21rocsparse_index_base_PKT2_PKT3_PKS4_S5_PS6_PS9_PS4_.private_seg_size, 0
	.set _ZN9rocsparseL42csr2bsr_wavefront_per_row_multipass_kernelILj256ELj32ELj8E21rocsparse_complex_numIdEiiEEv20rocsparse_direction_T4_S4_S4_S4_S4_21rocsparse_index_base_PKT2_PKT3_PKS4_S5_PS6_PS9_PS4_.uses_vcc, 1
	.set _ZN9rocsparseL42csr2bsr_wavefront_per_row_multipass_kernelILj256ELj32ELj8E21rocsparse_complex_numIdEiiEEv20rocsparse_direction_T4_S4_S4_S4_S4_21rocsparse_index_base_PKT2_PKT3_PKS4_S5_PS6_PS9_PS4_.uses_flat_scratch, 0
	.set _ZN9rocsparseL42csr2bsr_wavefront_per_row_multipass_kernelILj256ELj32ELj8E21rocsparse_complex_numIdEiiEEv20rocsparse_direction_T4_S4_S4_S4_S4_21rocsparse_index_base_PKT2_PKT3_PKS4_S5_PS6_PS9_PS4_.has_dyn_sized_stack, 0
	.set _ZN9rocsparseL42csr2bsr_wavefront_per_row_multipass_kernelILj256ELj32ELj8E21rocsparse_complex_numIdEiiEEv20rocsparse_direction_T4_S4_S4_S4_S4_21rocsparse_index_base_PKT2_PKT3_PKS4_S5_PS6_PS9_PS4_.has_recursion, 0
	.set _ZN9rocsparseL42csr2bsr_wavefront_per_row_multipass_kernelILj256ELj32ELj8E21rocsparse_complex_numIdEiiEEv20rocsparse_direction_T4_S4_S4_S4_S4_21rocsparse_index_base_PKT2_PKT3_PKS4_S5_PS6_PS9_PS4_.has_indirect_call, 0
	.section	.AMDGPU.csdata,"",@progbits
; Kernel info:
; codeLenInByte = 1540
; TotalNumSgprs: 27
; NumVgprs: 46
; ScratchSize: 0
; MemoryBound: 0
; FloatMode: 240
; IeeeMode: 1
; LDSByteSize: 8200 bytes/workgroup (compile time only)
; SGPRBlocks: 0
; VGPRBlocks: 2
; NumSGPRsForWavesPerEU: 27
; NumVGPRsForWavesPerEU: 46
; NamedBarCnt: 0
; Occupancy: 16
; WaveLimiterHint : 0
; COMPUTE_PGM_RSRC2:SCRATCH_EN: 0
; COMPUTE_PGM_RSRC2:USER_SGPR: 2
; COMPUTE_PGM_RSRC2:TRAP_HANDLER: 0
; COMPUTE_PGM_RSRC2:TGID_X_EN: 1
; COMPUTE_PGM_RSRC2:TGID_Y_EN: 0
; COMPUTE_PGM_RSRC2:TGID_Z_EN: 0
; COMPUTE_PGM_RSRC2:TIDIG_COMP_CNT: 0
	.section	.text._ZN9rocsparseL42csr2bsr_wavefront_per_row_multipass_kernelILj256ELj64ELj16E21rocsparse_complex_numIdEiiEEv20rocsparse_direction_T4_S4_S4_S4_S4_21rocsparse_index_base_PKT2_PKT3_PKS4_S5_PS6_PS9_PS4_,"axG",@progbits,_ZN9rocsparseL42csr2bsr_wavefront_per_row_multipass_kernelILj256ELj64ELj16E21rocsparse_complex_numIdEiiEEv20rocsparse_direction_T4_S4_S4_S4_S4_21rocsparse_index_base_PKT2_PKT3_PKS4_S5_PS6_PS9_PS4_,comdat
	.globl	_ZN9rocsparseL42csr2bsr_wavefront_per_row_multipass_kernelILj256ELj64ELj16E21rocsparse_complex_numIdEiiEEv20rocsparse_direction_T4_S4_S4_S4_S4_21rocsparse_index_base_PKT2_PKT3_PKS4_S5_PS6_PS9_PS4_ ; -- Begin function _ZN9rocsparseL42csr2bsr_wavefront_per_row_multipass_kernelILj256ELj64ELj16E21rocsparse_complex_numIdEiiEEv20rocsparse_direction_T4_S4_S4_S4_S4_21rocsparse_index_base_PKT2_PKT3_PKS4_S5_PS6_PS9_PS4_
	.p2align	8
	.type	_ZN9rocsparseL42csr2bsr_wavefront_per_row_multipass_kernelILj256ELj64ELj16E21rocsparse_complex_numIdEiiEEv20rocsparse_direction_T4_S4_S4_S4_S4_21rocsparse_index_base_PKT2_PKT3_PKS4_S5_PS6_PS9_PS4_,@function
_ZN9rocsparseL42csr2bsr_wavefront_per_row_multipass_kernelILj256ELj64ELj16E21rocsparse_complex_numIdEiiEEv20rocsparse_direction_T4_S4_S4_S4_S4_21rocsparse_index_base_PKT2_PKT3_PKS4_S5_PS6_PS9_PS4_: ; @_ZN9rocsparseL42csr2bsr_wavefront_per_row_multipass_kernelILj256ELj64ELj16E21rocsparse_complex_numIdEiiEEv20rocsparse_direction_T4_S4_S4_S4_S4_21rocsparse_index_base_PKT2_PKT3_PKS4_S5_PS6_PS9_PS4_
; %bb.0:
	s_clause 0x1
	s_load_b128 s[4:7], s[0:1], 0xc
	s_load_b64 s[14:15], s[0:1], 0x0
	s_bfe_u32 s2, ttmp6, 0x4000c
	s_and_b32 s3, ttmp6, 15
	s_add_co_i32 s2, s2, 1
	s_getreg_b32 s8, hwreg(HW_REG_IB_STS2, 6, 4)
	s_mul_i32 s2, ttmp9, s2
	v_dual_mov_b32 v4, 0 :: v_dual_lshrrev_b32 v7, 6, v0
	s_add_co_i32 s3, s3, s2
	s_cmp_eq_u32 s8, 0
	v_bfe_u32 v1, v0, 2, 4
	s_cselect_b32 s2, ttmp9, s3
	s_load_b64 s[8:9], s[0:1], 0x28
	v_lshl_or_b32 v2, s2, 2, v7
	v_mov_b32_e32 v42, 0
	s_wait_kmcnt 0x0
	s_delay_alu instid0(VALU_DEP_2) | instskip(SKIP_1) | instid1(VALU_DEP_2)
	v_mad_u32 v3, v2, s6, v1
	v_cmp_gt_i32_e32 vcc_lo, s6, v1
	v_cmp_gt_i32_e64 s2, s15, v3
	s_and_b32 s2, vcc_lo, s2
	s_delay_alu instid0(SALU_CYCLE_1)
	s_and_saveexec_b32 s3, s2
	s_cbranch_execz .LBB148_2
; %bb.1:
	global_load_b32 v5, v3, s[8:9] scale_offset
	s_wait_loadcnt 0x0
	v_subrev_nc_u32_e32 v42, s7, v5
.LBB148_2:
	s_or_b32 exec_lo, exec_lo, s3
	v_mov_b32_e32 v28, 0
	s_and_saveexec_b32 s3, s2
	s_cbranch_execz .LBB148_4
; %bb.3:
	global_load_b32 v3, v3, s[8:9] offset:4 scale_offset
	s_wait_loadcnt 0x0
	v_subrev_nc_u32_e32 v28, s7, v3
.LBB148_4:
	s_or_b32 exec_lo, exec_lo, s3
	s_load_b32 s18, s[0:1], 0x38
	s_mov_b32 s3, exec_lo
	v_cmpx_gt_i32_e64 s4, v2
	s_cbranch_execz .LBB148_6
; %bb.5:
	s_load_b64 s[8:9], s[0:1], 0x48
	s_wait_kmcnt 0x0
	global_load_b32 v2, v2, s[8:9] scale_offset
	s_wait_loadcnt 0x0
	v_subrev_nc_u32_e32 v4, s18, v2
.LBB148_6:
	s_or_b32 exec_lo, exec_lo, s3
	s_cmp_lt_i32 s5, 1
	s_cbranch_scc1 .LBB148_36
; %bb.7:
	v_mbcnt_lo_u32_b32 v2, -1, 0
	v_lshlrev_b32_e32 v3, 8, v1
	s_load_b64 s[20:21], s[0:1], 0x40
	v_and_b32_e32 v6, 3, v0
	s_clause 0x2
	s_load_b64 s[8:9], s[0:1], 0x50
	s_load_b64 s[10:11], s[0:1], 0x30
	;; [unrolled: 1-line block ×3, first 2 shown]
	v_xor_b32_e32 v5, 2, v2
	v_lshl_or_b32 v29, v7, 12, v3
	s_cmp_eq_u32 s14, 0
	s_mov_b32 s15, 0
	s_wait_xcnt 0x0
	s_cselect_b32 s0, -1, 0
	v_cmp_gt_i32_e64 s2, 32, v5
	v_xor_b32_e32 v8, 1, v2
	s_cmp_lg_u32 s14, 0
	s_mov_b32 s14, s6
	s_cselect_b32 s19, -1, 0
	v_cndmask_b32_e64 v0, v2, v5, s2
	v_cmp_gt_i32_e64 s2, 32, v8
	v_xor_b32_e32 v5, 4, v2
	s_mul_u64 s[16:17], s[14:15], s[14:15]
	s_lshl_b32 s14, s6, 2
	v_lshlrev_b32_e32 v31, 2, v0
	v_dual_cndmask_b32 v3, v2, v8, s2 :: v_dual_lshlrev_b32 v8, 4, v1
	v_mul_lo_u32 v14, v6, s6
	v_lshl_or_b32 v33, v2, 2, 12
	s_delay_alu instid0(VALU_DEP_3)
	v_dual_mov_b32 v9, 0 :: v_dual_lshlrev_b32 v32, 2, v3
	v_xor_b32_e32 v3, 8, v2
	v_lshl_or_b32 v30, v6, 4, v29
	s_mov_b32 s24, s15
	s_wait_kmcnt 0x0
	v_add_nc_u64_e32 v[10:11], s[20:21], v[8:9]
	v_mul_lo_u32 v8, s6, v1
	v_xor_b32_e32 v1, 16, v2
	v_or_b32_e32 v0, 32, v2
	v_dual_mov_b32 v19, v9 :: v_dual_add_nc_u32 v16, s14, v14
	s_mov_b32 s25, s15
	s_mov_b32 s26, s15
	s_delay_alu instid0(VALU_DEP_2)
	v_cmp_gt_i32_e64 s1, 32, v0
	s_mov_b32 s27, s15
	v_bfrev_b32_e32 v38, 0.5
	v_dual_mov_b32 v15, v9 :: v_dual_bitop2_b32 v39, 64, v30 bitop3:0x54
	v_cndmask_b32_e64 v0, v2, v0, s1
	v_cmp_gt_i32_e64 s1, 32, v1
	v_lshl_add_u64 v[12:13], v[8:9], 4, s[20:21]
	s_abs_i32 s20, s6
	v_mov_b32_e32 v17, v9
	s_cvt_f32_u32 s2, s20
	v_cndmask_b32_e64 v1, v2, v1, s1
	v_cmp_gt_i32_e64 s1, 32, v3
	v_dual_lshlrev_b32 v34, 2, v0 :: v_dual_bitop2_b32 v0, 4, v6 bitop3:0x54
	s_delay_alu instid0(VALU_DEP_3) | instskip(SKIP_1) | instid1(VALU_DEP_3)
	v_dual_add_nc_u32 v18, s14, v16 :: v_dual_lshlrev_b32 v35, 2, v1
	v_rcp_iflag_f32_e32 v1, s2
	v_cndmask_b32_e64 v3, v2, v3, s1
	v_cmp_gt_i32_e64 s1, 32, v5
	v_cmp_gt_u32_e64 s2, s6, v0
	v_or_b32_e32 v0, 8, v6
	v_dual_mov_b32 v43, 1 :: v_dual_add_nc_u32 v20, s14, v18
	s_delay_alu instid0(TRANS32_DEP_1)
	v_readfirstlane_b32 s21, v1
	v_cndmask_b32_e64 v2, v2, v5, s1
	v_cmp_gt_u32_e64 s1, s6, v6
	v_lshlrev_b32_e32 v36, 2, v3
	v_cmp_gt_u32_e64 s3, s6, v0
	s_mul_f32 s14, s21, 0x4f7ffffe
	v_lshlrev_b32_e32 v37, 2, v2
	v_dual_mov_b32 v21, v9 :: v_dual_bitop2_b32 v2, 12, v6 bitop3:0x54
	s_and_b32 s21, s1, vcc_lo
	s_cvt_u32_f32 s1, s14
	s_sub_co_i32 s14, 0, s20
	s_delay_alu instid0(VALU_DEP_1)
	v_cmp_gt_u32_e64 s4, s6, v2
	v_mov_b64_e32 v[0:1], s[24:25]
	v_mov_b64_e32 v[2:3], s[26:27]
	s_mul_i32 s14, s14, s1
	v_or_b32_e32 v40, 0x80, v30
	v_or_b32_e32 v41, 0xc0, v30
	v_dual_mov_b32 v23, 0 :: v_dual_lshlrev_b32 v22, 4, v6
	s_mul_hi_u32 s14, s1, s14
	s_and_b32 s2, vcc_lo, s2
	s_and_b32 s3, vcc_lo, s3
	;; [unrolled: 1-line block ×3, first 2 shown]
	s_ashr_i32 s22, s6, 31
	s_add_co_i32 s14, s1, s14
	s_mov_b32 s23, s15
	s_branch .LBB148_10
.LBB148_8:                              ;   in Loop: Header=BB148_10 Depth=1
	s_wait_xcnt 0x0
	s_or_b32 exec_lo, exec_lo, s24
	v_mov_b32_e32 v5, 1
.LBB148_9:                              ;   in Loop: Header=BB148_10 Depth=1
	s_or_b32 exec_lo, exec_lo, s1
	ds_bpermute_b32 v8, v34, v44
	v_add_nc_u32_e32 v4, v5, v4
	s_wait_storecnt_dscnt 0x0
	v_min_i32_e32 v8, v8, v44
	ds_bpermute_b32 v23, v35, v8
	s_wait_dscnt 0x0
	v_min_i32_e32 v8, v23, v8
	ds_bpermute_b32 v23, v36, v8
	s_wait_dscnt 0x0
	;; [unrolled: 3-line block ×6, first 2 shown]
	v_cmp_le_i32_e32 vcc_lo, s5, v23
	s_or_b32 s23, vcc_lo, s23
	s_delay_alu instid0(SALU_CYCLE_1)
	s_and_not1_b32 exec_lo, exec_lo, s23
	s_cbranch_execz .LBB148_36
.LBB148_10:                             ; =>This Loop Header: Depth=1
                                        ;     Child Loop BB148_13 Depth 2
	v_dual_add_nc_u32 v24, v42, v6 :: v_dual_mov_b32 v44, s5
	v_mov_b32_e32 v25, v28
	s_mov_b32 s24, exec_lo
	ds_store_b8 v7, v9 offset:16384
	ds_store_b128 v30, v[0:3]
	ds_store_b128 v30, v[0:3] offset:64
	ds_store_b128 v30, v[0:3] offset:128
	;; [unrolled: 1-line block ×3, first 2 shown]
	s_wait_dscnt 0x0
	v_cmpx_lt_i32_e64 v24, v28
	s_cbranch_execz .LBB148_18
; %bb.11:                               ;   in Loop: Header=BB148_10 Depth=1
	v_mul_lo_u32 v5, v23, s6
	v_dual_mov_b32 v44, s5 :: v_dual_mov_b32 v25, v28
	s_mov_b32 s25, 0
	s_branch .LBB148_13
.LBB148_12:                             ;   in Loop: Header=BB148_13 Depth=2
	s_wait_xcnt 0x0
	s_or_b32 exec_lo, exec_lo, s1
	v_add_nc_u32_e32 v24, 4, v24
	s_xor_b32 s26, vcc_lo, -1
	s_delay_alu instid0(VALU_DEP_1) | instskip(SKIP_1) | instid1(SALU_CYCLE_1)
	v_cmp_ge_i32_e64 s1, v24, v28
	s_or_b32 s1, s26, s1
	s_and_b32 s1, exec_lo, s1
	s_delay_alu instid0(SALU_CYCLE_1) | instskip(NEXT) | instid1(SALU_CYCLE_1)
	s_or_b32 s25, s1, s25
	s_and_not1_b32 exec_lo, exec_lo, s25
	s_cbranch_execz .LBB148_17
.LBB148_13:                             ;   Parent Loop BB148_10 Depth=1
                                        ; =>  This Inner Loop Header: Depth=2
	global_load_b32 v8, v24, s[10:11] scale_offset
	s_wait_loadcnt 0x0
	v_subrev_nc_u32_e32 v26, s7, v8
	s_delay_alu instid0(VALU_DEP_1) | instskip(NEXT) | instid1(VALU_DEP_1)
	v_dual_sub_nc_u32 v8, 0, v26 :: v_dual_ashrrev_i32 v45, 31, v26
	v_max_i32_e32 v8, v26, v8
	s_delay_alu instid0(VALU_DEP_1) | instskip(NEXT) | instid1(VALU_DEP_1)
	v_mul_u64_e32 v[46:47], s[14:15], v[8:9]
	v_mul_lo_u32 v27, v47, s20
	s_delay_alu instid0(VALU_DEP_1) | instskip(SKIP_1) | instid1(VALU_DEP_2)
	v_sub_nc_u32_e32 v8, v8, v27
	v_add_nc_u32_e32 v27, 1, v47
	v_subrev_nc_u32_e32 v42, s20, v8
	v_cmp_le_u32_e32 vcc_lo, s20, v8
	s_delay_alu instid0(VALU_DEP_2) | instskip(NEXT) | instid1(VALU_DEP_1)
	v_dual_cndmask_b32 v27, v47, v27 :: v_dual_cndmask_b32 v8, v8, v42
	v_add_nc_u32_e32 v42, 1, v27
	s_delay_alu instid0(VALU_DEP_2) | instskip(NEXT) | instid1(VALU_DEP_2)
	v_cmp_le_u32_e32 vcc_lo, s20, v8
	v_dual_cndmask_b32 v8, v27, v42, vcc_lo :: v_dual_bitop2_b32 v45, s22, v45 bitop3:0x14
	s_delay_alu instid0(VALU_DEP_1) | instskip(NEXT) | instid1(VALU_DEP_1)
	v_xor_b32_e32 v8, v8, v45
	v_dual_mov_b32 v8, v25 :: v_dual_sub_nc_u32 v27, v8, v45
	s_delay_alu instid0(VALU_DEP_1) | instskip(SKIP_3) | instid1(SALU_CYCLE_1)
	v_cmp_ne_u32_e64 s1, v27, v23
	v_cmp_eq_u32_e32 vcc_lo, v27, v23
	s_wait_xcnt 0x0
	s_and_saveexec_b32 s26, s1
	s_xor_b32 s1, exec_lo, s26
; %bb.14:                               ;   in Loop: Header=BB148_13 Depth=2
	v_min_i32_e32 v44, v27, v44
                                        ; implicit-def: $vgpr26
                                        ; implicit-def: $vgpr8
; %bb.15:                               ;   in Loop: Header=BB148_13 Depth=2
	s_or_saveexec_b32 s1, s1
	v_mov_b32_e32 v25, v24
	s_xor_b32 exec_lo, exec_lo, s1
	s_cbranch_execz .LBB148_12
; %bb.16:                               ;   in Loop: Header=BB148_13 Depth=2
	v_ashrrev_i32_e32 v25, 31, v24
	s_delay_alu instid0(VALU_DEP_1)
	v_lshl_add_u64 v[46:47], v[24:25], 4, s[12:13]
	v_sub_nc_u32_e32 v25, v26, v5
	global_load_b128 v[46:49], v[46:47], off
	v_lshl_add_u32 v26, v25, 4, v29
	v_mov_b32_e32 v25, v8
	ds_store_b8 v7, v43 offset:16384
	s_wait_loadcnt 0x0
	ds_store_2addr_b64 v26, v[46:47], v[48:49] offset1:1
	s_branch .LBB148_12
.LBB148_17:                             ;   in Loop: Header=BB148_10 Depth=1
	s_or_b32 exec_lo, exec_lo, s25
.LBB148_18:                             ;   in Loop: Header=BB148_10 Depth=1
	s_delay_alu instid0(SALU_CYCLE_1)
	s_or_b32 exec_lo, exec_lo, s24
	ds_bpermute_b32 v5, v31, v25
	s_wait_dscnt 0x0
	ds_load_u8 v24, v7 offset:16384
	v_min_i32_e32 v5, v5, v25
	ds_bpermute_b32 v8, v32, v5
	s_wait_dscnt 0x0
	v_min_i32_e32 v5, v8, v5
	ds_bpermute_b32 v42, v33, v5
	v_and_b32_e32 v5, 1, v24
	s_delay_alu instid0(VALU_DEP_1)
	v_cmp_eq_u32_e32 vcc_lo, 1, v5
	v_mov_b32_e32 v5, 0
	s_and_saveexec_b32 s1, vcc_lo
	s_cbranch_execz .LBB148_9
; %bb.19:                               ;   in Loop: Header=BB148_10 Depth=1
	v_ashrrev_i32_e32 v5, 31, v4
	s_delay_alu instid0(VALU_DEP_1) | instskip(SKIP_3) | instid1(VALU_DEP_1)
	v_mul_u64_e32 v[24:25], s[16:17], v[4:5]
	v_add_nc_u32_e32 v5, s18, v23
	global_store_b32 v4, v5, s[8:9] scale_offset
	v_lshlrev_b64_e32 v[24:25], 4, v[24:25]
	v_add_nc_u64_e32 v[26:27], v[10:11], v[24:25]
	v_add_nc_u64_e32 v[24:25], v[12:13], v[24:25]
	s_wait_xcnt 0x0
	s_and_saveexec_b32 s24, s21
	s_cbranch_execz .LBB148_21
; %bb.20:                               ;   in Loop: Header=BB148_10 Depth=1
	ds_load_2addr_b64 v[46:49], v30 offset1:1
	v_lshl_add_u64 v[52:53], v[14:15], 4, v[26:27]
	v_mov_b32_e32 v23, v9
	s_delay_alu instid0(VALU_DEP_1) | instskip(NEXT) | instid1(VALU_DEP_1)
	v_add_nc_u64_e32 v[50:51], v[24:25], v[22:23]
	v_dual_cndmask_b32 v51, v53, v51, s0 :: v_dual_cndmask_b32 v50, v52, v50, s0
	s_wait_dscnt 0x0
	global_store_b128 v[50:51], v[46:49], off
.LBB148_21:                             ;   in Loop: Header=BB148_10 Depth=1
	s_wait_xcnt 0x0
	s_or_b32 exec_lo, exec_lo, s24
	s_and_saveexec_b32 s24, s2
	s_cbranch_execz .LBB148_26
; %bb.22:                               ;   in Loop: Header=BB148_10 Depth=1
	s_and_not1_b32 vcc_lo, exec_lo, s19
	s_mov_b32 s25, -1
	s_cbranch_vccnz .LBB148_24
; %bb.23:                               ;   in Loop: Header=BB148_10 Depth=1
	ds_load_2addr_b64 v[46:49], v39 offset1:1
	v_lshl_add_u64 v[50:51], v[16:17], 4, v[26:27]
	s_mov_b32 s25, 0
	s_wait_dscnt 0x0
	global_store_b128 v[50:51], v[46:49], off
.LBB148_24:                             ;   in Loop: Header=BB148_10 Depth=1
	s_and_not1_b32 vcc_lo, exec_lo, s25
	s_cbranch_vccnz .LBB148_26
; %bb.25:                               ;   in Loop: Header=BB148_10 Depth=1
	s_wait_xcnt 0x0
	ds_load_2addr_b64 v[46:49], v39 offset1:1
	v_mov_b32_e32 v23, v9
	s_delay_alu instid0(VALU_DEP_1)
	v_add_nc_u64_e32 v[50:51], v[24:25], v[22:23]
	s_wait_dscnt 0x0
	global_store_b128 v[50:51], v[46:49], off offset:64
.LBB148_26:                             ;   in Loop: Header=BB148_10 Depth=1
	s_wait_xcnt 0x0
	s_or_b32 exec_lo, exec_lo, s24
	s_and_saveexec_b32 s24, s3
	s_cbranch_execz .LBB148_31
; %bb.27:                               ;   in Loop: Header=BB148_10 Depth=1
	s_and_not1_b32 vcc_lo, exec_lo, s19
	s_mov_b32 s25, -1
	s_cbranch_vccnz .LBB148_29
; %bb.28:                               ;   in Loop: Header=BB148_10 Depth=1
	ds_load_2addr_b64 v[46:49], v40 offset1:1
	v_lshl_add_u64 v[50:51], v[18:19], 4, v[26:27]
	s_mov_b32 s25, 0
	s_wait_dscnt 0x0
	global_store_b128 v[50:51], v[46:49], off
.LBB148_29:                             ;   in Loop: Header=BB148_10 Depth=1
	s_and_not1_b32 vcc_lo, exec_lo, s25
	s_cbranch_vccnz .LBB148_31
; %bb.30:                               ;   in Loop: Header=BB148_10 Depth=1
	s_wait_xcnt 0x0
	ds_load_2addr_b64 v[46:49], v40 offset1:1
	v_mov_b32_e32 v23, v9
	s_delay_alu instid0(VALU_DEP_1)
	v_add_nc_u64_e32 v[50:51], v[24:25], v[22:23]
	s_wait_dscnt 0x0
	global_store_b128 v[50:51], v[46:49], off offset:128
.LBB148_31:                             ;   in Loop: Header=BB148_10 Depth=1
	s_wait_xcnt 0x0
	s_or_b32 exec_lo, exec_lo, s24
	s_and_saveexec_b32 s24, s4
	s_cbranch_execz .LBB148_8
; %bb.32:                               ;   in Loop: Header=BB148_10 Depth=1
	s_and_not1_b32 vcc_lo, exec_lo, s19
	s_mov_b32 s25, -1
	s_cbranch_vccnz .LBB148_34
; %bb.33:                               ;   in Loop: Header=BB148_10 Depth=1
	ds_load_2addr_b64 v[46:49], v41 offset1:1
	v_lshl_add_u64 v[26:27], v[20:21], 4, v[26:27]
	s_mov_b32 s25, 0
	s_wait_dscnt 0x0
	global_store_b128 v[26:27], v[46:49], off
.LBB148_34:                             ;   in Loop: Header=BB148_10 Depth=1
	s_and_not1_b32 vcc_lo, exec_lo, s25
	s_cbranch_vccnz .LBB148_8
; %bb.35:                               ;   in Loop: Header=BB148_10 Depth=1
	s_wait_xcnt 0x0
	ds_load_2addr_b64 v[46:49], v41 offset1:1
	v_mov_b32_e32 v23, v9
	s_delay_alu instid0(VALU_DEP_1)
	v_add_nc_u64_e32 v[24:25], v[24:25], v[22:23]
	s_wait_dscnt 0x0
	global_store_b128 v[24:25], v[46:49], off offset:192
	s_branch .LBB148_8
.LBB148_36:
	s_endpgm
	.section	.rodata,"a",@progbits
	.p2align	6, 0x0
	.amdhsa_kernel _ZN9rocsparseL42csr2bsr_wavefront_per_row_multipass_kernelILj256ELj64ELj16E21rocsparse_complex_numIdEiiEEv20rocsparse_direction_T4_S4_S4_S4_S4_21rocsparse_index_base_PKT2_PKT3_PKS4_S5_PS6_PS9_PS4_
		.amdhsa_group_segment_fixed_size 16392
		.amdhsa_private_segment_fixed_size 0
		.amdhsa_kernarg_size 88
		.amdhsa_user_sgpr_count 2
		.amdhsa_user_sgpr_dispatch_ptr 0
		.amdhsa_user_sgpr_queue_ptr 0
		.amdhsa_user_sgpr_kernarg_segment_ptr 1
		.amdhsa_user_sgpr_dispatch_id 0
		.amdhsa_user_sgpr_kernarg_preload_length 0
		.amdhsa_user_sgpr_kernarg_preload_offset 0
		.amdhsa_user_sgpr_private_segment_size 0
		.amdhsa_wavefront_size32 1
		.amdhsa_uses_dynamic_stack 0
		.amdhsa_enable_private_segment 0
		.amdhsa_system_sgpr_workgroup_id_x 1
		.amdhsa_system_sgpr_workgroup_id_y 0
		.amdhsa_system_sgpr_workgroup_id_z 0
		.amdhsa_system_sgpr_workgroup_info 0
		.amdhsa_system_vgpr_workitem_id 0
		.amdhsa_next_free_vgpr 54
		.amdhsa_next_free_sgpr 28
		.amdhsa_named_barrier_count 0
		.amdhsa_reserve_vcc 1
		.amdhsa_float_round_mode_32 0
		.amdhsa_float_round_mode_16_64 0
		.amdhsa_float_denorm_mode_32 3
		.amdhsa_float_denorm_mode_16_64 3
		.amdhsa_fp16_overflow 0
		.amdhsa_memory_ordered 1
		.amdhsa_forward_progress 1
		.amdhsa_inst_pref_size 15
		.amdhsa_round_robin_scheduling 0
		.amdhsa_exception_fp_ieee_invalid_op 0
		.amdhsa_exception_fp_denorm_src 0
		.amdhsa_exception_fp_ieee_div_zero 0
		.amdhsa_exception_fp_ieee_overflow 0
		.amdhsa_exception_fp_ieee_underflow 0
		.amdhsa_exception_fp_ieee_inexact 0
		.amdhsa_exception_int_div_zero 0
	.end_amdhsa_kernel
	.section	.text._ZN9rocsparseL42csr2bsr_wavefront_per_row_multipass_kernelILj256ELj64ELj16E21rocsparse_complex_numIdEiiEEv20rocsparse_direction_T4_S4_S4_S4_S4_21rocsparse_index_base_PKT2_PKT3_PKS4_S5_PS6_PS9_PS4_,"axG",@progbits,_ZN9rocsparseL42csr2bsr_wavefront_per_row_multipass_kernelILj256ELj64ELj16E21rocsparse_complex_numIdEiiEEv20rocsparse_direction_T4_S4_S4_S4_S4_21rocsparse_index_base_PKT2_PKT3_PKS4_S5_PS6_PS9_PS4_,comdat
.Lfunc_end148:
	.size	_ZN9rocsparseL42csr2bsr_wavefront_per_row_multipass_kernelILj256ELj64ELj16E21rocsparse_complex_numIdEiiEEv20rocsparse_direction_T4_S4_S4_S4_S4_21rocsparse_index_base_PKT2_PKT3_PKS4_S5_PS6_PS9_PS4_, .Lfunc_end148-_ZN9rocsparseL42csr2bsr_wavefront_per_row_multipass_kernelILj256ELj64ELj16E21rocsparse_complex_numIdEiiEEv20rocsparse_direction_T4_S4_S4_S4_S4_21rocsparse_index_base_PKT2_PKT3_PKS4_S5_PS6_PS9_PS4_
                                        ; -- End function
	.set _ZN9rocsparseL42csr2bsr_wavefront_per_row_multipass_kernelILj256ELj64ELj16E21rocsparse_complex_numIdEiiEEv20rocsparse_direction_T4_S4_S4_S4_S4_21rocsparse_index_base_PKT2_PKT3_PKS4_S5_PS6_PS9_PS4_.num_vgpr, 54
	.set _ZN9rocsparseL42csr2bsr_wavefront_per_row_multipass_kernelILj256ELj64ELj16E21rocsparse_complex_numIdEiiEEv20rocsparse_direction_T4_S4_S4_S4_S4_21rocsparse_index_base_PKT2_PKT3_PKS4_S5_PS6_PS9_PS4_.num_agpr, 0
	.set _ZN9rocsparseL42csr2bsr_wavefront_per_row_multipass_kernelILj256ELj64ELj16E21rocsparse_complex_numIdEiiEEv20rocsparse_direction_T4_S4_S4_S4_S4_21rocsparse_index_base_PKT2_PKT3_PKS4_S5_PS6_PS9_PS4_.numbered_sgpr, 28
	.set _ZN9rocsparseL42csr2bsr_wavefront_per_row_multipass_kernelILj256ELj64ELj16E21rocsparse_complex_numIdEiiEEv20rocsparse_direction_T4_S4_S4_S4_S4_21rocsparse_index_base_PKT2_PKT3_PKS4_S5_PS6_PS9_PS4_.num_named_barrier, 0
	.set _ZN9rocsparseL42csr2bsr_wavefront_per_row_multipass_kernelILj256ELj64ELj16E21rocsparse_complex_numIdEiiEEv20rocsparse_direction_T4_S4_S4_S4_S4_21rocsparse_index_base_PKT2_PKT3_PKS4_S5_PS6_PS9_PS4_.private_seg_size, 0
	.set _ZN9rocsparseL42csr2bsr_wavefront_per_row_multipass_kernelILj256ELj64ELj16E21rocsparse_complex_numIdEiiEEv20rocsparse_direction_T4_S4_S4_S4_S4_21rocsparse_index_base_PKT2_PKT3_PKS4_S5_PS6_PS9_PS4_.uses_vcc, 1
	.set _ZN9rocsparseL42csr2bsr_wavefront_per_row_multipass_kernelILj256ELj64ELj16E21rocsparse_complex_numIdEiiEEv20rocsparse_direction_T4_S4_S4_S4_S4_21rocsparse_index_base_PKT2_PKT3_PKS4_S5_PS6_PS9_PS4_.uses_flat_scratch, 0
	.set _ZN9rocsparseL42csr2bsr_wavefront_per_row_multipass_kernelILj256ELj64ELj16E21rocsparse_complex_numIdEiiEEv20rocsparse_direction_T4_S4_S4_S4_S4_21rocsparse_index_base_PKT2_PKT3_PKS4_S5_PS6_PS9_PS4_.has_dyn_sized_stack, 0
	.set _ZN9rocsparseL42csr2bsr_wavefront_per_row_multipass_kernelILj256ELj64ELj16E21rocsparse_complex_numIdEiiEEv20rocsparse_direction_T4_S4_S4_S4_S4_21rocsparse_index_base_PKT2_PKT3_PKS4_S5_PS6_PS9_PS4_.has_recursion, 0
	.set _ZN9rocsparseL42csr2bsr_wavefront_per_row_multipass_kernelILj256ELj64ELj16E21rocsparse_complex_numIdEiiEEv20rocsparse_direction_T4_S4_S4_S4_S4_21rocsparse_index_base_PKT2_PKT3_PKS4_S5_PS6_PS9_PS4_.has_indirect_call, 0
	.section	.AMDGPU.csdata,"",@progbits
; Kernel info:
; codeLenInByte = 1880
; TotalNumSgprs: 30
; NumVgprs: 54
; ScratchSize: 0
; MemoryBound: 0
; FloatMode: 240
; IeeeMode: 1
; LDSByteSize: 16392 bytes/workgroup (compile time only)
; SGPRBlocks: 0
; VGPRBlocks: 3
; NumSGPRsForWavesPerEU: 30
; NumVGPRsForWavesPerEU: 54
; NamedBarCnt: 0
; Occupancy: 16
; WaveLimiterHint : 0
; COMPUTE_PGM_RSRC2:SCRATCH_EN: 0
; COMPUTE_PGM_RSRC2:USER_SGPR: 2
; COMPUTE_PGM_RSRC2:TRAP_HANDLER: 0
; COMPUTE_PGM_RSRC2:TGID_X_EN: 1
; COMPUTE_PGM_RSRC2:TGID_Y_EN: 0
; COMPUTE_PGM_RSRC2:TGID_Z_EN: 0
; COMPUTE_PGM_RSRC2:TIDIG_COMP_CNT: 0
	.section	.text._ZN9rocsparseL42csr2bsr_wavefront_per_row_multipass_kernelILj256ELj32ELj16E21rocsparse_complex_numIdEiiEEv20rocsparse_direction_T4_S4_S4_S4_S4_21rocsparse_index_base_PKT2_PKT3_PKS4_S5_PS6_PS9_PS4_,"axG",@progbits,_ZN9rocsparseL42csr2bsr_wavefront_per_row_multipass_kernelILj256ELj32ELj16E21rocsparse_complex_numIdEiiEEv20rocsparse_direction_T4_S4_S4_S4_S4_21rocsparse_index_base_PKT2_PKT3_PKS4_S5_PS6_PS9_PS4_,comdat
	.globl	_ZN9rocsparseL42csr2bsr_wavefront_per_row_multipass_kernelILj256ELj32ELj16E21rocsparse_complex_numIdEiiEEv20rocsparse_direction_T4_S4_S4_S4_S4_21rocsparse_index_base_PKT2_PKT3_PKS4_S5_PS6_PS9_PS4_ ; -- Begin function _ZN9rocsparseL42csr2bsr_wavefront_per_row_multipass_kernelILj256ELj32ELj16E21rocsparse_complex_numIdEiiEEv20rocsparse_direction_T4_S4_S4_S4_S4_21rocsparse_index_base_PKT2_PKT3_PKS4_S5_PS6_PS9_PS4_
	.p2align	8
	.type	_ZN9rocsparseL42csr2bsr_wavefront_per_row_multipass_kernelILj256ELj32ELj16E21rocsparse_complex_numIdEiiEEv20rocsparse_direction_T4_S4_S4_S4_S4_21rocsparse_index_base_PKT2_PKT3_PKS4_S5_PS6_PS9_PS4_,@function
_ZN9rocsparseL42csr2bsr_wavefront_per_row_multipass_kernelILj256ELj32ELj16E21rocsparse_complex_numIdEiiEEv20rocsparse_direction_T4_S4_S4_S4_S4_21rocsparse_index_base_PKT2_PKT3_PKS4_S5_PS6_PS9_PS4_: ; @_ZN9rocsparseL42csr2bsr_wavefront_per_row_multipass_kernelILj256ELj32ELj16E21rocsparse_complex_numIdEiiEEv20rocsparse_direction_T4_S4_S4_S4_S4_21rocsparse_index_base_PKT2_PKT3_PKS4_S5_PS6_PS9_PS4_
; %bb.0:
	s_clause 0x1
	s_load_b128 s[8:11], s[0:1], 0xc
	s_load_b64 s[4:5], s[0:1], 0x0
	s_bfe_u32 s2, ttmp6, 0x4000c
	s_and_b32 s3, ttmp6, 15
	s_add_co_i32 s2, s2, 1
	s_getreg_b32 s6, hwreg(HW_REG_IB_STS2, 6, 4)
	s_mul_i32 s2, ttmp9, s2
	v_dual_mov_b32 v4, 0 :: v_dual_lshrrev_b32 v7, 5, v0
	s_add_co_i32 s3, s3, s2
	s_cmp_eq_u32 s6, 0
	v_bfe_u32 v1, v0, 1, 4
	s_cselect_b32 s2, ttmp9, s3
	s_load_b64 s[6:7], s[0:1], 0x28
	v_lshl_or_b32 v2, s2, 3, v7
	v_mov_b32_e32 v53, 0
	s_wait_kmcnt 0x0
	s_delay_alu instid0(VALU_DEP_2) | instskip(SKIP_1) | instid1(VALU_DEP_2)
	v_mad_u32 v3, v2, s10, v1
	v_cmp_gt_i32_e32 vcc_lo, s10, v1
	v_cmp_gt_i32_e64 s2, s5, v3
	s_and_b32 s2, vcc_lo, s2
	s_delay_alu instid0(SALU_CYCLE_1)
	s_and_saveexec_b32 s3, s2
	s_cbranch_execz .LBB149_2
; %bb.1:
	global_load_b32 v5, v3, s[6:7] scale_offset
	s_wait_loadcnt 0x0
	v_subrev_nc_u32_e32 v53, s11, v5
.LBB149_2:
	s_or_b32 exec_lo, exec_lo, s3
	v_mov_b32_e32 v36, 0
	s_and_saveexec_b32 s3, s2
	s_cbranch_execz .LBB149_4
; %bb.3:
	global_load_b32 v3, v3, s[6:7] offset:4 scale_offset
	s_wait_loadcnt 0x0
	v_subrev_nc_u32_e32 v36, s11, v3
.LBB149_4:
	s_or_b32 exec_lo, exec_lo, s3
	s_load_b32 s22, s[0:1], 0x38
	s_mov_b32 s3, exec_lo
	v_cmpx_gt_i32_e64 s8, v2
	s_cbranch_execz .LBB149_6
; %bb.5:
	s_load_b64 s[6:7], s[0:1], 0x48
	s_wait_kmcnt 0x0
	global_load_b32 v2, v2, s[6:7] scale_offset
	s_wait_loadcnt 0x0
	v_subrev_nc_u32_e32 v4, s22, v2
.LBB149_6:
	s_or_b32 exec_lo, exec_lo, s3
	s_cmp_lt_i32 s9, 1
	s_cbranch_scc1 .LBB149_56
; %bb.7:
	s_clause 0x3
	s_load_b64 s[2:3], s[0:1], 0x40
	s_load_b64 s[12:13], s[0:1], 0x50
	;; [unrolled: 1-line block ×4, first 2 shown]
	v_dual_lshlrev_b32 v0, 8, v1 :: v_dual_bitop2_b32 v6, 1, v0 bitop3:0x40
	v_mbcnt_lo_u32_b32 v2, -1, 0
	v_dual_mov_b32 v9, 0 :: v_dual_lshlrev_b32 v8, 4, v1
	s_cmp_eq_u32 s4, 0
	s_delay_alu instid0(VALU_DEP_3) | instskip(NEXT) | instid1(VALU_DEP_3)
	v_lshl_or_b32 v37, v7, 12, v0
	v_lshl_or_b32 v38, v2, 2, 4
	s_mov_b32 s19, 0
	s_mov_b32 s18, s10
	s_wait_xcnt 0x0
	s_cselect_b32 s0, -1, 0
	v_lshl_or_b32 v39, v6, 4, v37
	s_cmp_lg_u32 s4, 0
	s_mul_u64 s[20:21], s[18:19], s[18:19]
	s_cselect_b32 s23, -1, 0
	s_lshl_b32 s18, s10, 1
	s_wait_kmcnt 0x0
	v_add_nc_u64_e32 v[10:11], s[2:3], v[8:9]
	v_mul_lo_u32 v8, s10, v1
	v_xor_b32_e32 v1, 16, v2
	v_xor_b32_e32 v0, 1, v2
	s_abs_i32 s24, s10
	s_mov_b32 s28, s19
	s_cvt_f32_u32 s7, s24
	s_mov_b32 s29, s19
	v_cmp_gt_i32_e64 s1, 32, v0
	s_mov_b32 s30, s19
	s_mov_b32 s31, s19
	v_dual_mov_b32 v15, v9 :: v_dual_bitop2_b32 v47, 64, v39 bitop3:0x54
	v_dual_cndmask_b32 v0, v2, v0, s1 :: v_dual_bitop2_b32 v3, 8, v2 bitop3:0x14
	v_cmp_gt_i32_e64 s1, 32, v1
	v_lshl_add_u64 v[12:13], v[8:9], 4, s[2:3]
	v_or_b32_e32 v48, 0x60, v39
	s_delay_alu instid0(VALU_DEP_4)
	v_lshlrev_b32_e32 v40, 2, v0
	v_or_b32_e32 v49, 0x80, v39
	v_cndmask_b32_e64 v1, v2, v1, s1
	v_cmp_gt_i32_e64 s1, 32, v3
	v_xor_b32_e32 v5, 4, v2
	v_or_b32_e32 v50, 0xa0, v39
	v_or_b32_e32 v51, 0xc0, v39
	v_or_b32_e32 v52, 0xe0, v39
	v_cndmask_b32_e64 v0, v2, v3, s1
	v_cmp_gt_i32_e64 s1, 32, v5
	v_dual_mov_b32 v54, 1 :: v_dual_bitop2_b32 v14, 2, v2 bitop3:0x14
	v_dual_lshlrev_b32 v30, 4, v6 :: v_dual_lshlrev_b32 v41, 2, v1
	s_delay_alu instid0(VALU_DEP_3) | instskip(NEXT) | instid1(VALU_DEP_3)
	v_cndmask_b32_e64 v3, v2, v5, s1
	v_cmp_gt_i32_e64 s1, 32, v14
	v_dual_lshlrev_b32 v42, 2, v0 :: v_dual_bitop2_b32 v1, 4, v6 bitop3:0x54
	s_delay_alu instid0(VALU_DEP_3) | instskip(NEXT) | instid1(VALU_DEP_3)
	v_dual_mov_b32 v17, v9 :: v_dual_lshlrev_b32 v43, 2, v3
	v_cndmask_b32_e64 v2, v2, v14, s1
	v_mul_lo_u32 v14, v6, s10
	v_or_b32_e32 v46, 32, v39
	v_cmp_gt_u32_e64 s3, s10, v1
	v_cmp_gt_u32_e64 s1, s10, v6
	v_dual_mov_b32 v45, 0x7c :: v_dual_lshlrev_b32 v44, 2, v2
	v_rcp_iflag_f32_e32 v2, s7
	v_mov_b32_e32 v19, v9
	s_and_b32 s25, s1, vcc_lo
	v_mov_b32_e32 v31, 0
	s_and_b32 s3, vcc_lo, s3
	v_add_nc_u32_e32 v16, s18, v14
	v_dual_mov_b32 v21, v9 :: v_dual_bitop2_b32 v0, 2, v6 bitop3:0x54
	v_mov_b32_e32 v23, v9
	s_ashr_i32 s26, s10, 31
	s_delay_alu instid0(VALU_DEP_3) | instskip(NEXT) | instid1(VALU_DEP_3)
	v_add_nc_u32_e32 v18, s18, v16
	v_cmp_gt_u32_e64 s2, s10, v0
	v_dual_mov_b32 v27, v9 :: v_dual_bitop2_b32 v0, 6, v6 bitop3:0x54
	s_mov_b32 s27, s19
	v_add_nc_u32_e32 v20, s18, v18
	v_or_b32_e32 v1, 8, v6
	s_delay_alu instid0(VALU_DEP_3) | instskip(SKIP_1) | instid1(VALU_DEP_4)
	v_cmp_gt_u32_e64 s4, s10, v0
	v_dual_mov_b32 v25, v9 :: v_dual_bitop2_b32 v0, 10, v6 bitop3:0x54
	v_add_nc_u32_e32 v22, s18, v20
	s_delay_alu instid0(VALU_DEP_4) | instskip(SKIP_1) | instid1(VALU_DEP_4)
	v_cmp_gt_u32_e64 s5, s10, v1
	v_or_b32_e32 v1, 14, v6
	v_cmp_gt_u32_e64 s6, s10, v0
	s_and_b32 s2, vcc_lo, s2
	v_add_nc_u32_e32 v24, s18, v22
	v_or_b32_e32 v0, 12, v6
	v_cmp_gt_u32_e64 s8, s10, v1
	v_mov_b32_e32 v29, v9
	s_and_b32 s4, vcc_lo, s4
	v_add_nc_u32_e32 v26, s18, v24
	v_cmp_gt_u32_e64 s7, s10, v0
	s_and_b32 s5, vcc_lo, s5
	s_and_b32 s6, vcc_lo, s6
	s_and_b32 s8, vcc_lo, s8
	v_add_nc_u32_e32 v28, s18, v26
	v_readfirstlane_b32 s18, v2
	v_mov_b64_e32 v[0:1], s[28:29]
	v_mov_b64_e32 v[2:3], s[30:31]
	s_and_b32 s7, vcc_lo, s7
	s_mul_f32 s1, s18, 0x4f7ffffe
	s_sub_co_i32 s18, 0, s24
	s_delay_alu instid0(SALU_CYCLE_2) | instskip(NEXT) | instid1(SALU_CYCLE_3)
	s_cvt_u32_f32 s1, s1
	s_mul_i32 s18, s18, s1
	s_delay_alu instid0(SALU_CYCLE_1) | instskip(NEXT) | instid1(SALU_CYCLE_1)
	s_mul_hi_u32 s18, s1, s18
	s_add_co_i32 s18, s1, s18
	s_branch .LBB149_10
.LBB149_8:                              ;   in Loop: Header=BB149_10 Depth=1
	s_wait_xcnt 0x0
	s_or_b32 exec_lo, exec_lo, s28
	v_mov_b32_e32 v5, 1
.LBB149_9:                              ;   in Loop: Header=BB149_10 Depth=1
	s_or_b32 exec_lo, exec_lo, s1
	ds_bpermute_b32 v8, v41, v55
	s_wait_storecnt_dscnt 0x0
	v_dual_add_nc_u32 v4, v5, v4 :: v_dual_min_i32 v8, v8, v55
	ds_bpermute_b32 v31, v42, v8
	s_wait_dscnt 0x0
	v_min_i32_e32 v8, v31, v8
	ds_bpermute_b32 v31, v43, v8
	s_wait_dscnt 0x0
	v_min_i32_e32 v8, v31, v8
	;; [unrolled: 3-line block ×4, first 2 shown]
	ds_bpermute_b32 v31, v45, v8
	s_wait_dscnt 0x0
	v_cmp_le_i32_e32 vcc_lo, s9, v31
	s_or_b32 s27, vcc_lo, s27
	s_delay_alu instid0(SALU_CYCLE_1)
	s_and_not1_b32 exec_lo, exec_lo, s27
	s_cbranch_execz .LBB149_56
.LBB149_10:                             ; =>This Loop Header: Depth=1
                                        ;     Child Loop BB149_13 Depth 2
	v_dual_mov_b32 v55, s9 :: v_dual_add_nc_u32 v32, v53, v6
	v_mov_b32_e32 v33, v36
	s_mov_b32 s28, exec_lo
	ds_store_b8 v7, v9 offset:32768
	ds_store_b128 v39, v[0:3]
	ds_store_b128 v39, v[0:3] offset:32
	ds_store_b128 v39, v[0:3] offset:64
	;; [unrolled: 1-line block ×7, first 2 shown]
	s_wait_dscnt 0x0
	v_cmpx_lt_i32_e64 v32, v36
	s_cbranch_execz .LBB149_18
; %bb.11:                               ;   in Loop: Header=BB149_10 Depth=1
	v_mul_lo_u32 v5, v31, s10
	v_dual_mov_b32 v55, s9 :: v_dual_mov_b32 v33, v36
	s_mov_b32 s29, 0
	s_branch .LBB149_13
.LBB149_12:                             ;   in Loop: Header=BB149_13 Depth=2
	s_wait_xcnt 0x0
	s_or_b32 exec_lo, exec_lo, s1
	v_add_nc_u32_e32 v32, 2, v32
	s_xor_b32 s30, vcc_lo, -1
	s_delay_alu instid0(VALU_DEP_1) | instskip(SKIP_1) | instid1(SALU_CYCLE_1)
	v_cmp_ge_i32_e64 s1, v32, v36
	s_or_b32 s1, s30, s1
	s_and_b32 s1, exec_lo, s1
	s_delay_alu instid0(SALU_CYCLE_1) | instskip(NEXT) | instid1(SALU_CYCLE_1)
	s_or_b32 s29, s1, s29
	s_and_not1_b32 exec_lo, exec_lo, s29
	s_cbranch_execz .LBB149_17
.LBB149_13:                             ;   Parent Loop BB149_10 Depth=1
                                        ; =>  This Inner Loop Header: Depth=2
	global_load_b32 v8, v32, s[14:15] scale_offset
	s_wait_loadcnt 0x0
	v_subrev_nc_u32_e32 v34, s11, v8
	s_delay_alu instid0(VALU_DEP_1) | instskip(NEXT) | instid1(VALU_DEP_1)
	v_sub_nc_u32_e32 v8, 0, v34
	v_max_i32_e32 v8, v34, v8
	s_delay_alu instid0(VALU_DEP_1) | instskip(SKIP_1) | instid1(VALU_DEP_2)
	v_mul_u64_e32 v[56:57], s[18:19], v[8:9]
	v_ashrrev_i32_e32 v56, 31, v34
	v_mul_lo_u32 v35, v57, s24
	s_delay_alu instid0(VALU_DEP_1) | instskip(NEXT) | instid1(VALU_DEP_1)
	v_dual_sub_nc_u32 v8, v8, v35 :: v_dual_add_nc_u32 v35, 1, v57
	v_subrev_nc_u32_e32 v53, s24, v8
	v_cmp_le_u32_e32 vcc_lo, s24, v8
	s_delay_alu instid0(VALU_DEP_2) | instskip(NEXT) | instid1(VALU_DEP_1)
	v_dual_cndmask_b32 v35, v57, v35 :: v_dual_cndmask_b32 v8, v8, v53
	v_add_nc_u32_e32 v53, 1, v35
	s_delay_alu instid0(VALU_DEP_2) | instskip(NEXT) | instid1(VALU_DEP_2)
	v_cmp_le_u32_e32 vcc_lo, s24, v8
	v_dual_cndmask_b32 v8, v35, v53, vcc_lo :: v_dual_bitop2_b32 v56, s26, v56 bitop3:0x14
	s_delay_alu instid0(VALU_DEP_1) | instskip(NEXT) | instid1(VALU_DEP_1)
	v_xor_b32_e32 v8, v8, v56
	v_dual_mov_b32 v8, v33 :: v_dual_sub_nc_u32 v35, v8, v56
	s_delay_alu instid0(VALU_DEP_1) | instskip(SKIP_3) | instid1(SALU_CYCLE_1)
	v_cmp_ne_u32_e64 s1, v35, v31
	v_cmp_eq_u32_e32 vcc_lo, v35, v31
	s_wait_xcnt 0x0
	s_and_saveexec_b32 s30, s1
	s_xor_b32 s1, exec_lo, s30
; %bb.14:                               ;   in Loop: Header=BB149_13 Depth=2
	v_min_i32_e32 v55, v35, v55
                                        ; implicit-def: $vgpr34
                                        ; implicit-def: $vgpr8
; %bb.15:                               ;   in Loop: Header=BB149_13 Depth=2
	s_or_saveexec_b32 s1, s1
	v_mov_b32_e32 v33, v32
	s_xor_b32 exec_lo, exec_lo, s1
	s_cbranch_execz .LBB149_12
; %bb.16:                               ;   in Loop: Header=BB149_13 Depth=2
	v_ashrrev_i32_e32 v33, 31, v32
	s_delay_alu instid0(VALU_DEP_1)
	v_lshl_add_u64 v[56:57], v[32:33], 4, s[16:17]
	v_sub_nc_u32_e32 v33, v34, v5
	global_load_b128 v[56:59], v[56:57], off
	v_lshl_add_u32 v34, v33, 4, v37
	v_mov_b32_e32 v33, v8
	ds_store_b8 v7, v54 offset:32768
	s_wait_loadcnt 0x0
	ds_store_2addr_b64 v34, v[56:57], v[58:59] offset1:1
	s_branch .LBB149_12
.LBB149_17:                             ;   in Loop: Header=BB149_10 Depth=1
	s_or_b32 exec_lo, exec_lo, s29
.LBB149_18:                             ;   in Loop: Header=BB149_10 Depth=1
	s_delay_alu instid0(SALU_CYCLE_1)
	s_or_b32 exec_lo, exec_lo, s28
	ds_bpermute_b32 v5, v40, v33
	s_wait_dscnt 0x0
	ds_load_u8 v8, v7 offset:32768
	v_min_i32_e32 v5, v5, v33
	ds_bpermute_b32 v53, v38, v5
	s_wait_dscnt 0x1
	v_and_b32_e32 v5, 1, v8
	s_delay_alu instid0(VALU_DEP_1)
	v_cmp_eq_u32_e32 vcc_lo, 1, v5
	v_mov_b32_e32 v5, 0
	s_and_saveexec_b32 s1, vcc_lo
	s_cbranch_execz .LBB149_9
; %bb.19:                               ;   in Loop: Header=BB149_10 Depth=1
	v_ashrrev_i32_e32 v5, 31, v4
	s_delay_alu instid0(VALU_DEP_1) | instskip(SKIP_3) | instid1(VALU_DEP_1)
	v_mul_u64_e32 v[32:33], s[20:21], v[4:5]
	v_add_nc_u32_e32 v5, s22, v31
	global_store_b32 v4, v5, s[12:13] scale_offset
	v_lshlrev_b64_e32 v[32:33], 4, v[32:33]
	v_add_nc_u64_e32 v[34:35], v[10:11], v[32:33]
	v_add_nc_u64_e32 v[32:33], v[12:13], v[32:33]
	s_wait_xcnt 0x0
	s_and_saveexec_b32 s28, s25
	s_cbranch_execz .LBB149_21
; %bb.20:                               ;   in Loop: Header=BB149_10 Depth=1
	ds_load_2addr_b64 v[56:59], v39 offset1:1
	v_lshl_add_u64 v[62:63], v[14:15], 4, v[34:35]
	v_mov_b32_e32 v31, v9
	s_delay_alu instid0(VALU_DEP_1) | instskip(NEXT) | instid1(VALU_DEP_1)
	v_add_nc_u64_e32 v[60:61], v[32:33], v[30:31]
	v_dual_cndmask_b32 v61, v63, v61, s0 :: v_dual_cndmask_b32 v60, v62, v60, s0
	s_wait_dscnt 0x0
	global_store_b128 v[60:61], v[56:59], off
.LBB149_21:                             ;   in Loop: Header=BB149_10 Depth=1
	s_wait_xcnt 0x0
	s_or_b32 exec_lo, exec_lo, s28
	s_and_saveexec_b32 s28, s2
	s_cbranch_execz .LBB149_26
; %bb.22:                               ;   in Loop: Header=BB149_10 Depth=1
	s_and_not1_b32 vcc_lo, exec_lo, s23
	s_mov_b32 s29, -1
	s_cbranch_vccnz .LBB149_24
; %bb.23:                               ;   in Loop: Header=BB149_10 Depth=1
	ds_load_2addr_b64 v[56:59], v46 offset1:1
	v_lshl_add_u64 v[60:61], v[16:17], 4, v[34:35]
	s_mov_b32 s29, 0
	s_wait_dscnt 0x0
	global_store_b128 v[60:61], v[56:59], off
.LBB149_24:                             ;   in Loop: Header=BB149_10 Depth=1
	s_and_not1_b32 vcc_lo, exec_lo, s29
	s_cbranch_vccnz .LBB149_26
; %bb.25:                               ;   in Loop: Header=BB149_10 Depth=1
	s_wait_xcnt 0x0
	ds_load_2addr_b64 v[56:59], v46 offset1:1
	v_mov_b32_e32 v31, v9
	s_delay_alu instid0(VALU_DEP_1)
	v_add_nc_u64_e32 v[60:61], v[32:33], v[30:31]
	s_wait_dscnt 0x0
	global_store_b128 v[60:61], v[56:59], off offset:32
.LBB149_26:                             ;   in Loop: Header=BB149_10 Depth=1
	s_wait_xcnt 0x0
	s_or_b32 exec_lo, exec_lo, s28
	s_and_saveexec_b32 s28, s3
	s_cbranch_execz .LBB149_31
; %bb.27:                               ;   in Loop: Header=BB149_10 Depth=1
	s_and_not1_b32 vcc_lo, exec_lo, s23
	s_mov_b32 s29, -1
	s_cbranch_vccnz .LBB149_29
; %bb.28:                               ;   in Loop: Header=BB149_10 Depth=1
	ds_load_2addr_b64 v[56:59], v47 offset1:1
	v_lshl_add_u64 v[60:61], v[18:19], 4, v[34:35]
	s_mov_b32 s29, 0
	s_wait_dscnt 0x0
	global_store_b128 v[60:61], v[56:59], off
.LBB149_29:                             ;   in Loop: Header=BB149_10 Depth=1
	s_and_not1_b32 vcc_lo, exec_lo, s29
	s_cbranch_vccnz .LBB149_31
; %bb.30:                               ;   in Loop: Header=BB149_10 Depth=1
	s_wait_xcnt 0x0
	ds_load_2addr_b64 v[56:59], v47 offset1:1
	v_mov_b32_e32 v31, v9
	s_delay_alu instid0(VALU_DEP_1)
	v_add_nc_u64_e32 v[60:61], v[32:33], v[30:31]
	s_wait_dscnt 0x0
	global_store_b128 v[60:61], v[56:59], off offset:64
.LBB149_31:                             ;   in Loop: Header=BB149_10 Depth=1
	;; [unrolled: 26-line block ×6, first 2 shown]
	s_wait_xcnt 0x0
	s_or_b32 exec_lo, exec_lo, s28
	s_and_saveexec_b32 s28, s8
	s_cbranch_execz .LBB149_8
; %bb.52:                               ;   in Loop: Header=BB149_10 Depth=1
	s_and_not1_b32 vcc_lo, exec_lo, s23
	s_mov_b32 s29, -1
	s_cbranch_vccnz .LBB149_54
; %bb.53:                               ;   in Loop: Header=BB149_10 Depth=1
	ds_load_2addr_b64 v[56:59], v52 offset1:1
	v_lshl_add_u64 v[34:35], v[28:29], 4, v[34:35]
	s_mov_b32 s29, 0
	s_wait_dscnt 0x0
	global_store_b128 v[34:35], v[56:59], off
.LBB149_54:                             ;   in Loop: Header=BB149_10 Depth=1
	s_and_not1_b32 vcc_lo, exec_lo, s29
	s_cbranch_vccnz .LBB149_8
; %bb.55:                               ;   in Loop: Header=BB149_10 Depth=1
	s_wait_xcnt 0x0
	ds_load_2addr_b64 v[56:59], v52 offset1:1
	v_mov_b32_e32 v31, v9
	s_delay_alu instid0(VALU_DEP_1)
	v_add_nc_u64_e32 v[32:33], v[32:33], v[30:31]
	s_wait_dscnt 0x0
	global_store_b128 v[32:33], v[56:59], off offset:224
	s_branch .LBB149_8
.LBB149_56:
	s_endpgm
	.section	.rodata,"a",@progbits
	.p2align	6, 0x0
	.amdhsa_kernel _ZN9rocsparseL42csr2bsr_wavefront_per_row_multipass_kernelILj256ELj32ELj16E21rocsparse_complex_numIdEiiEEv20rocsparse_direction_T4_S4_S4_S4_S4_21rocsparse_index_base_PKT2_PKT3_PKS4_S5_PS6_PS9_PS4_
		.amdhsa_group_segment_fixed_size 32776
		.amdhsa_private_segment_fixed_size 0
		.amdhsa_kernarg_size 88
		.amdhsa_user_sgpr_count 2
		.amdhsa_user_sgpr_dispatch_ptr 0
		.amdhsa_user_sgpr_queue_ptr 0
		.amdhsa_user_sgpr_kernarg_segment_ptr 1
		.amdhsa_user_sgpr_dispatch_id 0
		.amdhsa_user_sgpr_kernarg_preload_length 0
		.amdhsa_user_sgpr_kernarg_preload_offset 0
		.amdhsa_user_sgpr_private_segment_size 0
		.amdhsa_wavefront_size32 1
		.amdhsa_uses_dynamic_stack 0
		.amdhsa_enable_private_segment 0
		.amdhsa_system_sgpr_workgroup_id_x 1
		.amdhsa_system_sgpr_workgroup_id_y 0
		.amdhsa_system_sgpr_workgroup_id_z 0
		.amdhsa_system_sgpr_workgroup_info 0
		.amdhsa_system_vgpr_workitem_id 0
		.amdhsa_next_free_vgpr 64
		.amdhsa_next_free_sgpr 32
		.amdhsa_named_barrier_count 0
		.amdhsa_reserve_vcc 1
		.amdhsa_float_round_mode_32 0
		.amdhsa_float_round_mode_16_64 0
		.amdhsa_float_denorm_mode_32 3
		.amdhsa_float_denorm_mode_16_64 3
		.amdhsa_fp16_overflow 0
		.amdhsa_memory_ordered 1
		.amdhsa_forward_progress 1
		.amdhsa_inst_pref_size 20
		.amdhsa_round_robin_scheduling 0
		.amdhsa_exception_fp_ieee_invalid_op 0
		.amdhsa_exception_fp_denorm_src 0
		.amdhsa_exception_fp_ieee_div_zero 0
		.amdhsa_exception_fp_ieee_overflow 0
		.amdhsa_exception_fp_ieee_underflow 0
		.amdhsa_exception_fp_ieee_inexact 0
		.amdhsa_exception_int_div_zero 0
	.end_amdhsa_kernel
	.section	.text._ZN9rocsparseL42csr2bsr_wavefront_per_row_multipass_kernelILj256ELj32ELj16E21rocsparse_complex_numIdEiiEEv20rocsparse_direction_T4_S4_S4_S4_S4_21rocsparse_index_base_PKT2_PKT3_PKS4_S5_PS6_PS9_PS4_,"axG",@progbits,_ZN9rocsparseL42csr2bsr_wavefront_per_row_multipass_kernelILj256ELj32ELj16E21rocsparse_complex_numIdEiiEEv20rocsparse_direction_T4_S4_S4_S4_S4_21rocsparse_index_base_PKT2_PKT3_PKS4_S5_PS6_PS9_PS4_,comdat
.Lfunc_end149:
	.size	_ZN9rocsparseL42csr2bsr_wavefront_per_row_multipass_kernelILj256ELj32ELj16E21rocsparse_complex_numIdEiiEEv20rocsparse_direction_T4_S4_S4_S4_S4_21rocsparse_index_base_PKT2_PKT3_PKS4_S5_PS6_PS9_PS4_, .Lfunc_end149-_ZN9rocsparseL42csr2bsr_wavefront_per_row_multipass_kernelILj256ELj32ELj16E21rocsparse_complex_numIdEiiEEv20rocsparse_direction_T4_S4_S4_S4_S4_21rocsparse_index_base_PKT2_PKT3_PKS4_S5_PS6_PS9_PS4_
                                        ; -- End function
	.set _ZN9rocsparseL42csr2bsr_wavefront_per_row_multipass_kernelILj256ELj32ELj16E21rocsparse_complex_numIdEiiEEv20rocsparse_direction_T4_S4_S4_S4_S4_21rocsparse_index_base_PKT2_PKT3_PKS4_S5_PS6_PS9_PS4_.num_vgpr, 64
	.set _ZN9rocsparseL42csr2bsr_wavefront_per_row_multipass_kernelILj256ELj32ELj16E21rocsparse_complex_numIdEiiEEv20rocsparse_direction_T4_S4_S4_S4_S4_21rocsparse_index_base_PKT2_PKT3_PKS4_S5_PS6_PS9_PS4_.num_agpr, 0
	.set _ZN9rocsparseL42csr2bsr_wavefront_per_row_multipass_kernelILj256ELj32ELj16E21rocsparse_complex_numIdEiiEEv20rocsparse_direction_T4_S4_S4_S4_S4_21rocsparse_index_base_PKT2_PKT3_PKS4_S5_PS6_PS9_PS4_.numbered_sgpr, 32
	.set _ZN9rocsparseL42csr2bsr_wavefront_per_row_multipass_kernelILj256ELj32ELj16E21rocsparse_complex_numIdEiiEEv20rocsparse_direction_T4_S4_S4_S4_S4_21rocsparse_index_base_PKT2_PKT3_PKS4_S5_PS6_PS9_PS4_.num_named_barrier, 0
	.set _ZN9rocsparseL42csr2bsr_wavefront_per_row_multipass_kernelILj256ELj32ELj16E21rocsparse_complex_numIdEiiEEv20rocsparse_direction_T4_S4_S4_S4_S4_21rocsparse_index_base_PKT2_PKT3_PKS4_S5_PS6_PS9_PS4_.private_seg_size, 0
	.set _ZN9rocsparseL42csr2bsr_wavefront_per_row_multipass_kernelILj256ELj32ELj16E21rocsparse_complex_numIdEiiEEv20rocsparse_direction_T4_S4_S4_S4_S4_21rocsparse_index_base_PKT2_PKT3_PKS4_S5_PS6_PS9_PS4_.uses_vcc, 1
	.set _ZN9rocsparseL42csr2bsr_wavefront_per_row_multipass_kernelILj256ELj32ELj16E21rocsparse_complex_numIdEiiEEv20rocsparse_direction_T4_S4_S4_S4_S4_21rocsparse_index_base_PKT2_PKT3_PKS4_S5_PS6_PS9_PS4_.uses_flat_scratch, 0
	.set _ZN9rocsparseL42csr2bsr_wavefront_per_row_multipass_kernelILj256ELj32ELj16E21rocsparse_complex_numIdEiiEEv20rocsparse_direction_T4_S4_S4_S4_S4_21rocsparse_index_base_PKT2_PKT3_PKS4_S5_PS6_PS9_PS4_.has_dyn_sized_stack, 0
	.set _ZN9rocsparseL42csr2bsr_wavefront_per_row_multipass_kernelILj256ELj32ELj16E21rocsparse_complex_numIdEiiEEv20rocsparse_direction_T4_S4_S4_S4_S4_21rocsparse_index_base_PKT2_PKT3_PKS4_S5_PS6_PS9_PS4_.has_recursion, 0
	.set _ZN9rocsparseL42csr2bsr_wavefront_per_row_multipass_kernelILj256ELj32ELj16E21rocsparse_complex_numIdEiiEEv20rocsparse_direction_T4_S4_S4_S4_S4_21rocsparse_index_base_PKT2_PKT3_PKS4_S5_PS6_PS9_PS4_.has_indirect_call, 0
	.section	.AMDGPU.csdata,"",@progbits
; Kernel info:
; codeLenInByte = 2476
; TotalNumSgprs: 34
; NumVgprs: 64
; ScratchSize: 0
; MemoryBound: 0
; FloatMode: 240
; IeeeMode: 1
; LDSByteSize: 32776 bytes/workgroup (compile time only)
; SGPRBlocks: 0
; VGPRBlocks: 3
; NumSGPRsForWavesPerEU: 34
; NumVGPRsForWavesPerEU: 64
; NamedBarCnt: 0
; Occupancy: 16
; WaveLimiterHint : 0
; COMPUTE_PGM_RSRC2:SCRATCH_EN: 0
; COMPUTE_PGM_RSRC2:USER_SGPR: 2
; COMPUTE_PGM_RSRC2:TRAP_HANDLER: 0
; COMPUTE_PGM_RSRC2:TGID_X_EN: 1
; COMPUTE_PGM_RSRC2:TGID_Y_EN: 0
; COMPUTE_PGM_RSRC2:TGID_Z_EN: 0
; COMPUTE_PGM_RSRC2:TIDIG_COMP_CNT: 0
	.section	.text._ZN9rocsparseL38csr2bsr_block_per_row_multipass_kernelILj256ELj32E21rocsparse_complex_numIdEiiEEv20rocsparse_direction_T3_S4_S4_S4_S4_21rocsparse_index_base_PKT1_PKT2_PKS4_S5_PS6_PS9_PS4_,"axG",@progbits,_ZN9rocsparseL38csr2bsr_block_per_row_multipass_kernelILj256ELj32E21rocsparse_complex_numIdEiiEEv20rocsparse_direction_T3_S4_S4_S4_S4_21rocsparse_index_base_PKT1_PKT2_PKS4_S5_PS6_PS9_PS4_,comdat
	.globl	_ZN9rocsparseL38csr2bsr_block_per_row_multipass_kernelILj256ELj32E21rocsparse_complex_numIdEiiEEv20rocsparse_direction_T3_S4_S4_S4_S4_21rocsparse_index_base_PKT1_PKT2_PKS4_S5_PS6_PS9_PS4_ ; -- Begin function _ZN9rocsparseL38csr2bsr_block_per_row_multipass_kernelILj256ELj32E21rocsparse_complex_numIdEiiEEv20rocsparse_direction_T3_S4_S4_S4_S4_21rocsparse_index_base_PKT1_PKT2_PKS4_S5_PS6_PS9_PS4_
	.p2align	8
	.type	_ZN9rocsparseL38csr2bsr_block_per_row_multipass_kernelILj256ELj32E21rocsparse_complex_numIdEiiEEv20rocsparse_direction_T3_S4_S4_S4_S4_21rocsparse_index_base_PKT1_PKT2_PKS4_S5_PS6_PS9_PS4_,@function
_ZN9rocsparseL38csr2bsr_block_per_row_multipass_kernelILj256ELj32E21rocsparse_complex_numIdEiiEEv20rocsparse_direction_T3_S4_S4_S4_S4_21rocsparse_index_base_PKT1_PKT2_PKS4_S5_PS6_PS9_PS4_: ; @_ZN9rocsparseL38csr2bsr_block_per_row_multipass_kernelILj256ELj32E21rocsparse_complex_numIdEiiEEv20rocsparse_direction_T3_S4_S4_S4_S4_21rocsparse_index_base_PKT1_PKT2_PKS4_S5_PS6_PS9_PS4_
; %bb.0:
	s_clause 0x1
	s_load_b96 s[12:14], s[0:1], 0x10
	s_load_b64 s[30:31], s[0:1], 0x0
	s_bfe_u32 s2, ttmp6, 0x4000c
	s_and_b32 s3, ttmp6, 15
	s_add_co_i32 s2, s2, 1
	s_getreg_b32 s4, hwreg(HW_REG_IB_STS2, 6, 4)
	s_mul_i32 s2, ttmp9, s2
	v_dual_mov_b32 v22, 0 :: v_dual_lshrrev_b32 v1, 3, v0
	s_add_co_i32 s3, s3, s2
	s_cmp_eq_u32 s4, 0
	s_load_b64 s[4:5], s[0:1], 0x28
	s_cselect_b32 s6, ttmp9, s3
	v_mov_b32_e32 v34, 0
	s_wait_kmcnt 0x0
	v_mad_u32 v2, s13, s6, v1
	v_cmp_gt_i32_e32 vcc_lo, s13, v1
	s_delay_alu instid0(VALU_DEP_2) | instskip(SKIP_1) | instid1(SALU_CYCLE_1)
	v_cmp_gt_i32_e64 s2, s31, v2
	s_and_b32 s2, vcc_lo, s2
	s_and_saveexec_b32 s3, s2
	s_cbranch_execnz .LBB150_3
; %bb.1:
	s_or_b32 exec_lo, exec_lo, s3
	s_and_saveexec_b32 s3, s2
	s_cbranch_execnz .LBB150_4
.LBB150_2:
	s_or_b32 exec_lo, exec_lo, s3
	s_cmp_lt_i32 s12, 1
	s_cbranch_scc0 .LBB150_5
	s_branch .LBB150_41
.LBB150_3:
	global_load_b32 v3, v2, s[4:5] scale_offset
	s_wait_loadcnt 0x0
	v_subrev_nc_u32_e32 v34, s14, v3
	s_or_b32 exec_lo, exec_lo, s3
	s_and_saveexec_b32 s3, s2
	s_cbranch_execz .LBB150_2
.LBB150_4:
	global_load_b32 v2, v2, s[4:5] offset:4 scale_offset
	s_wait_loadcnt 0x0
	v_subrev_nc_u32_e32 v22, s14, v2
	s_or_b32 exec_lo, exec_lo, s3
	s_cmp_lt_i32 s12, 1
	s_cbranch_scc1 .LBB150_41
.LBB150_5:
	s_clause 0x3
	s_load_b128 s[8:11], s[0:1], 0x40
	s_load_b64 s[20:21], s[0:1], 0x50
	s_load_b96 s[16:18], s[0:1], 0x30
	s_load_b64 s[22:23], s[0:1], 0x20
	s_ashr_i32 s7, s6, 31
	v_mbcnt_lo_u32_b32 v8, -1, 0
	s_lshl_b64 s[6:7], s[6:7], 2
	v_dual_mov_b32 v5, 0 :: v_dual_lshlrev_b32 v4, 4, v1
	v_dual_lshlrev_b32 v24, 9, v1 :: v_dual_bitop2_b32 v23, 7, v0 bitop3:0x40
	s_delay_alu instid0(VALU_DEP_3) | instskip(NEXT) | instid1(VALU_DEP_3)
	v_xor_b32_e32 v9, 4, v8
	v_dual_lshlrev_b32 v25, 2, v0 :: v_dual_mov_b32 v3, v5
	s_wait_xcnt 0x0
	v_cmp_gt_u32_e64 s0, 0x80, v0
	v_cmp_gt_u32_e64 s1, 64, v0
	;; [unrolled: 1-line block ×6, first 2 shown]
	s_wait_kmcnt 0x0
	s_add_nc_u64 s[6:7], s[10:11], s[6:7]
	v_add_nc_u64_e32 v[6:7], s[8:9], v[4:5]
	s_load_b32 s7, s[6:7], 0x0
	s_wait_xcnt 0x0
	v_cmp_gt_i32_e64 s6, 32, v9
	v_xor_b32_e32 v10, 2, v8
	v_mul_lo_u32 v4, s13, v1
	v_lshlrev_b32_e32 v2, 4, v23
	v_lshl_or_b32 v26, v8, 2, 28
	v_cndmask_b32_e64 v1, v8, v9, s6
	v_cmp_gt_i32_e64 s6, 32, v10
	v_xor_b32_e32 v11, 1, v8
	s_mov_b32 s25, 0
	s_mov_b32 s24, s13
	;; [unrolled: 1-line block ×3, first 2 shown]
	v_cndmask_b32_e64 v10, v8, v10, s6
	v_cmp_gt_i32_e64 s6, 32, v11
	s_mul_u64 s[26:27], s[24:25], s[24:25]
	v_lshlrev_b32_e32 v28, 2, v1
	s_mov_b32 s37, s25
	v_dual_lshlrev_b32 v29, 2, v10 :: v_dual_cndmask_b32 v11, v8, v11, s6
	v_lshl_add_u64 v[8:9], v[4:5], 4, s[8:9]
	s_wait_kmcnt 0x0
	s_sub_co_i32 s28, s7, s18
	s_cmp_eq_u32 s30, 0
	v_cmp_gt_u32_e64 s7, 2, v0
	s_cselect_b32 s6, -1, 0
	s_abs_i32 s11, s13
	v_cmp_eq_u32_e64 s8, 0, v0
	s_cvt_f32_u32 s19, s11
	v_or_b32_e32 v0, 8, v23
	v_mul_lo_u32 v10, v23, s13
	v_dual_lshlrev_b32 v30, 2, v11 :: v_dual_bitop2_b32 v27, v24, v2 bitop3:0x54
	v_rcp_iflag_f32_e32 v1, s19
	v_cmp_gt_u32_e64 s9, s13, v23
	v_cmp_gt_u32_e64 s10, s13, v0
	v_dual_mov_b32 v11, v5 :: v_dual_bitop2_b32 v0, 16, v23 bitop3:0x54
	s_lshl_b32 s24, s13, 3
	s_and_b32 s15, vcc_lo, s9
	s_delay_alu instid0(TRANS32_DEP_1)
	v_readfirstlane_b32 s29, v1
	v_add_nc_u64_e32 v[8:9], v[8:9], v[2:3]
	v_cmp_gt_u32_e64 s9, s13, v0
	v_dual_add_nc_u32 v12, s24, v10 :: v_dual_bitop2_b32 v2, 24, v23 bitop3:0x54
	v_mov_b32_e32 v13, v5
	s_mov_b32 s38, s25
	s_and_b32 s30, vcc_lo, s9
	s_mul_f32 s9, s29, 0x4f7ffffe
	v_add_nc_u32_e32 v14, s24, v12
	s_mov_b32 s39, s25
	s_and_b32 s19, vcc_lo, s10
	s_cvt_u32_f32 s9, s9
	v_cmp_gt_u32_e64 s10, s13, v2
	v_dual_mov_b32 v15, v5 :: v_dual_add_nc_u32 v16, s24, v14
	s_sub_co_i32 s24, 0, s11
	v_mov_b64_e32 v[0:1], s[36:37]
	v_mov_b64_e32 v[2:3], s[38:39]
	s_mul_i32 s24, s24, s9
	v_or_b32_e32 v31, 0x80, v27
	v_or_b32_e32 v32, 0x100, v27
	;; [unrolled: 1-line block ×3, first 2 shown]
	v_dual_mov_b32 v17, v5 :: v_dual_mov_b32 v35, 1
	v_mov_b32_e32 v20, 0
	s_mul_hi_u32 s24, s9, s24
	s_and_b32 s10, vcc_lo, s10
	s_ashr_i32 s31, s13, 31
	s_add_co_i32 s24, s9, s24
	s_branch .LBB150_7
.LBB150_6:                              ;   in Loop: Header=BB150_7 Depth=1
	s_or_b32 exec_lo, exec_lo, s29
	s_wait_dscnt 0x0
	s_barrier_signal -1
	s_barrier_wait -1
	ds_load_b32 v20, v5
	s_add_co_i32 s28, s9, s28
	s_wait_dscnt 0x0
	s_barrier_signal -1
	s_barrier_wait -1
	v_cmp_gt_i32_e32 vcc_lo, s12, v20
	s_cbranch_vccz .LBB150_41
.LBB150_7:                              ; =>This Loop Header: Depth=1
                                        ;     Child Loop BB150_10 Depth 2
	v_dual_add_nc_u32 v18, v34, v23 :: v_dual_mov_b32 v36, s12
	v_mov_b32_e32 v19, v22
	s_mov_b32 s29, exec_lo
	ds_store_b8 v5, v5 offset:16384
	ds_store_b128 v27, v[0:3]
	ds_store_b128 v27, v[0:3] offset:128
	ds_store_b128 v27, v[0:3] offset:256
	ds_store_b128 v27, v[0:3] offset:384
	s_wait_dscnt 0x0
	s_barrier_signal -1
	s_barrier_wait -1
	v_cmpx_lt_i32_e64 v18, v22
	s_cbranch_execz .LBB150_15
; %bb.8:                                ;   in Loop: Header=BB150_7 Depth=1
	v_mul_lo_u32 v21, v20, s13
	v_dual_mov_b32 v36, s12 :: v_dual_mov_b32 v19, v22
	s_mov_b32 s33, 0
	s_branch .LBB150_10
.LBB150_9:                              ;   in Loop: Header=BB150_10 Depth=2
	s_wait_xcnt 0x0
	s_or_b32 exec_lo, exec_lo, s9
	v_add_nc_u32_e32 v18, 8, v18
	s_xor_b32 s34, vcc_lo, -1
	s_delay_alu instid0(VALU_DEP_1) | instskip(SKIP_1) | instid1(SALU_CYCLE_1)
	v_cmp_ge_i32_e64 s9, v18, v22
	s_or_b32 s9, s34, s9
	s_and_b32 s9, exec_lo, s9
	s_delay_alu instid0(SALU_CYCLE_1) | instskip(NEXT) | instid1(SALU_CYCLE_1)
	s_or_b32 s33, s9, s33
	s_and_not1_b32 exec_lo, exec_lo, s33
	s_cbranch_execz .LBB150_14
.LBB150_10:                             ;   Parent Loop BB150_7 Depth=1
                                        ; =>  This Inner Loop Header: Depth=2
	global_load_b32 v4, v18, s[16:17] scale_offset
	s_wait_loadcnt 0x0
	v_subrev_nc_u32_e32 v34, s14, v4
	s_delay_alu instid0(VALU_DEP_1) | instskip(NEXT) | instid1(VALU_DEP_1)
	v_sub_nc_u32_e32 v4, 0, v34
	v_max_i32_e32 v4, v34, v4
	s_delay_alu instid0(VALU_DEP_1) | instskip(NEXT) | instid1(VALU_DEP_1)
	v_mul_u64_e32 v[38:39], s[24:25], v[4:5]
	v_mul_lo_u32 v37, v39, s11
	s_delay_alu instid0(VALU_DEP_1) | instskip(NEXT) | instid1(VALU_DEP_1)
	v_dual_sub_nc_u32 v4, v4, v37 :: v_dual_add_nc_u32 v37, 1, v39
	v_cmp_le_u32_e32 vcc_lo, s11, v4
	s_delay_alu instid0(VALU_DEP_2) | instskip(SKIP_1) | instid1(VALU_DEP_1)
	v_dual_cndmask_b32 v37, v39, v37, vcc_lo :: v_dual_ashrrev_i32 v39, 31, v34
	v_subrev_nc_u32_e32 v38, s11, v4
	v_dual_cndmask_b32 v4, v4, v38, vcc_lo :: v_dual_add_nc_u32 v38, 1, v37
	s_delay_alu instid0(VALU_DEP_1) | instskip(NEXT) | instid1(VALU_DEP_2)
	v_cmp_le_u32_e32 vcc_lo, s11, v4
	v_dual_cndmask_b32 v4, v37, v38, vcc_lo :: v_dual_bitop2_b32 v39, s31, v39 bitop3:0x14
	s_delay_alu instid0(VALU_DEP_1) | instskip(NEXT) | instid1(VALU_DEP_1)
	v_xor_b32_e32 v4, v4, v39
	v_dual_mov_b32 v4, v19 :: v_dual_sub_nc_u32 v37, v4, v39
	s_delay_alu instid0(VALU_DEP_1) | instskip(SKIP_3) | instid1(SALU_CYCLE_1)
	v_cmp_ne_u32_e64 s9, v37, v20
	v_cmp_eq_u32_e32 vcc_lo, v37, v20
	s_wait_xcnt 0x0
	s_and_saveexec_b32 s34, s9
	s_xor_b32 s9, exec_lo, s34
; %bb.11:                               ;   in Loop: Header=BB150_10 Depth=2
	v_min_i32_e32 v36, v37, v36
                                        ; implicit-def: $vgpr34
                                        ; implicit-def: $vgpr4
; %bb.12:                               ;   in Loop: Header=BB150_10 Depth=2
	s_or_saveexec_b32 s9, s9
	v_mov_b32_e32 v19, v18
	s_xor_b32 exec_lo, exec_lo, s9
	s_cbranch_execz .LBB150_9
; %bb.13:                               ;   in Loop: Header=BB150_10 Depth=2
	v_ashrrev_i32_e32 v19, 31, v18
	s_delay_alu instid0(VALU_DEP_1)
	v_lshl_add_u64 v[38:39], v[18:19], 4, s[22:23]
	v_sub_nc_u32_e32 v19, v34, v21
	global_load_b128 v[38:41], v[38:39], off
	v_lshl_add_u32 v34, v19, 4, v24
	v_mov_b32_e32 v19, v4
	ds_store_b8 v5, v35 offset:16384
	s_wait_loadcnt 0x0
	ds_store_2addr_b64 v34, v[38:39], v[40:41] offset1:1
	s_branch .LBB150_9
.LBB150_14:                             ;   in Loop: Header=BB150_7 Depth=1
	s_or_b32 exec_lo, exec_lo, s33
.LBB150_15:                             ;   in Loop: Header=BB150_7 Depth=1
	s_delay_alu instid0(SALU_CYCLE_1)
	s_or_b32 exec_lo, exec_lo, s29
	ds_bpermute_b32 v4, v28, v19
	s_wait_dscnt 0x0
	s_barrier_signal -1
	s_barrier_wait -1
	s_mov_b32 s9, 0
	v_min_i32_e32 v4, v4, v19
	ds_load_u8 v19, v5 offset:16384
	ds_bpermute_b32 v18, v29, v4
	s_wait_dscnt 0x0
	v_min_i32_e32 v4, v18, v4
	ds_bpermute_b32 v18, v30, v4
	s_wait_dscnt 0x0
	v_min_i32_e32 v4, v18, v4
	ds_bpermute_b32 v34, v26, v4
	v_and_b32_e32 v4, 1, v19
	s_delay_alu instid0(VALU_DEP_1)
	v_cmp_eq_u32_e32 vcc_lo, 0, v4
	s_cbranch_vccnz .LBB150_22
; %bb.16:                               ;   in Loop: Header=BB150_7 Depth=1
	s_ashr_i32 s29, s28, 31
	v_dual_mov_b32 v37, s28 :: v_dual_add_nc_u32 v4, s18, v20
	s_mul_u64 s[34:35], s[26:27], s[28:29]
	s_delay_alu instid0(SALU_CYCLE_1) | instskip(NEXT) | instid1(SALU_CYCLE_1)
	s_lshl_b64 s[34:35], s[34:35], 4
	v_add_nc_u64_e32 v[18:19], s[34:35], v[6:7]
	v_add_nc_u64_e32 v[20:21], s[34:35], v[8:9]
	global_store_b32 v37, v4, s[20:21] scale_offset
	s_wait_xcnt 0x0
	s_and_saveexec_b32 s9, s15
	s_cbranch_execnz .LBB150_38
; %bb.17:                               ;   in Loop: Header=BB150_7 Depth=1
	s_or_b32 exec_lo, exec_lo, s9
	s_and_saveexec_b32 s9, s19
	s_cbranch_execnz .LBB150_39
.LBB150_18:                             ;   in Loop: Header=BB150_7 Depth=1
	s_or_b32 exec_lo, exec_lo, s9
	s_and_saveexec_b32 s9, s30
	s_cbranch_execnz .LBB150_40
.LBB150_19:                             ;   in Loop: Header=BB150_7 Depth=1
	s_or_b32 exec_lo, exec_lo, s9
	s_and_saveexec_b32 s9, s10
	s_cbranch_execz .LBB150_21
.LBB150_20:                             ;   in Loop: Header=BB150_7 Depth=1
	ds_load_2addr_b64 v[38:41], v33 offset1:1
	v_add_nc_u64_e32 v[20:21], 0x180, v[20:21]
	v_lshl_add_u64 v[18:19], v[16:17], 4, v[18:19]
	s_delay_alu instid0(VALU_DEP_1)
	v_dual_cndmask_b32 v19, v19, v21, s6 :: v_dual_cndmask_b32 v18, v18, v20, s6
	s_wait_dscnt 0x0
	global_store_b128 v[18:19], v[38:41], off
.LBB150_21:                             ;   in Loop: Header=BB150_7 Depth=1
	s_wait_xcnt 0x0
	s_or_b32 exec_lo, exec_lo, s9
	s_mov_b32 s9, 1
.LBB150_22:                             ;   in Loop: Header=BB150_7 Depth=1
	s_wait_storecnt_dscnt 0x0
	s_barrier_signal -1
	s_barrier_wait -1
	ds_store_b32 v25, v36
	s_wait_dscnt 0x0
	s_barrier_signal -1
	s_barrier_wait -1
	s_and_saveexec_b32 s29, s0
	s_cbranch_execz .LBB150_24
; %bb.23:                               ;   in Loop: Header=BB150_7 Depth=1
	ds_load_2addr_stride64_b32 v[18:19], v25 offset1:2
	s_wait_dscnt 0x0
	v_min_i32_e32 v4, v19, v18
	ds_store_b32 v25, v4
.LBB150_24:                             ;   in Loop: Header=BB150_7 Depth=1
	s_or_b32 exec_lo, exec_lo, s29
	s_wait_dscnt 0x0
	s_barrier_signal -1
	s_barrier_wait -1
	s_and_saveexec_b32 s29, s1
	s_cbranch_execz .LBB150_26
; %bb.25:                               ;   in Loop: Header=BB150_7 Depth=1
	ds_load_2addr_stride64_b32 v[18:19], v25 offset1:1
	s_wait_dscnt 0x0
	v_min_i32_e32 v4, v19, v18
	ds_store_b32 v25, v4
.LBB150_26:                             ;   in Loop: Header=BB150_7 Depth=1
	s_or_b32 exec_lo, exec_lo, s29
	s_wait_dscnt 0x0
	s_barrier_signal -1
	s_barrier_wait -1
	s_and_saveexec_b32 s29, s2
	s_cbranch_execz .LBB150_28
; %bb.27:                               ;   in Loop: Header=BB150_7 Depth=1
	ds_load_2addr_b32 v[18:19], v25 offset1:32
	s_wait_dscnt 0x0
	v_min_i32_e32 v4, v19, v18
	ds_store_b32 v25, v4
.LBB150_28:                             ;   in Loop: Header=BB150_7 Depth=1
	s_or_b32 exec_lo, exec_lo, s29
	s_wait_dscnt 0x0
	s_barrier_signal -1
	s_barrier_wait -1
	s_and_saveexec_b32 s29, s3
	s_cbranch_execz .LBB150_30
; %bb.29:                               ;   in Loop: Header=BB150_7 Depth=1
	ds_load_2addr_b32 v[18:19], v25 offset1:16
	s_wait_dscnt 0x0
	v_min_i32_e32 v4, v19, v18
	ds_store_b32 v25, v4
.LBB150_30:                             ;   in Loop: Header=BB150_7 Depth=1
	;; [unrolled: 12-line block ×5, first 2 shown]
	s_or_b32 exec_lo, exec_lo, s29
	s_wait_dscnt 0x0
	s_barrier_signal -1
	s_barrier_wait -1
	s_and_saveexec_b32 s29, s8
	s_cbranch_execz .LBB150_6
; %bb.37:                               ;   in Loop: Header=BB150_7 Depth=1
	ds_load_b64 v[18:19], v5
	s_wait_dscnt 0x0
	v_min_i32_e32 v4, v19, v18
	ds_store_b32 v5, v4
	s_branch .LBB150_6
.LBB150_38:                             ;   in Loop: Header=BB150_7 Depth=1
	ds_load_2addr_b64 v[38:41], v27 offset1:1
	v_lshl_add_u64 v[42:43], v[10:11], 4, v[18:19]
	s_delay_alu instid0(VALU_DEP_1)
	v_dual_cndmask_b32 v43, v43, v21, s6 :: v_dual_cndmask_b32 v42, v42, v20, s6
	s_wait_dscnt 0x0
	global_store_b128 v[42:43], v[38:41], off
	s_wait_xcnt 0x0
	s_or_b32 exec_lo, exec_lo, s9
	s_and_saveexec_b32 s9, s19
	s_cbranch_execz .LBB150_18
.LBB150_39:                             ;   in Loop: Header=BB150_7 Depth=1
	ds_load_2addr_b64 v[38:41], v31 offset1:1
	v_add_nc_u64_e32 v[42:43], 0x80, v[20:21]
	v_lshl_add_u64 v[44:45], v[12:13], 4, v[18:19]
	s_delay_alu instid0(VALU_DEP_1)
	v_dual_cndmask_b32 v43, v45, v43, s6 :: v_dual_cndmask_b32 v42, v44, v42, s6
	s_wait_dscnt 0x0
	global_store_b128 v[42:43], v[38:41], off
	s_wait_xcnt 0x0
	s_or_b32 exec_lo, exec_lo, s9
	s_and_saveexec_b32 s9, s30
	s_cbranch_execz .LBB150_19
.LBB150_40:                             ;   in Loop: Header=BB150_7 Depth=1
	ds_load_2addr_b64 v[38:41], v32 offset1:1
	v_add_nc_u64_e32 v[42:43], 0x100, v[20:21]
	v_lshl_add_u64 v[44:45], v[14:15], 4, v[18:19]
	s_delay_alu instid0(VALU_DEP_1)
	v_dual_cndmask_b32 v43, v45, v43, s6 :: v_dual_cndmask_b32 v42, v44, v42, s6
	s_wait_dscnt 0x0
	global_store_b128 v[42:43], v[38:41], off
	s_wait_xcnt 0x0
	s_or_b32 exec_lo, exec_lo, s9
	s_and_saveexec_b32 s9, s10
	s_cbranch_execnz .LBB150_20
	s_branch .LBB150_21
.LBB150_41:
	s_endpgm
	.section	.rodata,"a",@progbits
	.p2align	6, 0x0
	.amdhsa_kernel _ZN9rocsparseL38csr2bsr_block_per_row_multipass_kernelILj256ELj32E21rocsparse_complex_numIdEiiEEv20rocsparse_direction_T3_S4_S4_S4_S4_21rocsparse_index_base_PKT1_PKT2_PKS4_S5_PS6_PS9_PS4_
		.amdhsa_group_segment_fixed_size 16392
		.amdhsa_private_segment_fixed_size 0
		.amdhsa_kernarg_size 88
		.amdhsa_user_sgpr_count 2
		.amdhsa_user_sgpr_dispatch_ptr 0
		.amdhsa_user_sgpr_queue_ptr 0
		.amdhsa_user_sgpr_kernarg_segment_ptr 1
		.amdhsa_user_sgpr_dispatch_id 0
		.amdhsa_user_sgpr_kernarg_preload_length 0
		.amdhsa_user_sgpr_kernarg_preload_offset 0
		.amdhsa_user_sgpr_private_segment_size 0
		.amdhsa_wavefront_size32 1
		.amdhsa_uses_dynamic_stack 0
		.amdhsa_enable_private_segment 0
		.amdhsa_system_sgpr_workgroup_id_x 1
		.amdhsa_system_sgpr_workgroup_id_y 0
		.amdhsa_system_sgpr_workgroup_id_z 0
		.amdhsa_system_sgpr_workgroup_info 0
		.amdhsa_system_vgpr_workitem_id 0
		.amdhsa_next_free_vgpr 46
		.amdhsa_next_free_sgpr 40
		.amdhsa_named_barrier_count 0
		.amdhsa_reserve_vcc 1
		.amdhsa_float_round_mode_32 0
		.amdhsa_float_round_mode_16_64 0
		.amdhsa_float_denorm_mode_32 3
		.amdhsa_float_denorm_mode_16_64 3
		.amdhsa_fp16_overflow 0
		.amdhsa_memory_ordered 1
		.amdhsa_forward_progress 1
		.amdhsa_inst_pref_size 17
		.amdhsa_round_robin_scheduling 0
		.amdhsa_exception_fp_ieee_invalid_op 0
		.amdhsa_exception_fp_denorm_src 0
		.amdhsa_exception_fp_ieee_div_zero 0
		.amdhsa_exception_fp_ieee_overflow 0
		.amdhsa_exception_fp_ieee_underflow 0
		.amdhsa_exception_fp_ieee_inexact 0
		.amdhsa_exception_int_div_zero 0
	.end_amdhsa_kernel
	.section	.text._ZN9rocsparseL38csr2bsr_block_per_row_multipass_kernelILj256ELj32E21rocsparse_complex_numIdEiiEEv20rocsparse_direction_T3_S4_S4_S4_S4_21rocsparse_index_base_PKT1_PKT2_PKS4_S5_PS6_PS9_PS4_,"axG",@progbits,_ZN9rocsparseL38csr2bsr_block_per_row_multipass_kernelILj256ELj32E21rocsparse_complex_numIdEiiEEv20rocsparse_direction_T3_S4_S4_S4_S4_21rocsparse_index_base_PKT1_PKT2_PKS4_S5_PS6_PS9_PS4_,comdat
.Lfunc_end150:
	.size	_ZN9rocsparseL38csr2bsr_block_per_row_multipass_kernelILj256ELj32E21rocsparse_complex_numIdEiiEEv20rocsparse_direction_T3_S4_S4_S4_S4_21rocsparse_index_base_PKT1_PKT2_PKS4_S5_PS6_PS9_PS4_, .Lfunc_end150-_ZN9rocsparseL38csr2bsr_block_per_row_multipass_kernelILj256ELj32E21rocsparse_complex_numIdEiiEEv20rocsparse_direction_T3_S4_S4_S4_S4_21rocsparse_index_base_PKT1_PKT2_PKS4_S5_PS6_PS9_PS4_
                                        ; -- End function
	.set _ZN9rocsparseL38csr2bsr_block_per_row_multipass_kernelILj256ELj32E21rocsparse_complex_numIdEiiEEv20rocsparse_direction_T3_S4_S4_S4_S4_21rocsparse_index_base_PKT1_PKT2_PKS4_S5_PS6_PS9_PS4_.num_vgpr, 46
	.set _ZN9rocsparseL38csr2bsr_block_per_row_multipass_kernelILj256ELj32E21rocsparse_complex_numIdEiiEEv20rocsparse_direction_T3_S4_S4_S4_S4_21rocsparse_index_base_PKT1_PKT2_PKS4_S5_PS6_PS9_PS4_.num_agpr, 0
	.set _ZN9rocsparseL38csr2bsr_block_per_row_multipass_kernelILj256ELj32E21rocsparse_complex_numIdEiiEEv20rocsparse_direction_T3_S4_S4_S4_S4_21rocsparse_index_base_PKT1_PKT2_PKS4_S5_PS6_PS9_PS4_.numbered_sgpr, 40
	.set _ZN9rocsparseL38csr2bsr_block_per_row_multipass_kernelILj256ELj32E21rocsparse_complex_numIdEiiEEv20rocsparse_direction_T3_S4_S4_S4_S4_21rocsparse_index_base_PKT1_PKT2_PKS4_S5_PS6_PS9_PS4_.num_named_barrier, 0
	.set _ZN9rocsparseL38csr2bsr_block_per_row_multipass_kernelILj256ELj32E21rocsparse_complex_numIdEiiEEv20rocsparse_direction_T3_S4_S4_S4_S4_21rocsparse_index_base_PKT1_PKT2_PKS4_S5_PS6_PS9_PS4_.private_seg_size, 0
	.set _ZN9rocsparseL38csr2bsr_block_per_row_multipass_kernelILj256ELj32E21rocsparse_complex_numIdEiiEEv20rocsparse_direction_T3_S4_S4_S4_S4_21rocsparse_index_base_PKT1_PKT2_PKS4_S5_PS6_PS9_PS4_.uses_vcc, 1
	.set _ZN9rocsparseL38csr2bsr_block_per_row_multipass_kernelILj256ELj32E21rocsparse_complex_numIdEiiEEv20rocsparse_direction_T3_S4_S4_S4_S4_21rocsparse_index_base_PKT1_PKT2_PKS4_S5_PS6_PS9_PS4_.uses_flat_scratch, 0
	.set _ZN9rocsparseL38csr2bsr_block_per_row_multipass_kernelILj256ELj32E21rocsparse_complex_numIdEiiEEv20rocsparse_direction_T3_S4_S4_S4_S4_21rocsparse_index_base_PKT1_PKT2_PKS4_S5_PS6_PS9_PS4_.has_dyn_sized_stack, 0
	.set _ZN9rocsparseL38csr2bsr_block_per_row_multipass_kernelILj256ELj32E21rocsparse_complex_numIdEiiEEv20rocsparse_direction_T3_S4_S4_S4_S4_21rocsparse_index_base_PKT1_PKT2_PKS4_S5_PS6_PS9_PS4_.has_recursion, 0
	.set _ZN9rocsparseL38csr2bsr_block_per_row_multipass_kernelILj256ELj32E21rocsparse_complex_numIdEiiEEv20rocsparse_direction_T3_S4_S4_S4_S4_21rocsparse_index_base_PKT1_PKT2_PKS4_S5_PS6_PS9_PS4_.has_indirect_call, 0
	.section	.AMDGPU.csdata,"",@progbits
; Kernel info:
; codeLenInByte = 2100
; TotalNumSgprs: 42
; NumVgprs: 46
; ScratchSize: 0
; MemoryBound: 0
; FloatMode: 240
; IeeeMode: 1
; LDSByteSize: 16392 bytes/workgroup (compile time only)
; SGPRBlocks: 0
; VGPRBlocks: 2
; NumSGPRsForWavesPerEU: 42
; NumVGPRsForWavesPerEU: 46
; NamedBarCnt: 0
; Occupancy: 16
; WaveLimiterHint : 0
; COMPUTE_PGM_RSRC2:SCRATCH_EN: 0
; COMPUTE_PGM_RSRC2:USER_SGPR: 2
; COMPUTE_PGM_RSRC2:TRAP_HANDLER: 0
; COMPUTE_PGM_RSRC2:TGID_X_EN: 1
; COMPUTE_PGM_RSRC2:TGID_Y_EN: 0
; COMPUTE_PGM_RSRC2:TGID_Z_EN: 0
; COMPUTE_PGM_RSRC2:TIDIG_COMP_CNT: 0
	.section	.text._ZN9rocsparseL21csr2bsr_65_inf_kernelILj32E21rocsparse_complex_numIdEiiEEv20rocsparse_direction_T2_S4_S4_S4_S4_S4_21rocsparse_index_base_PKT0_PKT1_PKS4_S5_PS6_PS9_PS4_SF_SG_SE_,"axG",@progbits,_ZN9rocsparseL21csr2bsr_65_inf_kernelILj32E21rocsparse_complex_numIdEiiEEv20rocsparse_direction_T2_S4_S4_S4_S4_S4_21rocsparse_index_base_PKT0_PKT1_PKS4_S5_PS6_PS9_PS4_SF_SG_SE_,comdat
	.globl	_ZN9rocsparseL21csr2bsr_65_inf_kernelILj32E21rocsparse_complex_numIdEiiEEv20rocsparse_direction_T2_S4_S4_S4_S4_S4_21rocsparse_index_base_PKT0_PKT1_PKS4_S5_PS6_PS9_PS4_SF_SG_SE_ ; -- Begin function _ZN9rocsparseL21csr2bsr_65_inf_kernelILj32E21rocsparse_complex_numIdEiiEEv20rocsparse_direction_T2_S4_S4_S4_S4_S4_21rocsparse_index_base_PKT0_PKT1_PKS4_S5_PS6_PS9_PS4_SF_SG_SE_
	.p2align	8
	.type	_ZN9rocsparseL21csr2bsr_65_inf_kernelILj32E21rocsparse_complex_numIdEiiEEv20rocsparse_direction_T2_S4_S4_S4_S4_S4_21rocsparse_index_base_PKT0_PKT1_PKS4_S5_PS6_PS9_PS4_SF_SG_SE_,@function
_ZN9rocsparseL21csr2bsr_65_inf_kernelILj32E21rocsparse_complex_numIdEiiEEv20rocsparse_direction_T2_S4_S4_S4_S4_S4_21rocsparse_index_base_PKT0_PKT1_PKS4_S5_PS6_PS9_PS4_SF_SG_SE_: ; @_ZN9rocsparseL21csr2bsr_65_inf_kernelILj32E21rocsparse_complex_numIdEiiEEv20rocsparse_direction_T2_S4_S4_S4_S4_S4_21rocsparse_index_base_PKT0_PKT1_PKS4_S5_PS6_PS9_PS4_SF_SG_SE_
; %bb.0:
	s_clause 0x2
	s_load_b128 s[4:7], s[0:1], 0x0
	s_load_b64 s[2:3], s[0:1], 0x58
	s_load_b32 s15, s[0:1], 0x38
	s_bfe_u32 s8, ttmp6, 0x4000c
	s_and_b32 s9, ttmp6, 15
	s_add_co_i32 s8, s8, 1
	s_getreg_b32 s10, hwreg(HW_REG_IB_STS2, 6, 4)
	s_mul_i32 s8, ttmp9, s8
	s_mov_b32 s25, 0
	s_add_co_i32 s9, s9, s8
	s_cmp_eq_u32 s10, 0
	s_cselect_b32 s22, ttmp9, s9
	s_wait_kmcnt 0x0
	s_cmp_ge_i32 s22, s7
	s_mov_b32 s7, 0
	s_cbranch_scc1 .LBB151_2
; %bb.1:
	s_load_b64 s[8:9], s[0:1], 0x48
	s_ashr_i32 s23, s22, 31
	s_delay_alu instid0(SALU_CYCLE_1)
	s_lshl_b64 s[10:11], s[22:23], 2
	s_wait_kmcnt 0x0
	s_add_nc_u64 s[8:9], s[8:9], s[10:11]
	s_load_b32 s7, s[8:9], 0x0
	s_wait_kmcnt 0x0
	s_sub_co_i32 s7, s7, s15
.LBB151_2:
	s_load_b96 s[12:14], s[0:1], 0x14
	s_wait_kmcnt 0x0
	v_mul_lo_u32 v2, s13, v0
	s_mul_i32 s8, s22, s13
	s_delay_alu instid0(SALU_CYCLE_1) | instskip(NEXT) | instid1(SALU_CYCLE_1)
	s_lshl_b32 s24, s8, 6
	s_lshl_b64 s[8:9], s[24:25], 2
	s_lshl_b32 s24, s13, 5
	s_add_nc_u64 s[26:27], s[2:3], s[8:9]
	s_cmp_gt_i32 s13, 0
	s_cselect_b32 s28, -1, 0
	s_delay_alu instid0(VALU_DEP_1) | instskip(SKIP_1) | instid1(VALU_DEP_1)
	v_ashrrev_i32_e32 v3, 31, v2
	s_cmp_lt_i32 s13, 1
	v_lshl_add_u64 v[6:7], v[2:3], 2, s[26:27]
	s_cbranch_scc1 .LBB151_7
; %bb.3:
	s_load_b64 s[8:9], s[0:1], 0x28
	s_delay_alu instid0(VALU_DEP_1)
	v_mov_b64_e32 v[4:5], v[6:7]
	v_dual_mov_b32 v1, 0 :: v_dual_mov_b32 v12, v0
	s_mul_i32 s3, s12, s22
	s_lshl_b64 s[10:11], s[24:25], 2
	s_mov_b32 s16, s13
	s_branch .LBB151_5
.LBB151_4:                              ;   in Loop: Header=BB151_5 Depth=1
	s_wait_xcnt 0x0
	s_or_b32 exec_lo, exec_lo, s2
	v_add_nc_u64_e32 v[4:5], 4, v[4:5]
	v_add_nc_u32_e32 v12, 32, v12
	s_add_co_i32 s16, s16, -1
	s_delay_alu instid0(SALU_CYCLE_1)
	s_cmp_eq_u32 s16, 0
	s_cbranch_scc1 .LBB151_7
.LBB151_5:                              ; =>This Inner Loop Header: Depth=1
	s_delay_alu instid0(VALU_DEP_1) | instskip(NEXT) | instid1(VALU_DEP_3)
	v_add_nc_u32_e32 v10, s3, v12
	v_add_nc_u64_e32 v[8:9], s[10:11], v[4:5]
	v_cmp_gt_u32_e64 s2, s12, v12
	global_store_b32 v[4:5], v1, off
	v_cmp_gt_i32_e32 vcc_lo, s5, v10
	global_store_b32 v[8:9], v1, off
	s_and_b32 s17, s2, vcc_lo
	s_wait_xcnt 0x0
	s_and_saveexec_b32 s2, s17
	s_cbranch_execz .LBB151_4
; %bb.6:                                ;   in Loop: Header=BB151_5 Depth=1
	v_ashrrev_i32_e32 v11, 31, v10
	s_wait_kmcnt 0x0
	s_delay_alu instid0(VALU_DEP_1)
	v_lshl_add_u64 v[10:11], v[10:11], 2, s[8:9]
	global_load_b64 v[10:11], v[10:11], off
	s_wait_loadcnt 0x0
	v_subrev_nc_u32_e32 v10, s14, v10
	v_subrev_nc_u32_e32 v11, s14, v11
	s_clause 0x1
	global_store_b32 v[4:5], v10, off
	global_store_b32 v[8:9], v11, off
	s_branch .LBB151_4
.LBB151_7:
	s_cmp_lt_i32 s6, 1
	s_cbranch_scc1 .LBB151_37
; %bb.8:
	s_wait_kmcnt 0x0
	s_load_b128 s[8:11], s[0:1], 0x60
	v_lshlrev_b64_e32 v[4:5], 2, v[2:3]
	s_clause 0x3
	s_load_b64 s[2:3], s[0:1], 0x50
	s_load_b64 s[16:17], s[0:1], 0x40
	;; [unrolled: 1-line block ×4, first 2 shown]
	s_wait_xcnt 0x0
	s_lshl_b64 s[0:1], s[24:25], 2
	s_mul_i32 s22, s24, s22
	s_mov_b32 s23, 0
	v_mbcnt_lo_u32_b32 v14, -1, 0
	s_add_nc_u64 s[0:1], s[26:27], s[0:1]
	s_lshl_b64 s[24:25], s[22:23], 2
	s_lshl_b64 s[26:27], s[22:23], 4
	s_cmp_lg_u32 s4, 0
	v_add_nc_u64_e32 v[8:9], s[0:1], v[4:5]
	v_mul_lo_u32 v33, v0, s12
	v_dual_mov_b32 v35, 0 :: v_dual_mov_b32 v24, 0
	v_mov_b32_e32 v34, 0
	v_mov_b32_e32 v32, 0x7c
	s_wait_kmcnt 0x0
	s_add_nc_u64 s[0:1], s[8:9], s[24:25]
	s_add_nc_u64 s[4:5], s[10:11], s[26:27]
	v_add_nc_u64_e32 v[10:11], s[0:1], v[4:5]
	v_lshl_add_u64 v[12:13], v[2:3], 4, s[4:5]
	v_xor_b32_e32 v5, 1, v14
	v_xor_b32_e32 v4, 2, v14
	;; [unrolled: 1-line block ×5, first 2 shown]
	s_cselect_b32 s1, -1, 0
	s_abs_i32 s24, s12
	s_ashr_i32 s5, s12, 31
	v_cmp_gt_i32_e32 vcc_lo, 32, v1
	s_cvt_f32_u32 s0, s24
	s_sub_co_i32 s8, 0, s24
	s_add_co_i32 s25, s7, -1
	s_mov_b32 s26, 0
	v_cndmask_b32_e32 v1, v14, v1, vcc_lo
	v_cmp_gt_i32_e32 vcc_lo, 32, v2
	v_rcp_iflag_f32_e32 v15, s0
	s_delay_alu instid0(VALU_DEP_2) | instskip(SKIP_1) | instid1(TRANS32_DEP_1)
	v_dual_cndmask_b32 v2, v14, v2 :: v_dual_lshlrev_b32 v1, 2, v1
	v_cmp_gt_i32_e32 vcc_lo, 32, v3
	v_readfirstlane_b32 s0, v15
	v_cndmask_b32_e32 v3, v14, v3, vcc_lo
	v_cmp_gt_i32_e32 vcc_lo, 32, v4
	s_mul_f32 s4, s0, 0x4f7ffffe
	v_cmp_eq_u32_e64 s0, 31, v0
	s_delay_alu instid0(VALU_DEP_3) | instskip(SKIP_3) | instid1(VALU_DEP_2)
	v_dual_cndmask_b32 v4, v14, v4 :: v_dual_lshlrev_b32 v29, 2, v3
	v_cmp_gt_i32_e32 vcc_lo, 32, v5
	s_cvt_u32_f32 s10, s4
	s_mov_b32 s4, s12
	v_dual_lshlrev_b32 v28, 2, v2 :: v_dual_lshlrev_b32 v30, 2, v4
	v_cndmask_b32_e32 v5, v14, v5, vcc_lo
	s_mul_i32 s11, s8, s10
	v_mov_b32_e32 v2, 0
	s_mul_u64 s[8:9], s[4:5], s[4:5]
	s_mul_hi_u32 s4, s10, s11
	v_lshlrev_b32_e32 v31, 2, v5
	s_add_co_i32 s10, s10, s4
	s_mov_b32 s11, s23
	s_lshl_b32 s4, s12, 5
	s_branch .LBB151_10
.LBB151_9:                              ;   in Loop: Header=BB151_10 Depth=1
	s_wait_dscnt 0x1
	v_add_nc_u32_e32 v24, 1, v3
	s_delay_alu instid0(VALU_DEP_1) | instskip(SKIP_1) | instid1(SALU_CYCLE_1)
	v_cmp_le_i32_e32 vcc_lo, s6, v24
	s_or_b32 s26, vcc_lo, s26
	s_and_not1_b32 exec_lo, exec_lo, s26
	s_cbranch_execz .LBB151_37
.LBB151_10:                             ; =>This Loop Header: Depth=1
                                        ;     Child Loop BB151_14 Depth 2
                                        ;       Child Loop BB151_17 Depth 3
                                        ;     Child Loop BB151_31 Depth 2
	v_mov_b32_e32 v25, s6
	s_and_not1_b32 vcc_lo, exec_lo, s28
	s_cbranch_vccnz .LBB151_23
; %bb.11:                               ;   in Loop: Header=BB151_10 Depth=1
	v_mov_b32_e32 v25, s6
	s_mov_b32 s22, 0
	s_branch .LBB151_14
.LBB151_12:                             ;   in Loop: Header=BB151_14 Depth=2
	s_wait_xcnt 0x0
	s_or_b32 exec_lo, exec_lo, s29
.LBB151_13:                             ;   in Loop: Header=BB151_14 Depth=2
	s_delay_alu instid0(SALU_CYCLE_1) | instskip(SKIP_1) | instid1(SALU_CYCLE_1)
	s_or_b32 exec_lo, exec_lo, s27
	s_add_co_i32 s22, s22, 1
	s_cmp_eq_u32 s22, s13
	s_cbranch_scc1 .LBB151_23
.LBB151_14:                             ;   Parent Loop BB151_10 Depth=1
                                        ; =>  This Loop Header: Depth=2
                                        ;       Child Loop BB151_17 Depth 3
	s_lshl_b64 s[30:31], s[22:23], 2
	v_lshl_add_u64 v[18:19], s[22:23], 4, v[12:13]
	v_add_nc_u64_e32 v[14:15], s[30:31], v[6:7]
	v_add_nc_u64_e32 v[4:5], s[30:31], v[8:9]
	;; [unrolled: 1-line block ×3, first 2 shown]
	v_mov_b32_e32 v3, v2
	s_mov_b32 s27, exec_lo
	s_clause 0x1
	global_load_b32 v20, v[14:15], off
	global_load_b32 v26, v[4:5], off
	s_wait_xcnt 0x0
	v_dual_mov_b32 v4, v2 :: v_dual_mov_b32 v5, v2
	v_mov_b32_e32 v21, s6
	global_store_b128 v[18:19], v[2:5], off
	global_store_b32 v[16:17], v21, off
	s_wait_loadcnt 0x0
	s_wait_xcnt 0x0
	v_cmpx_lt_i32_e64 v20, v26
	s_cbranch_execz .LBB151_13
; %bb.15:                               ;   in Loop: Header=BB151_14 Depth=2
	v_ashrrev_i32_e32 v21, 31, v20
	s_mov_b32 s29, 0
                                        ; implicit-def: $sgpr30
                                        ; implicit-def: $sgpr33
                                        ; implicit-def: $sgpr31
	s_delay_alu instid0(VALU_DEP_1)
	v_lshl_add_u64 v[4:5], v[20:21], 4, s[18:19]
	v_lshl_add_u64 v[22:23], v[20:21], 2, s[20:21]
	s_branch .LBB151_17
.LBB151_16:                             ;   in Loop: Header=BB151_17 Depth=3
	s_or_b32 exec_lo, exec_lo, s34
	s_delay_alu instid0(SALU_CYCLE_1) | instskip(NEXT) | instid1(SALU_CYCLE_1)
	s_and_b32 s34, exec_lo, s33
	s_or_b32 s29, s34, s29
	s_and_not1_b32 s30, s30, exec_lo
	s_and_b32 s34, s31, exec_lo
	s_delay_alu instid0(SALU_CYCLE_1)
	s_or_b32 s30, s30, s34
	s_and_not1_b32 exec_lo, exec_lo, s29
	s_cbranch_execz .LBB151_19
.LBB151_17:                             ;   Parent Loop BB151_10 Depth=1
                                        ;     Parent Loop BB151_14 Depth=2
                                        ; =>    This Inner Loop Header: Depth=3
	global_load_b128 v[36:39], v[4:5], off
	s_or_b32 s31, s31, exec_lo
	s_or_b32 s33, s33, exec_lo
	s_mov_b32 s34, exec_lo
	s_wait_loadcnt 0x0
	global_store_b128 v[18:19], v[36:39], off
	global_load_b32 v3, v[22:23], off
	s_wait_loadcnt 0x0
	v_subrev_nc_u32_e32 v21, s14, v3
	v_mov_b32_e32 v3, v20
                                        ; implicit-def: $vgpr20
	s_wait_xcnt 0x0
	s_delay_alu instid0(VALU_DEP_2)
	v_cmpx_lt_i32_e64 v21, v24
	s_cbranch_execz .LBB151_16
; %bb.18:                               ;   in Loop: Header=BB151_17 Depth=3
	s_delay_alu instid0(VALU_DEP_2)
	v_add_nc_u32_e32 v20, 1, v3
	v_add_nc_u64_e32 v[4:5], 16, v[4:5]
	v_add_nc_u64_e32 v[22:23], 4, v[22:23]
	s_and_not1_b32 s33, s33, exec_lo
	s_and_not1_b32 s31, s31, exec_lo
	v_cmp_ge_i32_e32 vcc_lo, v20, v26
	s_and_b32 s35, vcc_lo, exec_lo
	s_delay_alu instid0(SALU_CYCLE_1)
	s_or_b32 s33, s33, s35
	s_branch .LBB151_16
.LBB151_19:                             ;   in Loop: Header=BB151_14 Depth=2
	s_or_b32 exec_lo, exec_lo, s29
	s_xor_b32 s29, s30, -1
	s_delay_alu instid0(SALU_CYCLE_1) | instskip(NEXT) | instid1(SALU_CYCLE_1)
	s_and_saveexec_b32 s30, s29
	s_xor_b32 s29, exec_lo, s30
	s_cbranch_execz .LBB151_21
; %bb.20:                               ;   in Loop: Header=BB151_14 Depth=2
	global_store_b32 v[16:17], v21, off
                                        ; implicit-def: $vgpr16_vgpr17
                                        ; implicit-def: $vgpr14_vgpr15
.LBB151_21:                             ;   in Loop: Header=BB151_14 Depth=2
	s_wait_xcnt 0x0
	s_and_not1_saveexec_b32 s29, s29
	s_cbranch_execz .LBB151_12
; %bb.22:                               ;   in Loop: Header=BB151_14 Depth=2
	v_min_i32_e32 v25, v21, v25
	global_store_b32 v[16:17], v21, off
	global_store_b32 v[14:15], v3, off
	s_branch .LBB151_12
.LBB151_23:                             ;   in Loop: Header=BB151_10 Depth=1
	ds_bpermute_b32 v3, v1, v25
	s_wait_dscnt 0x0
	v_min_i32_e32 v3, v3, v25
	ds_bpermute_b32 v4, v28, v3
	s_wait_dscnt 0x0
	v_min_i32_e32 v3, v4, v3
	;; [unrolled: 3-line block ×5, first 2 shown]
	s_delay_alu instid0(VALU_DEP_1) | instskip(SKIP_1) | instid1(SALU_CYCLE_1)
	v_cmp_gt_i32_e32 vcc_lo, s6, v3
	s_and_b32 s27, s0, vcc_lo
	s_and_saveexec_b32 s22, s27
	s_cbranch_execz .LBB151_27
; %bb.24:                               ;   in Loop: Header=BB151_10 Depth=1
	v_dual_mov_b32 v5, v2 :: v_dual_sub_nc_u32 v4, 0, v3
	s_mov_b32 s27, exec_lo
	s_delay_alu instid0(VALU_DEP_1) | instskip(NEXT) | instid1(VALU_DEP_1)
	v_max_i32_e32 v4, v3, v4
	v_mul_u64_e32 v[14:15], s[10:11], v[4:5]
	s_delay_alu instid0(VALU_DEP_1) | instskip(NEXT) | instid1(VALU_DEP_1)
	v_mul_lo_u32 v5, v15, s24
	v_dual_sub_nc_u32 v4, v4, v5 :: v_dual_add_nc_u32 v5, 1, v15
	s_delay_alu instid0(VALU_DEP_1) | instskip(NEXT) | instid1(VALU_DEP_2)
	v_cmp_le_u32_e32 vcc_lo, s24, v4
	v_cndmask_b32_e32 v5, v15, v5, vcc_lo
	v_subrev_nc_u32_e32 v14, s24, v4
	s_delay_alu instid0(VALU_DEP_1) | instskip(NEXT) | instid1(VALU_DEP_1)
	v_dual_cndmask_b32 v4, v4, v14 :: v_dual_ashrrev_i32 v15, 31, v3
	v_dual_add_nc_u32 v14, 1, v5 :: v_dual_bitop2_b32 v15, s5, v15 bitop3:0x14
	s_delay_alu instid0(VALU_DEP_2) | instskip(NEXT) | instid1(VALU_DEP_2)
	v_cmp_le_u32_e32 vcc_lo, s24, v4
	v_cndmask_b32_e32 v4, v5, v14, vcc_lo
	s_delay_alu instid0(VALU_DEP_1) | instskip(NEXT) | instid1(VALU_DEP_1)
	v_xor_b32_e32 v4, v4, v15
	v_sub_nc_u32_e32 v4, v4, v15
	s_delay_alu instid0(VALU_DEP_1)
	v_cmpx_ge_i32_e64 v4, v34
	s_cbranch_execz .LBB151_26
; %bb.25:                               ;   in Loop: Header=BB151_10 Depth=1
	v_dual_add_nc_u32 v5, 1, v35 :: v_dual_add_nc_u32 v34, 1, v4
	v_dual_add_nc_u32 v14, s7, v35 :: v_dual_add_nc_u32 v4, s15, v4
	s_delay_alu instid0(VALU_DEP_2)
	v_mov_b32_e32 v35, v5
	global_store_b32 v14, v4, s[2:3] scale_offset
.LBB151_26:                             ;   in Loop: Header=BB151_10 Depth=1
	s_wait_xcnt 0x0
	s_or_b32 exec_lo, exec_lo, s27
.LBB151_27:                             ;   in Loop: Header=BB151_10 Depth=1
	s_delay_alu instid0(SALU_CYCLE_1)
	s_or_b32 exec_lo, exec_lo, s22
	ds_bpermute_b32 v3, v32, v3
	ds_bpermute_b32 v35, v32, v35
	s_and_not1_b32 vcc_lo, exec_lo, s28
	s_cbranch_vccnz .LBB151_9
; %bb.28:                               ;   in Loop: Header=BB151_10 Depth=1
	s_wait_dscnt 0x1
	v_dual_mov_b32 v5, v2 :: v_dual_sub_nc_u32 v4, 0, v3
	s_mov_b32 s22, s13
	s_wait_dscnt 0x0
	s_delay_alu instid0(VALU_DEP_1) | instskip(NEXT) | instid1(VALU_DEP_1)
	v_dual_add_nc_u32 v16, s25, v35 :: v_dual_max_i32 v4, v3, v4
	v_mul_u64_e32 v[14:15], s[10:11], v[4:5]
	s_delay_alu instid0(VALU_DEP_1) | instskip(NEXT) | instid1(VALU_DEP_1)
	v_mul_lo_u32 v5, v15, s24
	v_dual_ashrrev_i32 v17, 31, v16 :: v_dual_sub_nc_u32 v4, v4, v5
	s_delay_alu instid0(VALU_DEP_1) | instskip(SKIP_1) | instid1(VALU_DEP_3)
	v_mul_u64_e32 v[18:19], s[8:9], v[16:17]
	v_mov_b32_e32 v16, v0
	v_subrev_nc_u32_e32 v14, s24, v4
	v_cmp_le_u32_e32 vcc_lo, s24, v4
	s_delay_alu instid0(VALU_DEP_2) | instskip(NEXT) | instid1(VALU_DEP_1)
	v_dual_cndmask_b32 v4, v4, v14 :: v_dual_add_nc_u32 v5, 1, v15
	v_dual_cndmask_b32 v5, v15, v5, vcc_lo :: v_dual_ashrrev_i32 v15, 31, v3
	s_delay_alu instid0(VALU_DEP_2) | instskip(NEXT) | instid1(VALU_DEP_2)
	v_cmp_le_u32_e32 vcc_lo, s24, v4
	v_dual_add_nc_u32 v14, 1, v5 :: v_dual_bitop2_b32 v17, s5, v15 bitop3:0x14
	s_delay_alu instid0(VALU_DEP_1) | instskip(SKIP_1) | instid1(VALU_DEP_2)
	v_cndmask_b32_e32 v4, v5, v14, vcc_lo
	v_mov_b64_e32 v[14:15], v[10:11]
	v_xor_b32_e32 v20, v4, v17
	v_mov_b64_e32 v[4:5], v[12:13]
	s_delay_alu instid0(VALU_DEP_2)
	v_dual_sub_nc_u32 v36, v20, v17 :: v_dual_mov_b32 v20, v33
	v_lshl_add_u64 v[18:19], v[18:19], 4, s[16:17]
	s_branch .LBB151_31
.LBB151_29:                             ;   in Loop: Header=BB151_31 Depth=2
	global_load_b128 v[38:41], v[4:5], off
	v_lshl_add_u64 v[22:23], v[24:25], 4, v[18:19]
	s_delay_alu instid0(VALU_DEP_1)
	v_lshl_add_u64 v[22:23], v[26:27], 4, v[22:23]
	s_wait_loadcnt 0x0
	global_store_b128 v[22:23], v[38:41], off
.LBB151_30:                             ;   in Loop: Header=BB151_31 Depth=2
	s_wait_xcnt 0x0
	s_or_b32 exec_lo, exec_lo, s27
	v_add_nc_u64_e32 v[14:15], 4, v[14:15]
	v_add_nc_u64_e32 v[4:5], 16, v[4:5]
	v_add_nc_u32_e32 v20, s4, v20
	v_add_nc_u32_e32 v16, 32, v16
	s_add_co_i32 s22, s22, -1
	s_delay_alu instid0(SALU_CYCLE_1)
	s_cmp_eq_u32 s22, 0
	s_cbranch_scc1 .LBB151_9
.LBB151_31:                             ;   Parent Loop BB151_10 Depth=1
                                        ; =>  This Inner Loop Header: Depth=2
	global_load_b32 v17, v[14:15], off
	s_mov_b32 s27, exec_lo
	s_wait_loadcnt 0x0
	v_cmpx_gt_i32_e64 s6, v17
	s_cbranch_execz .LBB151_30
; %bb.32:                               ;   in Loop: Header=BB151_31 Depth=2
	v_dual_sub_nc_u32 v21, 0, v17 :: v_dual_mov_b32 v23, v2
	s_delay_alu instid0(VALU_DEP_1) | instskip(NEXT) | instid1(VALU_DEP_1)
	v_max_i32_e32 v22, v17, v21
	v_mul_u64_e32 v[24:25], s[10:11], v[22:23]
	s_delay_alu instid0(VALU_DEP_1) | instskip(SKIP_1) | instid1(VALU_DEP_2)
	v_mul_lo_u32 v21, v25, s24
	v_add_nc_u32_e32 v23, 1, v25
	v_sub_nc_u32_e32 v21, v22, v21
	s_delay_alu instid0(VALU_DEP_1) | instskip(NEXT) | instid1(VALU_DEP_3)
	v_cmp_le_u32_e32 vcc_lo, s24, v21
	v_cndmask_b32_e32 v23, v25, v23, vcc_lo
	v_subrev_nc_u32_e32 v24, s24, v21
	s_delay_alu instid0(VALU_DEP_1) | instskip(NEXT) | instid1(VALU_DEP_1)
	v_dual_cndmask_b32 v21, v21, v24 :: v_dual_add_nc_u32 v24, 1, v23
	v_cmp_le_u32_e32 vcc_lo, s24, v21
	s_delay_alu instid0(VALU_DEP_2) | instskip(NEXT) | instid1(VALU_DEP_1)
	v_dual_ashrrev_i32 v37, 31, v17 :: v_dual_cndmask_b32 v21, v23, v24, vcc_lo
	v_xor_b32_e32 v25, s5, v37
	s_delay_alu instid0(VALU_DEP_1) | instskip(NEXT) | instid1(VALU_DEP_1)
	v_xor_b32_e32 v21, v21, v25
	v_sub_nc_u32_e32 v21, v21, v25
	s_delay_alu instid0(VALU_DEP_1)
	v_cmp_eq_u32_e32 vcc_lo, v21, v36
	s_and_b32 exec_lo, exec_lo, vcc_lo
	s_cbranch_execz .LBB151_30
; %bb.33:                               ;   in Loop: Header=BB151_31 Depth=2
	s_and_b32 vcc_lo, exec_lo, s1
	s_cbranch_vccz .LBB151_35
; %bb.34:                               ;   in Loop: Header=BB151_31 Depth=2
	v_mul_lo_u32 v21, v36, s12
	s_delay_alu instid0(VALU_DEP_1) | instskip(NEXT) | instid1(VALU_DEP_1)
	v_sub_nc_u32_e32 v17, v17, v21
	v_mul_lo_u32 v24, v17, s12
	v_mov_b32_e32 v17, v2
	s_delay_alu instid0(VALU_DEP_1) | instskip(NEXT) | instid1(VALU_DEP_3)
	v_mov_b64_e32 v[26:27], v[16:17]
	v_ashrrev_i32_e32 v25, 31, v24
	s_cbranch_execnz .LBB151_29
	s_branch .LBB151_36
.LBB151_35:                             ;   in Loop: Header=BB151_31 Depth=2
	v_mov_b32_e32 v21, v2
                                        ; implicit-def: $vgpr26_vgpr27
	s_delay_alu instid0(VALU_DEP_1)
	v_mov_b64_e32 v[24:25], v[20:21]
.LBB151_36:                             ;   in Loop: Header=BB151_31 Depth=2
	v_mov_b32_e32 v23, v2
	s_delay_alu instid0(VALU_DEP_1) | instskip(NEXT) | instid1(VALU_DEP_1)
	v_mul_u64_e32 v[26:27], s[10:11], v[22:23]
	v_mul_lo_u32 v17, v27, s24
	s_delay_alu instid0(VALU_DEP_1) | instskip(NEXT) | instid1(VALU_DEP_1)
	v_sub_nc_u32_e32 v17, v22, v17
	v_subrev_nc_u32_e32 v21, s24, v17
	v_cmp_le_u32_e32 vcc_lo, s24, v17
	s_delay_alu instid0(VALU_DEP_2) | instskip(NEXT) | instid1(VALU_DEP_1)
	v_cndmask_b32_e32 v17, v17, v21, vcc_lo
	v_subrev_nc_u32_e32 v21, s24, v17
	v_cmp_le_u32_e32 vcc_lo, s24, v17
	s_delay_alu instid0(VALU_DEP_2) | instskip(NEXT) | instid1(VALU_DEP_1)
	v_cndmask_b32_e32 v17, v17, v21, vcc_lo
	v_xor_b32_e32 v17, v17, v37
	s_delay_alu instid0(VALU_DEP_1) | instskip(NEXT) | instid1(VALU_DEP_1)
	v_sub_nc_u32_e32 v26, v17, v37
	v_ashrrev_i32_e32 v27, 31, v26
	s_branch .LBB151_29
.LBB151_37:
	s_endpgm
	.section	.rodata,"a",@progbits
	.p2align	6, 0x0
	.amdhsa_kernel _ZN9rocsparseL21csr2bsr_65_inf_kernelILj32E21rocsparse_complex_numIdEiiEEv20rocsparse_direction_T2_S4_S4_S4_S4_S4_21rocsparse_index_base_PKT0_PKT1_PKS4_S5_PS6_PS9_PS4_SF_SG_SE_
		.amdhsa_group_segment_fixed_size 0
		.amdhsa_private_segment_fixed_size 0
		.amdhsa_kernarg_size 112
		.amdhsa_user_sgpr_count 2
		.amdhsa_user_sgpr_dispatch_ptr 0
		.amdhsa_user_sgpr_queue_ptr 0
		.amdhsa_user_sgpr_kernarg_segment_ptr 1
		.amdhsa_user_sgpr_dispatch_id 0
		.amdhsa_user_sgpr_kernarg_preload_length 0
		.amdhsa_user_sgpr_kernarg_preload_offset 0
		.amdhsa_user_sgpr_private_segment_size 0
		.amdhsa_wavefront_size32 1
		.amdhsa_uses_dynamic_stack 0
		.amdhsa_enable_private_segment 0
		.amdhsa_system_sgpr_workgroup_id_x 1
		.amdhsa_system_sgpr_workgroup_id_y 0
		.amdhsa_system_sgpr_workgroup_id_z 0
		.amdhsa_system_sgpr_workgroup_info 0
		.amdhsa_system_vgpr_workitem_id 0
		.amdhsa_next_free_vgpr 42
		.amdhsa_next_free_sgpr 36
		.amdhsa_named_barrier_count 0
		.amdhsa_reserve_vcc 1
		.amdhsa_float_round_mode_32 0
		.amdhsa_float_round_mode_16_64 0
		.amdhsa_float_denorm_mode_32 3
		.amdhsa_float_denorm_mode_16_64 3
		.amdhsa_fp16_overflow 0
		.amdhsa_memory_ordered 1
		.amdhsa_forward_progress 1
		.amdhsa_inst_pref_size 17
		.amdhsa_round_robin_scheduling 0
		.amdhsa_exception_fp_ieee_invalid_op 0
		.amdhsa_exception_fp_denorm_src 0
		.amdhsa_exception_fp_ieee_div_zero 0
		.amdhsa_exception_fp_ieee_overflow 0
		.amdhsa_exception_fp_ieee_underflow 0
		.amdhsa_exception_fp_ieee_inexact 0
		.amdhsa_exception_int_div_zero 0
	.end_amdhsa_kernel
	.section	.text._ZN9rocsparseL21csr2bsr_65_inf_kernelILj32E21rocsparse_complex_numIdEiiEEv20rocsparse_direction_T2_S4_S4_S4_S4_S4_21rocsparse_index_base_PKT0_PKT1_PKS4_S5_PS6_PS9_PS4_SF_SG_SE_,"axG",@progbits,_ZN9rocsparseL21csr2bsr_65_inf_kernelILj32E21rocsparse_complex_numIdEiiEEv20rocsparse_direction_T2_S4_S4_S4_S4_S4_21rocsparse_index_base_PKT0_PKT1_PKS4_S5_PS6_PS9_PS4_SF_SG_SE_,comdat
.Lfunc_end151:
	.size	_ZN9rocsparseL21csr2bsr_65_inf_kernelILj32E21rocsparse_complex_numIdEiiEEv20rocsparse_direction_T2_S4_S4_S4_S4_S4_21rocsparse_index_base_PKT0_PKT1_PKS4_S5_PS6_PS9_PS4_SF_SG_SE_, .Lfunc_end151-_ZN9rocsparseL21csr2bsr_65_inf_kernelILj32E21rocsparse_complex_numIdEiiEEv20rocsparse_direction_T2_S4_S4_S4_S4_S4_21rocsparse_index_base_PKT0_PKT1_PKS4_S5_PS6_PS9_PS4_SF_SG_SE_
                                        ; -- End function
	.set _ZN9rocsparseL21csr2bsr_65_inf_kernelILj32E21rocsparse_complex_numIdEiiEEv20rocsparse_direction_T2_S4_S4_S4_S4_S4_21rocsparse_index_base_PKT0_PKT1_PKS4_S5_PS6_PS9_PS4_SF_SG_SE_.num_vgpr, 42
	.set _ZN9rocsparseL21csr2bsr_65_inf_kernelILj32E21rocsparse_complex_numIdEiiEEv20rocsparse_direction_T2_S4_S4_S4_S4_S4_21rocsparse_index_base_PKT0_PKT1_PKS4_S5_PS6_PS9_PS4_SF_SG_SE_.num_agpr, 0
	.set _ZN9rocsparseL21csr2bsr_65_inf_kernelILj32E21rocsparse_complex_numIdEiiEEv20rocsparse_direction_T2_S4_S4_S4_S4_S4_21rocsparse_index_base_PKT0_PKT1_PKS4_S5_PS6_PS9_PS4_SF_SG_SE_.numbered_sgpr, 36
	.set _ZN9rocsparseL21csr2bsr_65_inf_kernelILj32E21rocsparse_complex_numIdEiiEEv20rocsparse_direction_T2_S4_S4_S4_S4_S4_21rocsparse_index_base_PKT0_PKT1_PKS4_S5_PS6_PS9_PS4_SF_SG_SE_.num_named_barrier, 0
	.set _ZN9rocsparseL21csr2bsr_65_inf_kernelILj32E21rocsparse_complex_numIdEiiEEv20rocsparse_direction_T2_S4_S4_S4_S4_S4_21rocsparse_index_base_PKT0_PKT1_PKS4_S5_PS6_PS9_PS4_SF_SG_SE_.private_seg_size, 0
	.set _ZN9rocsparseL21csr2bsr_65_inf_kernelILj32E21rocsparse_complex_numIdEiiEEv20rocsparse_direction_T2_S4_S4_S4_S4_S4_21rocsparse_index_base_PKT0_PKT1_PKS4_S5_PS6_PS9_PS4_SF_SG_SE_.uses_vcc, 1
	.set _ZN9rocsparseL21csr2bsr_65_inf_kernelILj32E21rocsparse_complex_numIdEiiEEv20rocsparse_direction_T2_S4_S4_S4_S4_S4_21rocsparse_index_base_PKT0_PKT1_PKS4_S5_PS6_PS9_PS4_SF_SG_SE_.uses_flat_scratch, 0
	.set _ZN9rocsparseL21csr2bsr_65_inf_kernelILj32E21rocsparse_complex_numIdEiiEEv20rocsparse_direction_T2_S4_S4_S4_S4_S4_21rocsparse_index_base_PKT0_PKT1_PKS4_S5_PS6_PS9_PS4_SF_SG_SE_.has_dyn_sized_stack, 0
	.set _ZN9rocsparseL21csr2bsr_65_inf_kernelILj32E21rocsparse_complex_numIdEiiEEv20rocsparse_direction_T2_S4_S4_S4_S4_S4_21rocsparse_index_base_PKT0_PKT1_PKS4_S5_PS6_PS9_PS4_SF_SG_SE_.has_recursion, 0
	.set _ZN9rocsparseL21csr2bsr_65_inf_kernelILj32E21rocsparse_complex_numIdEiiEEv20rocsparse_direction_T2_S4_S4_S4_S4_S4_21rocsparse_index_base_PKT0_PKT1_PKS4_S5_PS6_PS9_PS4_SF_SG_SE_.has_indirect_call, 0
	.section	.AMDGPU.csdata,"",@progbits
; Kernel info:
; codeLenInByte = 2120
; TotalNumSgprs: 38
; NumVgprs: 42
; ScratchSize: 0
; MemoryBound: 0
; FloatMode: 240
; IeeeMode: 1
; LDSByteSize: 0 bytes/workgroup (compile time only)
; SGPRBlocks: 0
; VGPRBlocks: 2
; NumSGPRsForWavesPerEU: 38
; NumVGPRsForWavesPerEU: 42
; NamedBarCnt: 0
; Occupancy: 16
; WaveLimiterHint : 0
; COMPUTE_PGM_RSRC2:SCRATCH_EN: 0
; COMPUTE_PGM_RSRC2:USER_SGPR: 2
; COMPUTE_PGM_RSRC2:TRAP_HANDLER: 0
; COMPUTE_PGM_RSRC2:TGID_X_EN: 1
; COMPUTE_PGM_RSRC2:TGID_Y_EN: 0
; COMPUTE_PGM_RSRC2:TGID_Z_EN: 0
; COMPUTE_PGM_RSRC2:TIDIG_COMP_CNT: 0
	.section	.text._ZN9rocsparseL35csr2bsr_block_dim_equals_one_kernelILj256E21rocsparse_complex_numIdEliEEvT2_S3_S3_S3_21rocsparse_index_base_PKT0_PKT1_PKS3_S4_PS5_PS8_PS3_,"axG",@progbits,_ZN9rocsparseL35csr2bsr_block_dim_equals_one_kernelILj256E21rocsparse_complex_numIdEliEEvT2_S3_S3_S3_21rocsparse_index_base_PKT0_PKT1_PKS3_S4_PS5_PS8_PS3_,comdat
	.globl	_ZN9rocsparseL35csr2bsr_block_dim_equals_one_kernelILj256E21rocsparse_complex_numIdEliEEvT2_S3_S3_S3_21rocsparse_index_base_PKT0_PKT1_PKS3_S4_PS5_PS8_PS3_ ; -- Begin function _ZN9rocsparseL35csr2bsr_block_dim_equals_one_kernelILj256E21rocsparse_complex_numIdEliEEvT2_S3_S3_S3_21rocsparse_index_base_PKT0_PKT1_PKS3_S4_PS5_PS8_PS3_
	.p2align	8
	.type	_ZN9rocsparseL35csr2bsr_block_dim_equals_one_kernelILj256E21rocsparse_complex_numIdEliEEvT2_S3_S3_S3_21rocsparse_index_base_PKT0_PKT1_PKS3_S4_PS5_PS8_PS3_,@function
_ZN9rocsparseL35csr2bsr_block_dim_equals_one_kernelILj256E21rocsparse_complex_numIdEliEEvT2_S3_S3_S3_21rocsparse_index_base_PKT0_PKT1_PKS3_S4_PS5_PS8_PS3_: ; @_ZN9rocsparseL35csr2bsr_block_dim_equals_one_kernelILj256E21rocsparse_complex_numIdEliEEvT2_S3_S3_S3_21rocsparse_index_base_PKT0_PKT1_PKS3_S4_PS5_PS8_PS3_
; %bb.0:
	s_clause 0x1
	s_load_b32 s2, s[0:1], 0x0
	s_load_b128 s[4:7], s[0:1], 0x18
	s_bfe_u32 s3, ttmp6, 0x4000c
	s_and_b32 s8, ttmp6, 15
	s_add_co_i32 s3, s3, 1
	s_getreg_b32 s9, hwreg(HW_REG_IB_STS2, 6, 4)
	s_mul_i32 s3, ttmp9, s3
	s_delay_alu instid0(SALU_CYCLE_1)
	s_add_co_i32 s8, s8, s3
	s_wait_kmcnt 0x0
	s_ashr_i32 s3, s2, 31
	s_cmp_eq_u32 s9, 0
	s_cselect_b32 s12, ttmp9, s8
	s_lshl_b64 s[2:3], s[2:3], 3
	v_lshl_or_b32 v0, s12, 8, v0
	s_add_nc_u64 s[2:3], s[6:7], s[2:3]
	s_clause 0x1
	s_load_b64 s[8:9], s[2:3], 0x0
	s_load_b64 s[10:11], s[6:7], 0x0
	s_wait_xcnt 0x0
	s_mov_b32 s7, 0
	v_ashrrev_i32_e32 v1, 31, v0
	s_mov_b32 s6, exec_lo
	s_wait_kmcnt 0x0
	s_sub_nc_u64 s[2:3], s[8:9], s[10:11]
	s_delay_alu instid0(VALU_DEP_1) | instid1(SALU_CYCLE_1)
	v_cmpx_gt_i64_e64 s[2:3], v[0:1]
	s_cbranch_execz .LBB152_3
; %bb.1:
	s_clause 0x3
	s_load_b96 s[8:10], s[0:1], 0x48
	s_load_b96 s[12:14], s[0:1], 0x28
	s_load_b64 s[16:17], s[0:1], 0x38
	s_load_b32 s11, s[0:1], 0x10
	v_lshlrev_b64_e32 v[2:3], 4, v[0:1]
	v_lshlrev_b64_e32 v[4:5], 2, v[0:1]
	s_mov_b32 s15, s7
	s_wait_kmcnt 0x0
	s_lshl_b32 s6, s10, 8
	s_delay_alu instid0(SALU_CYCLE_1)
	s_lshl_b64 s[0:1], s[6:7], 4
	s_sub_co_i32 s14, s14, s11
	s_lshl_b64 s[10:11], s[6:7], 2
.LBB152_2:                              ; =>This Inner Loop Header: Depth=1
	v_add_nc_u64_e32 v[6:7], s[12:13], v[4:5]
	v_add_nc_u64_e32 v[8:9], s[4:5], v[2:3]
	;; [unrolled: 1-line block ×3, first 2 shown]
	global_load_b32 v10, v[6:7], off
	s_wait_xcnt 0x0
	v_add_nc_u64_e32 v[6:7], s[8:9], v[4:5]
	v_cmp_le_i64_e32 vcc_lo, s[2:3], v[0:1]
	v_add_nc_u64_e32 v[4:5], s[10:11], v[4:5]
	s_or_b32 s15, vcc_lo, s15
	s_wait_loadcnt 0x0
	v_add_nc_u32_e32 v10, s14, v10
	global_store_b32 v[6:7], v10, off
	global_load_b128 v[6:9], v[8:9], off
	v_add_nc_u64_e32 v[10:11], s[16:17], v[2:3]
	v_add_nc_u64_e32 v[2:3], s[0:1], v[2:3]
	s_wait_loadcnt 0x0
	global_store_b128 v[10:11], v[6:9], off
	s_wait_xcnt 0x0
	s_and_not1_b32 exec_lo, exec_lo, s15
	s_cbranch_execnz .LBB152_2
.LBB152_3:
	s_endpgm
	.section	.rodata,"a",@progbits
	.p2align	6, 0x0
	.amdhsa_kernel _ZN9rocsparseL35csr2bsr_block_dim_equals_one_kernelILj256E21rocsparse_complex_numIdEliEEvT2_S3_S3_S3_21rocsparse_index_base_PKT0_PKT1_PKS3_S4_PS5_PS8_PS3_
		.amdhsa_group_segment_fixed_size 0
		.amdhsa_private_segment_fixed_size 0
		.amdhsa_kernarg_size 336
		.amdhsa_user_sgpr_count 2
		.amdhsa_user_sgpr_dispatch_ptr 0
		.amdhsa_user_sgpr_queue_ptr 0
		.amdhsa_user_sgpr_kernarg_segment_ptr 1
		.amdhsa_user_sgpr_dispatch_id 0
		.amdhsa_user_sgpr_kernarg_preload_length 0
		.amdhsa_user_sgpr_kernarg_preload_offset 0
		.amdhsa_user_sgpr_private_segment_size 0
		.amdhsa_wavefront_size32 1
		.amdhsa_uses_dynamic_stack 0
		.amdhsa_enable_private_segment 0
		.amdhsa_system_sgpr_workgroup_id_x 1
		.amdhsa_system_sgpr_workgroup_id_y 0
		.amdhsa_system_sgpr_workgroup_id_z 0
		.amdhsa_system_sgpr_workgroup_info 0
		.amdhsa_system_vgpr_workitem_id 0
		.amdhsa_next_free_vgpr 12
		.amdhsa_next_free_sgpr 18
		.amdhsa_named_barrier_count 0
		.amdhsa_reserve_vcc 1
		.amdhsa_float_round_mode_32 0
		.amdhsa_float_round_mode_16_64 0
		.amdhsa_float_denorm_mode_32 3
		.amdhsa_float_denorm_mode_16_64 3
		.amdhsa_fp16_overflow 0
		.amdhsa_memory_ordered 1
		.amdhsa_forward_progress 1
		.amdhsa_inst_pref_size 3
		.amdhsa_round_robin_scheduling 0
		.amdhsa_exception_fp_ieee_invalid_op 0
		.amdhsa_exception_fp_denorm_src 0
		.amdhsa_exception_fp_ieee_div_zero 0
		.amdhsa_exception_fp_ieee_overflow 0
		.amdhsa_exception_fp_ieee_underflow 0
		.amdhsa_exception_fp_ieee_inexact 0
		.amdhsa_exception_int_div_zero 0
	.end_amdhsa_kernel
	.section	.text._ZN9rocsparseL35csr2bsr_block_dim_equals_one_kernelILj256E21rocsparse_complex_numIdEliEEvT2_S3_S3_S3_21rocsparse_index_base_PKT0_PKT1_PKS3_S4_PS5_PS8_PS3_,"axG",@progbits,_ZN9rocsparseL35csr2bsr_block_dim_equals_one_kernelILj256E21rocsparse_complex_numIdEliEEvT2_S3_S3_S3_21rocsparse_index_base_PKT0_PKT1_PKS3_S4_PS5_PS8_PS3_,comdat
.Lfunc_end152:
	.size	_ZN9rocsparseL35csr2bsr_block_dim_equals_one_kernelILj256E21rocsparse_complex_numIdEliEEvT2_S3_S3_S3_21rocsparse_index_base_PKT0_PKT1_PKS3_S4_PS5_PS8_PS3_, .Lfunc_end152-_ZN9rocsparseL35csr2bsr_block_dim_equals_one_kernelILj256E21rocsparse_complex_numIdEliEEvT2_S3_S3_S3_21rocsparse_index_base_PKT0_PKT1_PKS3_S4_PS5_PS8_PS3_
                                        ; -- End function
	.set _ZN9rocsparseL35csr2bsr_block_dim_equals_one_kernelILj256E21rocsparse_complex_numIdEliEEvT2_S3_S3_S3_21rocsparse_index_base_PKT0_PKT1_PKS3_S4_PS5_PS8_PS3_.num_vgpr, 12
	.set _ZN9rocsparseL35csr2bsr_block_dim_equals_one_kernelILj256E21rocsparse_complex_numIdEliEEvT2_S3_S3_S3_21rocsparse_index_base_PKT0_PKT1_PKS3_S4_PS5_PS8_PS3_.num_agpr, 0
	.set _ZN9rocsparseL35csr2bsr_block_dim_equals_one_kernelILj256E21rocsparse_complex_numIdEliEEvT2_S3_S3_S3_21rocsparse_index_base_PKT0_PKT1_PKS3_S4_PS5_PS8_PS3_.numbered_sgpr, 18
	.set _ZN9rocsparseL35csr2bsr_block_dim_equals_one_kernelILj256E21rocsparse_complex_numIdEliEEvT2_S3_S3_S3_21rocsparse_index_base_PKT0_PKT1_PKS3_S4_PS5_PS8_PS3_.num_named_barrier, 0
	.set _ZN9rocsparseL35csr2bsr_block_dim_equals_one_kernelILj256E21rocsparse_complex_numIdEliEEvT2_S3_S3_S3_21rocsparse_index_base_PKT0_PKT1_PKS3_S4_PS5_PS8_PS3_.private_seg_size, 0
	.set _ZN9rocsparseL35csr2bsr_block_dim_equals_one_kernelILj256E21rocsparse_complex_numIdEliEEvT2_S3_S3_S3_21rocsparse_index_base_PKT0_PKT1_PKS3_S4_PS5_PS8_PS3_.uses_vcc, 1
	.set _ZN9rocsparseL35csr2bsr_block_dim_equals_one_kernelILj256E21rocsparse_complex_numIdEliEEvT2_S3_S3_S3_21rocsparse_index_base_PKT0_PKT1_PKS3_S4_PS5_PS8_PS3_.uses_flat_scratch, 0
	.set _ZN9rocsparseL35csr2bsr_block_dim_equals_one_kernelILj256E21rocsparse_complex_numIdEliEEvT2_S3_S3_S3_21rocsparse_index_base_PKT0_PKT1_PKS3_S4_PS5_PS8_PS3_.has_dyn_sized_stack, 0
	.set _ZN9rocsparseL35csr2bsr_block_dim_equals_one_kernelILj256E21rocsparse_complex_numIdEliEEvT2_S3_S3_S3_21rocsparse_index_base_PKT0_PKT1_PKS3_S4_PS5_PS8_PS3_.has_recursion, 0
	.set _ZN9rocsparseL35csr2bsr_block_dim_equals_one_kernelILj256E21rocsparse_complex_numIdEliEEvT2_S3_S3_S3_21rocsparse_index_base_PKT0_PKT1_PKS3_S4_PS5_PS8_PS3_.has_indirect_call, 0
	.section	.AMDGPU.csdata,"",@progbits
; Kernel info:
; codeLenInByte = 332
; TotalNumSgprs: 20
; NumVgprs: 12
; ScratchSize: 0
; MemoryBound: 0
; FloatMode: 240
; IeeeMode: 1
; LDSByteSize: 0 bytes/workgroup (compile time only)
; SGPRBlocks: 0
; VGPRBlocks: 0
; NumSGPRsForWavesPerEU: 20
; NumVGPRsForWavesPerEU: 12
; NamedBarCnt: 0
; Occupancy: 16
; WaveLimiterHint : 0
; COMPUTE_PGM_RSRC2:SCRATCH_EN: 0
; COMPUTE_PGM_RSRC2:USER_SGPR: 2
; COMPUTE_PGM_RSRC2:TRAP_HANDLER: 0
; COMPUTE_PGM_RSRC2:TGID_X_EN: 1
; COMPUTE_PGM_RSRC2:TGID_Y_EN: 0
; COMPUTE_PGM_RSRC2:TGID_Z_EN: 0
; COMPUTE_PGM_RSRC2:TIDIG_COMP_CNT: 0
	.section	.text._ZN9rocsparseL42csr2bsr_wavefront_per_row_multipass_kernelILj256ELj16ELj4E21rocsparse_complex_numIdEliEEv20rocsparse_direction_T4_S4_S4_S4_S4_21rocsparse_index_base_PKT2_PKT3_PKS4_S5_PS6_PS9_PS4_,"axG",@progbits,_ZN9rocsparseL42csr2bsr_wavefront_per_row_multipass_kernelILj256ELj16ELj4E21rocsparse_complex_numIdEliEEv20rocsparse_direction_T4_S4_S4_S4_S4_21rocsparse_index_base_PKT2_PKT3_PKS4_S5_PS6_PS9_PS4_,comdat
	.globl	_ZN9rocsparseL42csr2bsr_wavefront_per_row_multipass_kernelILj256ELj16ELj4E21rocsparse_complex_numIdEliEEv20rocsparse_direction_T4_S4_S4_S4_S4_21rocsparse_index_base_PKT2_PKT3_PKS4_S5_PS6_PS9_PS4_ ; -- Begin function _ZN9rocsparseL42csr2bsr_wavefront_per_row_multipass_kernelILj256ELj16ELj4E21rocsparse_complex_numIdEliEEv20rocsparse_direction_T4_S4_S4_S4_S4_21rocsparse_index_base_PKT2_PKT3_PKS4_S5_PS6_PS9_PS4_
	.p2align	8
	.type	_ZN9rocsparseL42csr2bsr_wavefront_per_row_multipass_kernelILj256ELj16ELj4E21rocsparse_complex_numIdEliEEv20rocsparse_direction_T4_S4_S4_S4_S4_21rocsparse_index_base_PKT2_PKT3_PKS4_S5_PS6_PS9_PS4_,@function
_ZN9rocsparseL42csr2bsr_wavefront_per_row_multipass_kernelILj256ELj16ELj4E21rocsparse_complex_numIdEliEEv20rocsparse_direction_T4_S4_S4_S4_S4_21rocsparse_index_base_PKT2_PKT3_PKS4_S5_PS6_PS9_PS4_: ; @_ZN9rocsparseL42csr2bsr_wavefront_per_row_multipass_kernelILj256ELj16ELj4E21rocsparse_complex_numIdEliEEv20rocsparse_direction_T4_S4_S4_S4_S4_21rocsparse_index_base_PKT2_PKT3_PKS4_S5_PS6_PS9_PS4_
; %bb.0:
	s_clause 0x1
	s_load_b128 s[4:7], s[0:1], 0xc
	s_load_b64 s[18:19], s[0:1], 0x0
	s_bfe_u32 s2, ttmp6, 0x4000c
	s_and_b32 s3, ttmp6, 15
	s_add_co_i32 s2, s2, 1
	s_getreg_b32 s8, hwreg(HW_REG_IB_STS2, 6, 4)
	s_mul_i32 s2, ttmp9, s2
	v_lshrrev_b32_e32 v28, 4, v0
	s_add_co_i32 s3, s3, s2
	s_cmp_eq_u32 s8, 0
	v_bfe_u32 v1, v0, 2, 2
	s_cselect_b32 s2, ttmp9, s3
	s_load_b64 s[8:9], s[0:1], 0x28
	v_lshl_or_b32 v2, s2, 4, v28
	v_mov_b64_e32 v[4:5], 0
	v_mov_b64_e32 v[12:13], 0
	s_mov_b32 s3, 0
	s_wait_kmcnt 0x0
	v_mad_u32 v3, v2, s6, v1
	v_cmp_gt_i32_e32 vcc_lo, s6, v1
	s_delay_alu instid0(VALU_DEP_2) | instskip(SKIP_1) | instid1(SALU_CYCLE_1)
	v_cmp_gt_i32_e64 s2, s19, v3
	s_and_b32 s10, vcc_lo, s2
	s_and_saveexec_b32 s11, s10
	s_cbranch_execz .LBB153_2
; %bb.1:
	global_load_b64 v[6:7], v3, s[8:9] scale_offset
	s_mov_b32 s2, s7
	s_wait_loadcnt 0x0
	v_sub_nc_u64_e64 v[12:13], v[6:7], s[2:3]
.LBB153_2:
	s_or_b32 exec_lo, exec_lo, s11
	s_and_saveexec_b32 s2, s10
	s_cbranch_execz .LBB153_4
; %bb.3:
	global_load_b64 v[4:5], v3, s[8:9] offset:8 scale_offset
	s_wait_xcnt 0x0
	s_mov_b32 s9, 0
	s_mov_b32 s8, s7
	s_wait_loadcnt 0x0
	v_sub_nc_u64_e64 v[4:5], v[4:5], s[8:9]
.LBB153_4:
	s_or_b32 exec_lo, exec_lo, s2
	s_load_b32 s8, s[0:1], 0x38
	v_mov_b64_e32 v[6:7], 0
	s_mov_b32 s3, exec_lo
	v_cmpx_gt_i32_e64 s4, v2
	s_cbranch_execz .LBB153_6
; %bb.5:
	s_load_b64 s[10:11], s[0:1], 0x48
	s_mov_b32 s9, 0
	s_wait_kmcnt 0x0
	global_load_b64 v[2:3], v2, s[10:11] scale_offset
	s_wait_loadcnt 0x0
	v_sub_nc_u64_e64 v[6:7], v[2:3], s[8:9]
.LBB153_6:
	s_or_b32 exec_lo, exec_lo, s3
	s_cmp_lt_i32 s5, 1
	s_cbranch_scc1 .LBB153_21
; %bb.7:
	s_load_b64 s[20:21], s[0:1], 0x40
	v_dual_mov_b32 v11, 0 :: v_dual_bitop2_b32 v8, 3, v0 bitop3:0x40
	v_lshlrev_b32_e32 v9, 6, v1
	s_clause 0x2
	s_load_b64 s[2:3], s[0:1], 0x50
	s_load_b64 s[10:11], s[0:1], 0x20
	;; [unrolled: 1-line block ×3, first 2 shown]
	v_and_b32_e32 v0, 0xf0, v0
	v_mul_lo_u32 v10, s6, v8
	s_wait_xcnt 0x0
	v_cmp_gt_u32_e64 s0, s6, v8
	v_mbcnt_lo_u32_b32 v22, -1, 0
	v_dual_mov_b32 v29, 1 :: v_dual_lshlrev_b32 v18, 4, v8
	v_mov_b32_e32 v19, v11
	s_and_b32 s1, vcc_lo, s0
	s_cmp_eq_u32 s18, 0
	v_dual_lshlrev_b32 v25, 2, v22 :: v_dual_bitop2_b32 v24, 1, v22 bitop3:0x14
	s_cselect_b32 vcc_lo, -1, 0
	s_abs_i32 s4, s6
	v_xor_b32_e32 v26, 4, v22
	s_cvt_f32_u32 s0, s4
	s_wait_kmcnt 0x0
	v_lshl_add_u64 v[2:3], v[10:11], 4, s[20:21]
	v_lshlrev_b32_e32 v10, 4, v1
	v_lshl_or_b32 v30, v0, 4, v9
	v_dual_mov_b32 v9, v11 :: v_dual_bitop2_b32 v23, 2, v22 bitop3:0x14
	v_mov_b64_e32 v[14:15], 0
	s_delay_alu instid0(VALU_DEP_4)
	v_add_nc_u64_e32 v[16:17], v[2:3], v[10:11]
	v_mul_lo_u32 v10, s6, v1
	v_dual_mov_b32 v3, v11 :: v_dual_bitop2_b32 v31, v30, v18 bitop3:0x54
	s_mov_b32 s15, 0
	s_mov_b32 s14, s6
	;; [unrolled: 1-line block ×3, first 2 shown]
	s_mul_u64 s[16:17], s[14:15], s[14:15]
	v_dual_mov_b32 v2, v11 :: v_dual_bitop2_b32 v33, 60, v25 bitop3:0x54
	s_delay_alu instid0(VALU_DEP_3) | instskip(SKIP_1) | instid1(VALU_DEP_2)
	v_lshl_add_u64 v[0:1], v[10:11], 4, s[20:21]
	v_xor_b32_e32 v10, 8, v22
	v_add_nc_u64_e32 v[20:21], v[0:1], v[18:19]
	v_rcp_iflag_f32_e32 v19, s0
	v_cmp_gt_i32_e64 s0, 32, v23
	v_dual_mov_b32 v0, v11 :: v_dual_mov_b32 v1, v11
	s_delay_alu instid0(VALU_DEP_2) | instskip(SKIP_1) | instid1(TRANS32_DEP_1)
	v_cndmask_b32_e64 v18, v22, v23, s0
	v_cmp_gt_i32_e64 s0, 32, v24
	v_readfirstlane_b32 s9, v19
	v_dual_cndmask_b32 v17, v17, v21 :: v_dual_cndmask_b32 v16, v16, v20
	s_delay_alu instid0(VALU_DEP_3) | instskip(SKIP_2) | instid1(VALU_DEP_2)
	v_cndmask_b32_e64 v23, v22, v24, s0
	v_cmp_gt_i32_e64 s0, 32, v10
	v_dual_lshlrev_b32 v34, 2, v18 :: v_dual_bitop2_b32 v32, 12, v25 bitop3:0x54
	v_dual_lshlrev_b32 v35, 2, v23 :: v_dual_cndmask_b32 v10, v22, v10, s0
	v_cmp_gt_i32_e64 s0, 32, v26
	s_delay_alu instid0(VALU_DEP_1) | instskip(SKIP_2) | instid1(VALU_DEP_1)
	v_cndmask_b32_e64 v19, v22, v26, s0
	s_mul_f32 s0, s9, 0x4f7ffffe
	s_sub_co_i32 s9, 0, s4
	v_dual_lshlrev_b32 v36, 2, v10 :: v_dual_lshlrev_b32 v37, 2, v19
	s_delay_alu instid0(SALU_CYCLE_1) | instskip(NEXT) | instid1(SALU_CYCLE_3)
	s_cvt_u32_f32 s0, s0
	s_mul_i32 s9, s9, s0
	s_delay_alu instid0(SALU_CYCLE_1)
	s_mul_hi_u32 s14, s0, s9
	s_ashr_i32 s9, s6, 31
	s_add_co_i32 s14, s0, s14
	s_branch .LBB153_10
.LBB153_8:                              ;   in Loop: Header=BB153_10 Depth=1
	s_wait_xcnt 0x0
	s_or_b32 exec_lo, exec_lo, s19
	v_mov_b64_e32 v[18:19], 1
.LBB153_9:                              ;   in Loop: Header=BB153_10 Depth=1
	s_or_b32 exec_lo, exec_lo, s0
	ds_bpermute_b32 v10, v36, v38
	v_add_nc_u64_e32 v[6:7], v[18:19], v[6:7]
	s_wait_storecnt_dscnt 0x0
	v_min_i32_e32 v10, v10, v38
	ds_bpermute_b32 v14, v37, v10
	s_wait_dscnt 0x0
	v_min_i32_e32 v10, v14, v10
	ds_bpermute_b32 v14, v34, v10
	s_wait_dscnt 0x0
	;; [unrolled: 3-line block ×4, first 2 shown]
	v_cmp_le_i32_e32 vcc_lo, s5, v14
	v_ashrrev_i32_e32 v15, 31, v14
	s_or_b32 s18, vcc_lo, s18
	s_delay_alu instid0(SALU_CYCLE_1)
	s_and_not1_b32 exec_lo, exec_lo, s18
	s_cbranch_execz .LBB153_21
.LBB153_10:                             ; =>This Loop Header: Depth=1
                                        ;     Child Loop BB153_13 Depth 2
	v_add_nc_u64_e32 v[12:13], v[12:13], v[8:9]
	v_mov_b64_e32 v[22:23], v[4:5]
	v_mov_b32_e32 v38, s5
	s_mov_b32 s19, exec_lo
	ds_store_b8 v28, v11 offset:4096
	ds_store_b128 v31, v[0:3]
	s_wait_dscnt 0x0
	v_cmpx_lt_i64_e64 v[12:13], v[4:5]
	s_cbranch_execz .LBB153_18
; %bb.11:                               ;   in Loop: Header=BB153_10 Depth=1
	v_mov_b64_e32 v[22:23], v[4:5]
	v_lshl_add_u64 v[18:19], v[12:13], 4, s[10:11]
	v_lshl_add_u64 v[20:21], v[12:13], 2, s[12:13]
	v_mov_b32_e32 v38, s5
	s_mov_b32 s20, 0
	s_branch .LBB153_13
.LBB153_12:                             ;   in Loop: Header=BB153_13 Depth=2
	s_wait_xcnt 0x0
	s_or_b32 exec_lo, exec_lo, s0
	v_add_nc_u64_e32 v[12:13], 4, v[12:13]
	s_xor_b32 s21, vcc_lo, -1
	v_add_nc_u64_e32 v[18:19], 64, v[18:19]
	v_add_nc_u64_e32 v[20:21], 16, v[20:21]
	s_delay_alu instid0(VALU_DEP_3) | instskip(SKIP_1) | instid1(SALU_CYCLE_1)
	v_cmp_ge_i64_e64 s0, v[12:13], v[4:5]
	s_or_b32 s0, s21, s0
	s_and_b32 s0, exec_lo, s0
	s_delay_alu instid0(SALU_CYCLE_1) | instskip(NEXT) | instid1(SALU_CYCLE_1)
	s_or_b32 s20, s0, s20
	s_and_not1_b32 exec_lo, exec_lo, s20
	s_cbranch_execz .LBB153_17
.LBB153_13:                             ;   Parent Loop BB153_10 Depth=1
                                        ; =>  This Inner Loop Header: Depth=2
	global_load_b32 v10, v[20:21], off
	s_wait_loadcnt 0x0
	v_subrev_nc_u32_e32 v39, s7, v10
	s_delay_alu instid0(VALU_DEP_1) | instskip(NEXT) | instid1(VALU_DEP_1)
	v_sub_nc_u32_e32 v10, 0, v39
	v_max_i32_e32 v10, v39, v10
	s_delay_alu instid0(VALU_DEP_1) | instskip(NEXT) | instid1(VALU_DEP_1)
	v_mul_u64_e32 v[24:25], s[14:15], v[10:11]
	v_mul_lo_u32 v24, v25, s4
	s_delay_alu instid0(VALU_DEP_1) | instskip(NEXT) | instid1(VALU_DEP_1)
	v_dual_sub_nc_u32 v10, v10, v24 :: v_dual_add_nc_u32 v24, 1, v25
	v_cmp_le_u32_e32 vcc_lo, s4, v10
	s_delay_alu instid0(VALU_DEP_2) | instskip(SKIP_1) | instid1(VALU_DEP_1)
	v_dual_cndmask_b32 v24, v25, v24 :: v_dual_ashrrev_i32 v25, 31, v39
	v_subrev_nc_u32_e32 v26, s4, v10
	v_dual_cndmask_b32 v10, v10, v26, vcc_lo :: v_dual_add_nc_u32 v26, 1, v24
	s_delay_alu instid0(VALU_DEP_1) | instskip(NEXT) | instid1(VALU_DEP_2)
	v_cmp_le_u32_e32 vcc_lo, s4, v10
	v_dual_cndmask_b32 v10, v24, v26, vcc_lo :: v_dual_bitop2_b32 v25, s9, v25 bitop3:0x14
	v_mov_b64_e32 v[26:27], v[22:23]
	s_delay_alu instid0(VALU_DEP_2) | instskip(NEXT) | instid1(VALU_DEP_1)
	v_xor_b32_e32 v10, v10, v25
	v_sub_nc_u32_e32 v24, v10, v25
	s_delay_alu instid0(VALU_DEP_1) | instskip(NEXT) | instid1(VALU_DEP_1)
	v_ashrrev_i32_e32 v25, 31, v24
	v_cmp_ne_u64_e64 s0, v[14:15], v[24:25]
	v_cmp_eq_u64_e32 vcc_lo, v[14:15], v[24:25]
	s_wait_xcnt 0x0
	s_and_saveexec_b32 s21, s0
	s_delay_alu instid0(SALU_CYCLE_1)
	s_xor_b32 s0, exec_lo, s21
; %bb.14:                               ;   in Loop: Header=BB153_13 Depth=2
	v_min_i32_e32 v38, v24, v38
                                        ; implicit-def: $vgpr24
                                        ; implicit-def: $vgpr39
                                        ; implicit-def: $vgpr26_vgpr27
; %bb.15:                               ;   in Loop: Header=BB153_13 Depth=2
	s_or_saveexec_b32 s0, s0
	v_mov_b64_e32 v[22:23], v[12:13]
	s_xor_b32 exec_lo, exec_lo, s0
	s_cbranch_execz .LBB153_12
; %bb.16:                               ;   in Loop: Header=BB153_13 Depth=2
	global_load_b128 v[40:43], v[18:19], off
	v_mul_lo_u32 v10, v24, s6
	v_mov_b64_e32 v[22:23], v[26:27]
	s_delay_alu instid0(VALU_DEP_2) | instskip(NEXT) | instid1(VALU_DEP_1)
	v_sub_nc_u32_e32 v10, v39, v10
	v_lshl_add_u32 v10, v10, 4, v30
	ds_store_b8 v28, v29 offset:4096
	s_wait_loadcnt 0x0
	ds_store_2addr_b64 v10, v[40:41], v[42:43] offset1:1
	s_branch .LBB153_12
.LBB153_17:                             ;   in Loop: Header=BB153_10 Depth=1
	s_or_b32 exec_lo, exec_lo, s20
.LBB153_18:                             ;   in Loop: Header=BB153_10 Depth=1
	s_delay_alu instid0(SALU_CYCLE_1)
	s_or_b32 exec_lo, exec_lo, s19
	ds_bpermute_b32 v12, v34, v22
	ds_bpermute_b32 v13, v34, v23
	s_wait_dscnt 0x0
	ds_load_u8 v10, v28 offset:4096
	s_mov_b32 s0, exec_lo
	v_min_i64 v[12:13], v[12:13], v[22:23]
	s_wait_dscnt 0x0
	v_and_b32_e32 v10, 1, v10
	ds_bpermute_b32 v18, v35, v12
	ds_bpermute_b32 v19, v35, v13
	s_wait_dscnt 0x0
	v_min_i64 v[12:13], v[18:19], v[12:13]
	v_mov_b64_e32 v[18:19], 0
	ds_bpermute_b32 v12, v32, v12
	ds_bpermute_b32 v13, v32, v13
	v_cmpx_eq_u32_e32 1, v10
	s_cbranch_execz .LBB153_9
; %bb.19:                               ;   in Loop: Header=BB153_10 Depth=1
	v_add_nc_u32_e32 v10, s8, v14
	v_lshl_add_u64 v[14:15], v[6:7], 2, s[2:3]
	global_store_b32 v[14:15], v10, off
	s_wait_xcnt 0x0
	s_and_saveexec_b32 s19, s1
	s_cbranch_execz .LBB153_8
; %bb.20:                               ;   in Loop: Header=BB153_10 Depth=1
	v_mul_u64_e32 v[14:15], s[16:17], v[6:7]
	ds_load_2addr_b64 v[18:21], v31 offset1:1
	v_lshl_add_u64 v[14:15], v[14:15], 4, v[16:17]
	s_wait_dscnt 0x0
	global_store_b128 v[14:15], v[18:21], off
	s_branch .LBB153_8
.LBB153_21:
	s_endpgm
	.section	.rodata,"a",@progbits
	.p2align	6, 0x0
	.amdhsa_kernel _ZN9rocsparseL42csr2bsr_wavefront_per_row_multipass_kernelILj256ELj16ELj4E21rocsparse_complex_numIdEliEEv20rocsparse_direction_T4_S4_S4_S4_S4_21rocsparse_index_base_PKT2_PKT3_PKS4_S5_PS6_PS9_PS4_
		.amdhsa_group_segment_fixed_size 4112
		.amdhsa_private_segment_fixed_size 0
		.amdhsa_kernarg_size 88
		.amdhsa_user_sgpr_count 2
		.amdhsa_user_sgpr_dispatch_ptr 0
		.amdhsa_user_sgpr_queue_ptr 0
		.amdhsa_user_sgpr_kernarg_segment_ptr 1
		.amdhsa_user_sgpr_dispatch_id 0
		.amdhsa_user_sgpr_kernarg_preload_length 0
		.amdhsa_user_sgpr_kernarg_preload_offset 0
		.amdhsa_user_sgpr_private_segment_size 0
		.amdhsa_wavefront_size32 1
		.amdhsa_uses_dynamic_stack 0
		.amdhsa_enable_private_segment 0
		.amdhsa_system_sgpr_workgroup_id_x 1
		.amdhsa_system_sgpr_workgroup_id_y 0
		.amdhsa_system_sgpr_workgroup_id_z 0
		.amdhsa_system_sgpr_workgroup_info 0
		.amdhsa_system_vgpr_workitem_id 0
		.amdhsa_next_free_vgpr 44
		.amdhsa_next_free_sgpr 22
		.amdhsa_named_barrier_count 0
		.amdhsa_reserve_vcc 1
		.amdhsa_float_round_mode_32 0
		.amdhsa_float_round_mode_16_64 0
		.amdhsa_float_denorm_mode_32 3
		.amdhsa_float_denorm_mode_16_64 3
		.amdhsa_fp16_overflow 0
		.amdhsa_memory_ordered 1
		.amdhsa_forward_progress 1
		.amdhsa_inst_pref_size 12
		.amdhsa_round_robin_scheduling 0
		.amdhsa_exception_fp_ieee_invalid_op 0
		.amdhsa_exception_fp_denorm_src 0
		.amdhsa_exception_fp_ieee_div_zero 0
		.amdhsa_exception_fp_ieee_overflow 0
		.amdhsa_exception_fp_ieee_underflow 0
		.amdhsa_exception_fp_ieee_inexact 0
		.amdhsa_exception_int_div_zero 0
	.end_amdhsa_kernel
	.section	.text._ZN9rocsparseL42csr2bsr_wavefront_per_row_multipass_kernelILj256ELj16ELj4E21rocsparse_complex_numIdEliEEv20rocsparse_direction_T4_S4_S4_S4_S4_21rocsparse_index_base_PKT2_PKT3_PKS4_S5_PS6_PS9_PS4_,"axG",@progbits,_ZN9rocsparseL42csr2bsr_wavefront_per_row_multipass_kernelILj256ELj16ELj4E21rocsparse_complex_numIdEliEEv20rocsparse_direction_T4_S4_S4_S4_S4_21rocsparse_index_base_PKT2_PKT3_PKS4_S5_PS6_PS9_PS4_,comdat
.Lfunc_end153:
	.size	_ZN9rocsparseL42csr2bsr_wavefront_per_row_multipass_kernelILj256ELj16ELj4E21rocsparse_complex_numIdEliEEv20rocsparse_direction_T4_S4_S4_S4_S4_21rocsparse_index_base_PKT2_PKT3_PKS4_S5_PS6_PS9_PS4_, .Lfunc_end153-_ZN9rocsparseL42csr2bsr_wavefront_per_row_multipass_kernelILj256ELj16ELj4E21rocsparse_complex_numIdEliEEv20rocsparse_direction_T4_S4_S4_S4_S4_21rocsparse_index_base_PKT2_PKT3_PKS4_S5_PS6_PS9_PS4_
                                        ; -- End function
	.set _ZN9rocsparseL42csr2bsr_wavefront_per_row_multipass_kernelILj256ELj16ELj4E21rocsparse_complex_numIdEliEEv20rocsparse_direction_T4_S4_S4_S4_S4_21rocsparse_index_base_PKT2_PKT3_PKS4_S5_PS6_PS9_PS4_.num_vgpr, 44
	.set _ZN9rocsparseL42csr2bsr_wavefront_per_row_multipass_kernelILj256ELj16ELj4E21rocsparse_complex_numIdEliEEv20rocsparse_direction_T4_S4_S4_S4_S4_21rocsparse_index_base_PKT2_PKT3_PKS4_S5_PS6_PS9_PS4_.num_agpr, 0
	.set _ZN9rocsparseL42csr2bsr_wavefront_per_row_multipass_kernelILj256ELj16ELj4E21rocsparse_complex_numIdEliEEv20rocsparse_direction_T4_S4_S4_S4_S4_21rocsparse_index_base_PKT2_PKT3_PKS4_S5_PS6_PS9_PS4_.numbered_sgpr, 22
	.set _ZN9rocsparseL42csr2bsr_wavefront_per_row_multipass_kernelILj256ELj16ELj4E21rocsparse_complex_numIdEliEEv20rocsparse_direction_T4_S4_S4_S4_S4_21rocsparse_index_base_PKT2_PKT3_PKS4_S5_PS6_PS9_PS4_.num_named_barrier, 0
	.set _ZN9rocsparseL42csr2bsr_wavefront_per_row_multipass_kernelILj256ELj16ELj4E21rocsparse_complex_numIdEliEEv20rocsparse_direction_T4_S4_S4_S4_S4_21rocsparse_index_base_PKT2_PKT3_PKS4_S5_PS6_PS9_PS4_.private_seg_size, 0
	.set _ZN9rocsparseL42csr2bsr_wavefront_per_row_multipass_kernelILj256ELj16ELj4E21rocsparse_complex_numIdEliEEv20rocsparse_direction_T4_S4_S4_S4_S4_21rocsparse_index_base_PKT2_PKT3_PKS4_S5_PS6_PS9_PS4_.uses_vcc, 1
	.set _ZN9rocsparseL42csr2bsr_wavefront_per_row_multipass_kernelILj256ELj16ELj4E21rocsparse_complex_numIdEliEEv20rocsparse_direction_T4_S4_S4_S4_S4_21rocsparse_index_base_PKT2_PKT3_PKS4_S5_PS6_PS9_PS4_.uses_flat_scratch, 0
	.set _ZN9rocsparseL42csr2bsr_wavefront_per_row_multipass_kernelILj256ELj16ELj4E21rocsparse_complex_numIdEliEEv20rocsparse_direction_T4_S4_S4_S4_S4_21rocsparse_index_base_PKT2_PKT3_PKS4_S5_PS6_PS9_PS4_.has_dyn_sized_stack, 0
	.set _ZN9rocsparseL42csr2bsr_wavefront_per_row_multipass_kernelILj256ELj16ELj4E21rocsparse_complex_numIdEliEEv20rocsparse_direction_T4_S4_S4_S4_S4_21rocsparse_index_base_PKT2_PKT3_PKS4_S5_PS6_PS9_PS4_.has_recursion, 0
	.set _ZN9rocsparseL42csr2bsr_wavefront_per_row_multipass_kernelILj256ELj16ELj4E21rocsparse_complex_numIdEliEEv20rocsparse_direction_T4_S4_S4_S4_S4_21rocsparse_index_base_PKT2_PKT3_PKS4_S5_PS6_PS9_PS4_.has_indirect_call, 0
	.section	.AMDGPU.csdata,"",@progbits
; Kernel info:
; codeLenInByte = 1428
; TotalNumSgprs: 24
; NumVgprs: 44
; ScratchSize: 0
; MemoryBound: 0
; FloatMode: 240
; IeeeMode: 1
; LDSByteSize: 4112 bytes/workgroup (compile time only)
; SGPRBlocks: 0
; VGPRBlocks: 2
; NumSGPRsForWavesPerEU: 24
; NumVGPRsForWavesPerEU: 44
; NamedBarCnt: 0
; Occupancy: 16
; WaveLimiterHint : 0
; COMPUTE_PGM_RSRC2:SCRATCH_EN: 0
; COMPUTE_PGM_RSRC2:USER_SGPR: 2
; COMPUTE_PGM_RSRC2:TRAP_HANDLER: 0
; COMPUTE_PGM_RSRC2:TGID_X_EN: 1
; COMPUTE_PGM_RSRC2:TGID_Y_EN: 0
; COMPUTE_PGM_RSRC2:TGID_Z_EN: 0
; COMPUTE_PGM_RSRC2:TIDIG_COMP_CNT: 0
	.section	.text._ZN9rocsparseL42csr2bsr_wavefront_per_row_multipass_kernelILj256ELj64ELj8E21rocsparse_complex_numIdEliEEv20rocsparse_direction_T4_S4_S4_S4_S4_21rocsparse_index_base_PKT2_PKT3_PKS4_S5_PS6_PS9_PS4_,"axG",@progbits,_ZN9rocsparseL42csr2bsr_wavefront_per_row_multipass_kernelILj256ELj64ELj8E21rocsparse_complex_numIdEliEEv20rocsparse_direction_T4_S4_S4_S4_S4_21rocsparse_index_base_PKT2_PKT3_PKS4_S5_PS6_PS9_PS4_,comdat
	.globl	_ZN9rocsparseL42csr2bsr_wavefront_per_row_multipass_kernelILj256ELj64ELj8E21rocsparse_complex_numIdEliEEv20rocsparse_direction_T4_S4_S4_S4_S4_21rocsparse_index_base_PKT2_PKT3_PKS4_S5_PS6_PS9_PS4_ ; -- Begin function _ZN9rocsparseL42csr2bsr_wavefront_per_row_multipass_kernelILj256ELj64ELj8E21rocsparse_complex_numIdEliEEv20rocsparse_direction_T4_S4_S4_S4_S4_21rocsparse_index_base_PKT2_PKT3_PKS4_S5_PS6_PS9_PS4_
	.p2align	8
	.type	_ZN9rocsparseL42csr2bsr_wavefront_per_row_multipass_kernelILj256ELj64ELj8E21rocsparse_complex_numIdEliEEv20rocsparse_direction_T4_S4_S4_S4_S4_21rocsparse_index_base_PKT2_PKT3_PKS4_S5_PS6_PS9_PS4_,@function
_ZN9rocsparseL42csr2bsr_wavefront_per_row_multipass_kernelILj256ELj64ELj8E21rocsparse_complex_numIdEliEEv20rocsparse_direction_T4_S4_S4_S4_S4_21rocsparse_index_base_PKT2_PKT3_PKS4_S5_PS6_PS9_PS4_: ; @_ZN9rocsparseL42csr2bsr_wavefront_per_row_multipass_kernelILj256ELj64ELj8E21rocsparse_complex_numIdEliEEv20rocsparse_direction_T4_S4_S4_S4_S4_21rocsparse_index_base_PKT2_PKT3_PKS4_S5_PS6_PS9_PS4_
; %bb.0:
	s_clause 0x1
	s_load_b128 s[4:7], s[0:1], 0xc
	s_load_b64 s[18:19], s[0:1], 0x0
	s_bfe_u32 s2, ttmp6, 0x4000c
	s_and_b32 s3, ttmp6, 15
	s_add_co_i32 s2, s2, 1
	s_getreg_b32 s8, hwreg(HW_REG_IB_STS2, 6, 4)
	s_mul_i32 s2, ttmp9, s2
	v_lshrrev_b32_e32 v28, 6, v0
	s_add_co_i32 s3, s3, s2
	s_cmp_eq_u32 s8, 0
	v_bfe_u32 v1, v0, 3, 3
	s_cselect_b32 s2, ttmp9, s3
	s_load_b64 s[8:9], s[0:1], 0x28
	v_lshl_or_b32 v2, s2, 2, v28
	v_mov_b64_e32 v[4:5], 0
	v_mov_b64_e32 v[12:13], 0
	s_mov_b32 s3, 0
	s_wait_kmcnt 0x0
	v_mad_u32 v3, v2, s6, v1
	v_cmp_gt_i32_e32 vcc_lo, s6, v1
	s_delay_alu instid0(VALU_DEP_2) | instskip(SKIP_1) | instid1(SALU_CYCLE_1)
	v_cmp_gt_i32_e64 s2, s19, v3
	s_and_b32 s10, vcc_lo, s2
	s_and_saveexec_b32 s11, s10
	s_cbranch_execz .LBB154_2
; %bb.1:
	global_load_b64 v[6:7], v3, s[8:9] scale_offset
	s_mov_b32 s2, s7
	s_wait_loadcnt 0x0
	v_sub_nc_u64_e64 v[12:13], v[6:7], s[2:3]
.LBB154_2:
	s_or_b32 exec_lo, exec_lo, s11
	s_and_saveexec_b32 s2, s10
	s_cbranch_execz .LBB154_4
; %bb.3:
	global_load_b64 v[4:5], v3, s[8:9] offset:8 scale_offset
	s_wait_xcnt 0x0
	s_mov_b32 s9, 0
	s_mov_b32 s8, s7
	s_wait_loadcnt 0x0
	v_sub_nc_u64_e64 v[4:5], v[4:5], s[8:9]
.LBB154_4:
	s_or_b32 exec_lo, exec_lo, s2
	s_load_b32 s8, s[0:1], 0x38
	v_mov_b64_e32 v[6:7], 0
	s_mov_b32 s3, exec_lo
	v_cmpx_gt_i32_e64 s4, v2
	s_cbranch_execz .LBB154_6
; %bb.5:
	s_load_b64 s[10:11], s[0:1], 0x48
	s_mov_b32 s9, 0
	s_wait_kmcnt 0x0
	global_load_b64 v[2:3], v2, s[10:11] scale_offset
	s_wait_loadcnt 0x0
	v_sub_nc_u64_e64 v[6:7], v[2:3], s[8:9]
.LBB154_6:
	s_or_b32 exec_lo, exec_lo, s3
	s_cmp_lt_i32 s5, 1
	s_cbranch_scc1 .LBB154_21
; %bb.7:
	s_load_b64 s[20:21], s[0:1], 0x40
	v_dual_lshlrev_b32 v9, 7, v1 :: v_dual_bitop2_b32 v8, 7, v0 bitop3:0x40
	v_mov_b32_e32 v11, 0
	v_mbcnt_lo_u32_b32 v22, -1, 0
	s_clause 0x2
	s_load_b64 s[2:3], s[0:1], 0x50
	s_load_b64 s[10:11], s[0:1], 0x20
	;; [unrolled: 1-line block ×3, first 2 shown]
	v_mul_lo_u32 v10, s6, v8
	s_wait_xcnt 0x0
	v_cmp_gt_u32_e64 s0, s6, v8
	v_and_b32_e32 v0, 0xc0, v0
	v_xor_b32_e32 v25, 1, v22
	v_mov_b64_e32 v[14:15], 0
	s_mov_b32 s15, 0
	s_and_b32 s1, vcc_lo, s0
	v_lshl_or_b32 v30, v0, 4, v9
	s_cmp_eq_u32 s18, 0
	s_mov_b32 s14, s6
	s_cselect_b32 vcc_lo, -1, 0
	s_abs_i32 s4, s6
	v_bfrev_b32_e32 v29, 0.5
	s_cvt_f32_u32 s9, s4
	s_wait_kmcnt 0x0
	v_lshl_add_u64 v[2:3], v[10:11], 4, s[20:21]
	v_dual_lshlrev_b32 v10, 4, v1 :: v_dual_bitop2_b32 v23, 4, v22 bitop3:0x14
	v_dual_mov_b32 v17, v11 :: v_dual_bitop2_b32 v24, 2, v22 bitop3:0x14
	v_mov_b32_e32 v0, v11
	s_delay_alu instid0(VALU_DEP_3)
	v_add_nc_u64_e32 v[18:19], v[2:3], v[10:11]
	v_mul_lo_u32 v10, s6, v1
	v_cmp_gt_i32_e64 s0, 32, v23
	v_dual_mov_b32 v9, v11 :: v_dual_lshlrev_b32 v16, 4, v8
	v_xor_b32_e32 v33, 8, v22
	v_dual_mov_b32 v2, v11 :: v_dual_bitop2_b32 v26, 32, v22 bitop3:0x54
	v_dual_mov_b32 v1, v11 :: v_dual_bitop2_b32 v27, 16, v22 bitop3:0x14
	v_mov_b32_e32 v3, v11
	v_lshl_or_b32 v31, v22, 2, 28
	v_lshl_add_u64 v[20:21], v[10:11], 4, s[20:21]
	v_cndmask_b32_e64 v10, v22, v23, s0
	v_cmp_gt_i32_e64 s0, 32, v24
	v_or_b32_e32 v32, v30, v16
	s_mul_u64 s[16:17], s[14:15], s[14:15]
	v_add_nc_u64_e32 v[20:21], v[20:21], v[16:17]
	v_rcp_iflag_f32_e32 v17, s9
	v_cndmask_b32_e64 v16, v22, v24, s0
	v_cmp_gt_i32_e64 s0, 32, v25
	s_mov_b32 s18, s15
	v_dual_mov_b32 v39, 1 :: v_dual_cndmask_b32 v23, v22, v25, s0
	v_cmp_gt_i32_e64 s0, 32, v26
	s_delay_alu instid0(TRANS32_DEP_1) | instskip(SKIP_2) | instid1(VALU_DEP_4)
	v_readfirstlane_b32 s9, v17
	v_lshlrev_b32_e32 v34, 2, v16
	v_cndmask_b32_e32 v16, v18, v20, vcc_lo
	v_cndmask_b32_e64 v24, v22, v26, s0
	v_cmp_gt_i32_e64 s0, 32, v27
	s_delay_alu instid0(VALU_DEP_1) | instskip(SKIP_1) | instid1(VALU_DEP_4)
	v_cndmask_b32_e64 v25, v22, v27, s0
	v_cmp_gt_i32_e64 s0, 32, v33
	v_dual_lshlrev_b32 v35, 2, v23 :: v_dual_lshlrev_b32 v36, 2, v24
	s_delay_alu instid0(VALU_DEP_3) | instskip(NEXT) | instid1(VALU_DEP_3)
	v_lshlrev_b32_e32 v37, 2, v25
	v_cndmask_b32_e64 v17, v22, v33, s0
	s_mul_f32 s0, s9, 0x4f7ffffe
	s_sub_co_i32 s9, 0, s4
	v_lshlrev_b32_e32 v33, 2, v10
	s_delay_alu instid0(SALU_CYCLE_1) | instskip(SKIP_2) | instid1(SALU_CYCLE_1)
	s_cvt_u32_f32 s0, s0
	v_lshlrev_b32_e32 v38, 2, v17
	v_cndmask_b32_e32 v17, v19, v21, vcc_lo
	s_mul_i32 s9, s9, s0
	s_delay_alu instid0(SALU_CYCLE_1)
	s_mul_hi_u32 s14, s0, s9
	s_ashr_i32 s9, s6, 31
	s_add_co_i32 s14, s0, s14
	s_branch .LBB154_10
.LBB154_8:                              ;   in Loop: Header=BB154_10 Depth=1
	s_wait_xcnt 0x0
	s_or_b32 exec_lo, exec_lo, s19
	v_mov_b64_e32 v[18:19], 1
.LBB154_9:                              ;   in Loop: Header=BB154_10 Depth=1
	s_or_b32 exec_lo, exec_lo, s0
	ds_bpermute_b32 v10, v36, v40
	v_add_nc_u64_e32 v[6:7], v[18:19], v[6:7]
	s_wait_storecnt_dscnt 0x0
	v_min_i32_e32 v10, v10, v40
	ds_bpermute_b32 v14, v37, v10
	s_wait_dscnt 0x0
	v_min_i32_e32 v10, v14, v10
	ds_bpermute_b32 v14, v38, v10
	s_wait_dscnt 0x0
	;; [unrolled: 3-line block ×6, first 2 shown]
	v_cmp_le_i32_e32 vcc_lo, s5, v14
	v_ashrrev_i32_e32 v15, 31, v14
	s_or_b32 s18, vcc_lo, s18
	s_delay_alu instid0(SALU_CYCLE_1)
	s_and_not1_b32 exec_lo, exec_lo, s18
	s_cbranch_execz .LBB154_21
.LBB154_10:                             ; =>This Loop Header: Depth=1
                                        ;     Child Loop BB154_13 Depth 2
	v_add_nc_u64_e32 v[12:13], v[12:13], v[8:9]
	v_mov_b64_e32 v[22:23], v[4:5]
	v_mov_b32_e32 v40, s5
	s_mov_b32 s19, exec_lo
	ds_store_b8 v28, v11 offset:4096
	ds_store_b128 v32, v[0:3]
	s_wait_dscnt 0x0
	v_cmpx_lt_i64_e64 v[12:13], v[4:5]
	s_cbranch_execz .LBB154_18
; %bb.11:                               ;   in Loop: Header=BB154_10 Depth=1
	v_mov_b64_e32 v[22:23], v[4:5]
	v_lshl_add_u64 v[18:19], v[12:13], 4, s[10:11]
	v_lshl_add_u64 v[20:21], v[12:13], 2, s[12:13]
	v_mov_b32_e32 v40, s5
	s_mov_b32 s20, 0
	s_branch .LBB154_13
.LBB154_12:                             ;   in Loop: Header=BB154_13 Depth=2
	s_wait_xcnt 0x0
	s_or_b32 exec_lo, exec_lo, s0
	v_add_nc_u64_e32 v[12:13], 8, v[12:13]
	s_xor_b32 s21, vcc_lo, -1
	v_add_nc_u64_e32 v[18:19], 0x80, v[18:19]
	v_add_nc_u64_e32 v[20:21], 32, v[20:21]
	s_delay_alu instid0(VALU_DEP_3) | instskip(SKIP_1) | instid1(SALU_CYCLE_1)
	v_cmp_ge_i64_e64 s0, v[12:13], v[4:5]
	s_or_b32 s0, s21, s0
	s_and_b32 s0, exec_lo, s0
	s_delay_alu instid0(SALU_CYCLE_1) | instskip(NEXT) | instid1(SALU_CYCLE_1)
	s_or_b32 s20, s0, s20
	s_and_not1_b32 exec_lo, exec_lo, s20
	s_cbranch_execz .LBB154_17
.LBB154_13:                             ;   Parent Loop BB154_10 Depth=1
                                        ; =>  This Inner Loop Header: Depth=2
	global_load_b32 v10, v[20:21], off
	s_wait_loadcnt 0x0
	v_subrev_nc_u32_e32 v41, s7, v10
	s_delay_alu instid0(VALU_DEP_1) | instskip(NEXT) | instid1(VALU_DEP_1)
	v_sub_nc_u32_e32 v10, 0, v41
	v_max_i32_e32 v10, v41, v10
	s_delay_alu instid0(VALU_DEP_1) | instskip(NEXT) | instid1(VALU_DEP_1)
	v_mul_u64_e32 v[24:25], s[14:15], v[10:11]
	v_mul_lo_u32 v24, v25, s4
	s_delay_alu instid0(VALU_DEP_1) | instskip(NEXT) | instid1(VALU_DEP_1)
	v_dual_sub_nc_u32 v10, v10, v24 :: v_dual_add_nc_u32 v24, 1, v25
	v_cmp_le_u32_e32 vcc_lo, s4, v10
	s_delay_alu instid0(VALU_DEP_2) | instskip(SKIP_1) | instid1(VALU_DEP_1)
	v_dual_cndmask_b32 v24, v25, v24 :: v_dual_ashrrev_i32 v25, 31, v41
	v_subrev_nc_u32_e32 v26, s4, v10
	v_dual_cndmask_b32 v10, v10, v26, vcc_lo :: v_dual_add_nc_u32 v26, 1, v24
	s_delay_alu instid0(VALU_DEP_1) | instskip(NEXT) | instid1(VALU_DEP_2)
	v_cmp_le_u32_e32 vcc_lo, s4, v10
	v_dual_cndmask_b32 v10, v24, v26, vcc_lo :: v_dual_bitop2_b32 v25, s9, v25 bitop3:0x14
	v_mov_b64_e32 v[26:27], v[22:23]
	s_delay_alu instid0(VALU_DEP_2) | instskip(NEXT) | instid1(VALU_DEP_1)
	v_xor_b32_e32 v10, v10, v25
	v_sub_nc_u32_e32 v24, v10, v25
	s_delay_alu instid0(VALU_DEP_1) | instskip(NEXT) | instid1(VALU_DEP_1)
	v_ashrrev_i32_e32 v25, 31, v24
	v_cmp_ne_u64_e64 s0, v[14:15], v[24:25]
	v_cmp_eq_u64_e32 vcc_lo, v[14:15], v[24:25]
	s_wait_xcnt 0x0
	s_and_saveexec_b32 s21, s0
	s_delay_alu instid0(SALU_CYCLE_1)
	s_xor_b32 s0, exec_lo, s21
; %bb.14:                               ;   in Loop: Header=BB154_13 Depth=2
	v_min_i32_e32 v40, v24, v40
                                        ; implicit-def: $vgpr24
                                        ; implicit-def: $vgpr41
                                        ; implicit-def: $vgpr26_vgpr27
; %bb.15:                               ;   in Loop: Header=BB154_13 Depth=2
	s_or_saveexec_b32 s0, s0
	v_mov_b64_e32 v[22:23], v[12:13]
	s_xor_b32 exec_lo, exec_lo, s0
	s_cbranch_execz .LBB154_12
; %bb.16:                               ;   in Loop: Header=BB154_13 Depth=2
	global_load_b128 v[42:45], v[18:19], off
	v_mul_lo_u32 v10, v24, s6
	v_mov_b64_e32 v[22:23], v[26:27]
	s_delay_alu instid0(VALU_DEP_2) | instskip(NEXT) | instid1(VALU_DEP_1)
	v_sub_nc_u32_e32 v10, v41, v10
	v_lshl_add_u32 v10, v10, 4, v30
	ds_store_b8 v28, v39 offset:4096
	s_wait_loadcnt 0x0
	ds_store_2addr_b64 v10, v[42:43], v[44:45] offset1:1
	s_branch .LBB154_12
.LBB154_17:                             ;   in Loop: Header=BB154_10 Depth=1
	s_or_b32 exec_lo, exec_lo, s20
.LBB154_18:                             ;   in Loop: Header=BB154_10 Depth=1
	s_delay_alu instid0(SALU_CYCLE_1)
	s_or_b32 exec_lo, exec_lo, s19
	ds_bpermute_b32 v12, v33, v22
	ds_bpermute_b32 v13, v33, v23
	s_wait_dscnt 0x0
	ds_load_u8 v10, v28 offset:4096
	s_mov_b32 s0, exec_lo
	v_min_i64 v[12:13], v[12:13], v[22:23]
	s_wait_dscnt 0x0
	v_and_b32_e32 v10, 1, v10
	ds_bpermute_b32 v18, v34, v12
	ds_bpermute_b32 v19, v34, v13
	s_wait_dscnt 0x0
	v_min_i64 v[12:13], v[18:19], v[12:13]
	ds_bpermute_b32 v18, v35, v12
	ds_bpermute_b32 v19, v35, v13
	s_wait_dscnt 0x0
	v_min_i64 v[12:13], v[18:19], v[12:13]
	v_mov_b64_e32 v[18:19], 0
	ds_bpermute_b32 v12, v31, v12
	ds_bpermute_b32 v13, v31, v13
	v_cmpx_eq_u32_e32 1, v10
	s_cbranch_execz .LBB154_9
; %bb.19:                               ;   in Loop: Header=BB154_10 Depth=1
	v_add_nc_u32_e32 v10, s8, v14
	v_lshl_add_u64 v[14:15], v[6:7], 2, s[2:3]
	global_store_b32 v[14:15], v10, off
	s_wait_xcnt 0x0
	s_and_saveexec_b32 s19, s1
	s_cbranch_execz .LBB154_8
; %bb.20:                               ;   in Loop: Header=BB154_10 Depth=1
	v_mul_u64_e32 v[14:15], s[16:17], v[6:7]
	ds_load_2addr_b64 v[18:21], v32 offset1:1
	v_lshl_add_u64 v[14:15], v[14:15], 4, v[16:17]
	s_wait_dscnt 0x0
	global_store_b128 v[14:15], v[18:21], off
	s_branch .LBB154_8
.LBB154_21:
	s_endpgm
	.section	.rodata,"a",@progbits
	.p2align	6, 0x0
	.amdhsa_kernel _ZN9rocsparseL42csr2bsr_wavefront_per_row_multipass_kernelILj256ELj64ELj8E21rocsparse_complex_numIdEliEEv20rocsparse_direction_T4_S4_S4_S4_S4_21rocsparse_index_base_PKT2_PKT3_PKS4_S5_PS6_PS9_PS4_
		.amdhsa_group_segment_fixed_size 4104
		.amdhsa_private_segment_fixed_size 0
		.amdhsa_kernarg_size 88
		.amdhsa_user_sgpr_count 2
		.amdhsa_user_sgpr_dispatch_ptr 0
		.amdhsa_user_sgpr_queue_ptr 0
		.amdhsa_user_sgpr_kernarg_segment_ptr 1
		.amdhsa_user_sgpr_dispatch_id 0
		.amdhsa_user_sgpr_kernarg_preload_length 0
		.amdhsa_user_sgpr_kernarg_preload_offset 0
		.amdhsa_user_sgpr_private_segment_size 0
		.amdhsa_wavefront_size32 1
		.amdhsa_uses_dynamic_stack 0
		.amdhsa_enable_private_segment 0
		.amdhsa_system_sgpr_workgroup_id_x 1
		.amdhsa_system_sgpr_workgroup_id_y 0
		.amdhsa_system_sgpr_workgroup_id_z 0
		.amdhsa_system_sgpr_workgroup_info 0
		.amdhsa_system_vgpr_workitem_id 0
		.amdhsa_next_free_vgpr 46
		.amdhsa_next_free_sgpr 22
		.amdhsa_named_barrier_count 0
		.amdhsa_reserve_vcc 1
		.amdhsa_float_round_mode_32 0
		.amdhsa_float_round_mode_16_64 0
		.amdhsa_float_denorm_mode_32 3
		.amdhsa_float_denorm_mode_16_64 3
		.amdhsa_fp16_overflow 0
		.amdhsa_memory_ordered 1
		.amdhsa_forward_progress 1
		.amdhsa_inst_pref_size 12
		.amdhsa_round_robin_scheduling 0
		.amdhsa_exception_fp_ieee_invalid_op 0
		.amdhsa_exception_fp_denorm_src 0
		.amdhsa_exception_fp_ieee_div_zero 0
		.amdhsa_exception_fp_ieee_overflow 0
		.amdhsa_exception_fp_ieee_underflow 0
		.amdhsa_exception_fp_ieee_inexact 0
		.amdhsa_exception_int_div_zero 0
	.end_amdhsa_kernel
	.section	.text._ZN9rocsparseL42csr2bsr_wavefront_per_row_multipass_kernelILj256ELj64ELj8E21rocsparse_complex_numIdEliEEv20rocsparse_direction_T4_S4_S4_S4_S4_21rocsparse_index_base_PKT2_PKT3_PKS4_S5_PS6_PS9_PS4_,"axG",@progbits,_ZN9rocsparseL42csr2bsr_wavefront_per_row_multipass_kernelILj256ELj64ELj8E21rocsparse_complex_numIdEliEEv20rocsparse_direction_T4_S4_S4_S4_S4_21rocsparse_index_base_PKT2_PKT3_PKS4_S5_PS6_PS9_PS4_,comdat
.Lfunc_end154:
	.size	_ZN9rocsparseL42csr2bsr_wavefront_per_row_multipass_kernelILj256ELj64ELj8E21rocsparse_complex_numIdEliEEv20rocsparse_direction_T4_S4_S4_S4_S4_21rocsparse_index_base_PKT2_PKT3_PKS4_S5_PS6_PS9_PS4_, .Lfunc_end154-_ZN9rocsparseL42csr2bsr_wavefront_per_row_multipass_kernelILj256ELj64ELj8E21rocsparse_complex_numIdEliEEv20rocsparse_direction_T4_S4_S4_S4_S4_21rocsparse_index_base_PKT2_PKT3_PKS4_S5_PS6_PS9_PS4_
                                        ; -- End function
	.set _ZN9rocsparseL42csr2bsr_wavefront_per_row_multipass_kernelILj256ELj64ELj8E21rocsparse_complex_numIdEliEEv20rocsparse_direction_T4_S4_S4_S4_S4_21rocsparse_index_base_PKT2_PKT3_PKS4_S5_PS6_PS9_PS4_.num_vgpr, 46
	.set _ZN9rocsparseL42csr2bsr_wavefront_per_row_multipass_kernelILj256ELj64ELj8E21rocsparse_complex_numIdEliEEv20rocsparse_direction_T4_S4_S4_S4_S4_21rocsparse_index_base_PKT2_PKT3_PKS4_S5_PS6_PS9_PS4_.num_agpr, 0
	.set _ZN9rocsparseL42csr2bsr_wavefront_per_row_multipass_kernelILj256ELj64ELj8E21rocsparse_complex_numIdEliEEv20rocsparse_direction_T4_S4_S4_S4_S4_21rocsparse_index_base_PKT2_PKT3_PKS4_S5_PS6_PS9_PS4_.numbered_sgpr, 22
	.set _ZN9rocsparseL42csr2bsr_wavefront_per_row_multipass_kernelILj256ELj64ELj8E21rocsparse_complex_numIdEliEEv20rocsparse_direction_T4_S4_S4_S4_S4_21rocsparse_index_base_PKT2_PKT3_PKS4_S5_PS6_PS9_PS4_.num_named_barrier, 0
	.set _ZN9rocsparseL42csr2bsr_wavefront_per_row_multipass_kernelILj256ELj64ELj8E21rocsparse_complex_numIdEliEEv20rocsparse_direction_T4_S4_S4_S4_S4_21rocsparse_index_base_PKT2_PKT3_PKS4_S5_PS6_PS9_PS4_.private_seg_size, 0
	.set _ZN9rocsparseL42csr2bsr_wavefront_per_row_multipass_kernelILj256ELj64ELj8E21rocsparse_complex_numIdEliEEv20rocsparse_direction_T4_S4_S4_S4_S4_21rocsparse_index_base_PKT2_PKT3_PKS4_S5_PS6_PS9_PS4_.uses_vcc, 1
	.set _ZN9rocsparseL42csr2bsr_wavefront_per_row_multipass_kernelILj256ELj64ELj8E21rocsparse_complex_numIdEliEEv20rocsparse_direction_T4_S4_S4_S4_S4_21rocsparse_index_base_PKT2_PKT3_PKS4_S5_PS6_PS9_PS4_.uses_flat_scratch, 0
	.set _ZN9rocsparseL42csr2bsr_wavefront_per_row_multipass_kernelILj256ELj64ELj8E21rocsparse_complex_numIdEliEEv20rocsparse_direction_T4_S4_S4_S4_S4_21rocsparse_index_base_PKT2_PKT3_PKS4_S5_PS6_PS9_PS4_.has_dyn_sized_stack, 0
	.set _ZN9rocsparseL42csr2bsr_wavefront_per_row_multipass_kernelILj256ELj64ELj8E21rocsparse_complex_numIdEliEEv20rocsparse_direction_T4_S4_S4_S4_S4_21rocsparse_index_base_PKT2_PKT3_PKS4_S5_PS6_PS9_PS4_.has_recursion, 0
	.set _ZN9rocsparseL42csr2bsr_wavefront_per_row_multipass_kernelILj256ELj64ELj8E21rocsparse_complex_numIdEliEEv20rocsparse_direction_T4_S4_S4_S4_S4_21rocsparse_index_base_PKT2_PKT3_PKS4_S5_PS6_PS9_PS4_.has_indirect_call, 0
	.section	.AMDGPU.csdata,"",@progbits
; Kernel info:
; codeLenInByte = 1532
; TotalNumSgprs: 24
; NumVgprs: 46
; ScratchSize: 0
; MemoryBound: 0
; FloatMode: 240
; IeeeMode: 1
; LDSByteSize: 4104 bytes/workgroup (compile time only)
; SGPRBlocks: 0
; VGPRBlocks: 2
; NumSGPRsForWavesPerEU: 24
; NumVGPRsForWavesPerEU: 46
; NamedBarCnt: 0
; Occupancy: 16
; WaveLimiterHint : 0
; COMPUTE_PGM_RSRC2:SCRATCH_EN: 0
; COMPUTE_PGM_RSRC2:USER_SGPR: 2
; COMPUTE_PGM_RSRC2:TRAP_HANDLER: 0
; COMPUTE_PGM_RSRC2:TGID_X_EN: 1
; COMPUTE_PGM_RSRC2:TGID_Y_EN: 0
; COMPUTE_PGM_RSRC2:TGID_Z_EN: 0
; COMPUTE_PGM_RSRC2:TIDIG_COMP_CNT: 0
	.section	.text._ZN9rocsparseL42csr2bsr_wavefront_per_row_multipass_kernelILj256ELj32ELj8E21rocsparse_complex_numIdEliEEv20rocsparse_direction_T4_S4_S4_S4_S4_21rocsparse_index_base_PKT2_PKT3_PKS4_S5_PS6_PS9_PS4_,"axG",@progbits,_ZN9rocsparseL42csr2bsr_wavefront_per_row_multipass_kernelILj256ELj32ELj8E21rocsparse_complex_numIdEliEEv20rocsparse_direction_T4_S4_S4_S4_S4_21rocsparse_index_base_PKT2_PKT3_PKS4_S5_PS6_PS9_PS4_,comdat
	.globl	_ZN9rocsparseL42csr2bsr_wavefront_per_row_multipass_kernelILj256ELj32ELj8E21rocsparse_complex_numIdEliEEv20rocsparse_direction_T4_S4_S4_S4_S4_21rocsparse_index_base_PKT2_PKT3_PKS4_S5_PS6_PS9_PS4_ ; -- Begin function _ZN9rocsparseL42csr2bsr_wavefront_per_row_multipass_kernelILj256ELj32ELj8E21rocsparse_complex_numIdEliEEv20rocsparse_direction_T4_S4_S4_S4_S4_21rocsparse_index_base_PKT2_PKT3_PKS4_S5_PS6_PS9_PS4_
	.p2align	8
	.type	_ZN9rocsparseL42csr2bsr_wavefront_per_row_multipass_kernelILj256ELj32ELj8E21rocsparse_complex_numIdEliEEv20rocsparse_direction_T4_S4_S4_S4_S4_21rocsparse_index_base_PKT2_PKT3_PKS4_S5_PS6_PS9_PS4_,@function
_ZN9rocsparseL42csr2bsr_wavefront_per_row_multipass_kernelILj256ELj32ELj8E21rocsparse_complex_numIdEliEEv20rocsparse_direction_T4_S4_S4_S4_S4_21rocsparse_index_base_PKT2_PKT3_PKS4_S5_PS6_PS9_PS4_: ; @_ZN9rocsparseL42csr2bsr_wavefront_per_row_multipass_kernelILj256ELj32ELj8E21rocsparse_complex_numIdEliEEv20rocsparse_direction_T4_S4_S4_S4_S4_21rocsparse_index_base_PKT2_PKT3_PKS4_S5_PS6_PS9_PS4_
; %bb.0:
	s_clause 0x1
	s_load_b128 s[4:7], s[0:1], 0xc
	s_load_b64 s[16:17], s[0:1], 0x0
	s_bfe_u32 s2, ttmp6, 0x4000c
	s_and_b32 s3, ttmp6, 15
	s_add_co_i32 s2, s2, 1
	s_getreg_b32 s8, hwreg(HW_REG_IB_STS2, 6, 4)
	s_mul_i32 s2, ttmp9, s2
	v_lshrrev_b32_e32 v36, 5, v0
	s_add_co_i32 s3, s3, s2
	s_cmp_eq_u32 s8, 0
	v_bfe_u32 v1, v0, 2, 3
	s_cselect_b32 s2, ttmp9, s3
	s_load_b64 s[8:9], s[0:1], 0x28
	v_lshl_or_b32 v2, s2, 3, v36
	v_mov_b64_e32 v[4:5], 0
	v_mov_b64_e32 v[18:19], 0
	s_mov_b32 s3, 0
	s_wait_kmcnt 0x0
	v_mad_u32 v3, v2, s6, v1
	v_cmp_gt_i32_e32 vcc_lo, s6, v1
	s_delay_alu instid0(VALU_DEP_2) | instskip(SKIP_1) | instid1(SALU_CYCLE_1)
	v_cmp_gt_i32_e64 s2, s17, v3
	s_and_b32 s10, vcc_lo, s2
	s_and_saveexec_b32 s11, s10
	s_cbranch_execz .LBB155_2
; %bb.1:
	global_load_b64 v[6:7], v3, s[8:9] scale_offset
	s_mov_b32 s2, s7
	s_wait_loadcnt 0x0
	v_sub_nc_u64_e64 v[18:19], v[6:7], s[2:3]
.LBB155_2:
	s_or_b32 exec_lo, exec_lo, s11
	s_and_saveexec_b32 s2, s10
	s_cbranch_execz .LBB155_4
; %bb.3:
	global_load_b64 v[4:5], v3, s[8:9] offset:8 scale_offset
	s_wait_xcnt 0x0
	s_mov_b32 s9, 0
	s_mov_b32 s8, s7
	s_wait_loadcnt 0x0
	v_sub_nc_u64_e64 v[4:5], v[4:5], s[8:9]
.LBB155_4:
	s_or_b32 exec_lo, exec_lo, s2
	s_load_b32 s8, s[0:1], 0x38
	v_mov_b64_e32 v[6:7], 0
	s_mov_b32 s3, exec_lo
	v_cmpx_gt_i32_e64 s4, v2
	s_cbranch_execz .LBB155_6
; %bb.5:
	s_load_b64 s[10:11], s[0:1], 0x48
	s_mov_b32 s9, 0
	s_wait_kmcnt 0x0
	global_load_b64 v[2:3], v2, s[10:11] scale_offset
	s_wait_loadcnt 0x0
	v_sub_nc_u64_e64 v[6:7], v[2:3], s[8:9]
.LBB155_6:
	s_or_b32 exec_lo, exec_lo, s3
	s_cmp_lt_i32 s5, 1
	s_cbranch_scc1 .LBB155_26
; %bb.7:
	v_mbcnt_lo_u32_b32 v3, -1, 0
	v_lshlrev_b32_e32 v2, 7, v1
	s_clause 0x3
	s_load_b64 s[18:19], s[0:1], 0x40
	s_load_b64 s[10:11], s[0:1], 0x50
	s_load_b64 s[12:13], s[0:1], 0x20
	s_load_b64 s[14:15], s[0:1], 0x30
	v_dual_mov_b32 v11, 0 :: v_dual_bitop2_b32 v8, 3, v0 bitop3:0x40
	v_xor_b32_e32 v9, 2, v3
	v_lshl_or_b32 v37, v36, 10, v2
	s_cmp_eq_u32 s16, 0
	v_lshlrev_b32_e32 v10, 4, v1
	s_mov_b32 s3, 0
	s_wait_xcnt 0x0
	v_cmp_gt_i32_e64 s0, 32, v9
	v_xor_b32_e32 v0, 1, v3
	s_mov_b32 s2, s6
	v_mul_lo_u32 v16, v8, s6
	v_lshl_or_b32 v38, v8, 4, v37
	v_cndmask_b32_e64 v2, v3, v9, s0
	v_cmp_gt_i32_e64 s0, 32, v0
	s_mov_b32 s20, s3
	s_mov_b32 s21, s3
	;; [unrolled: 1-line block ×3, first 2 shown]
	v_dual_lshlrev_b32 v39, 2, v2 :: v_dual_cndmask_b32 v0, v3, v0, s0
	s_cselect_b32 s0, -1, 0
	s_cmp_lg_u32 s16, 0
	v_mov_b32_e32 v9, v11
	s_cselect_b32 s4, -1, 0
	v_dual_lshlrev_b32 v40, 2, v0 :: v_dual_bitop2_b32 v0, 16, v3 bitop3:0x14
	s_abs_i32 s9, s6
	s_mul_u64 s[16:17], s[2:3], s[2:3]
	s_cvt_f32_u32 s2, s9
	s_wait_kmcnt 0x0
	v_add_nc_u64_e32 v[12:13], s[18:19], v[10:11]
	v_mul_lo_u32 v10, s6, v1
	v_cmp_gt_i32_e64 s1, 32, v0
	v_xor_b32_e32 v1, 8, v3
	v_rcp_iflag_f32_e32 v17, s2
	s_mov_b32 s23, s3
	v_lshl_or_b32 v41, v3, 2, 12
	v_cndmask_b32_e64 v0, v3, v0, s1
	v_cmp_gt_i32_e64 s1, 32, v1
	v_xor_b32_e32 v2, 4, v3
	v_mov_b64_e32 v[24:25], 0
	v_readfirstlane_b32 s2, v17
	v_lshl_add_u64 v[14:15], v[10:11], 4, s[18:19]
	v_cndmask_b32_e64 v1, v3, v1, s1
	v_cmp_gt_i32_e64 s1, 32, v2
	v_lshlrev_b32_e32 v42, 2, v0
	s_mul_f32 s18, s2, 0x4f7ffffe
	v_dual_mov_b32 v17, v11 :: v_dual_bitop2_b32 v0, 4, v8 bitop3:0x54
	v_cndmask_b32_e64 v2, v3, v2, s1
	v_cmp_gt_u32_e64 s1, s6, v8
	s_cvt_u32_f32 s24, s18
	v_lshlrev_b32_e32 v43, 2, v1
	v_cmp_gt_u32_e64 s2, s6, v0
	v_lshlrev_b32_e32 v44, 2, v2
	s_sub_co_i32 s19, 0, s9
	v_mov_b64_e32 v[0:1], s[20:21]
	v_mov_b64_e32 v[2:3], s[22:23]
	s_and_b32 s18, s1, vcc_lo
	s_mul_i32 s1, s19, s24
	v_dual_mov_b32 v45, 0x7c :: v_dual_lshlrev_b32 v22, 4, v8
	v_dual_mov_b32 v21, v11 :: v_dual_bitop2_b32 v46, 64, v38 bitop3:0x54
	v_lshl_add_u32 v20, s6, 2, v16
	v_mov_b32_e32 v47, 1
	s_mul_hi_u32 s1, s24, s1
	s_and_b32 s19, vcc_lo, s2
	s_ashr_i32 s20, s6, 31
	s_add_co_i32 s2, s24, s1
	s_branch .LBB155_10
.LBB155_8:                              ;   in Loop: Header=BB155_10 Depth=1
	s_wait_xcnt 0x0
	s_or_b32 exec_lo, exec_lo, s22
	v_mov_b64_e32 v[26:27], 1
.LBB155_9:                              ;   in Loop: Header=BB155_10 Depth=1
	s_or_b32 exec_lo, exec_lo, s1
	ds_bpermute_b32 v10, v42, v48
	v_add_nc_u64_e32 v[6:7], v[26:27], v[6:7]
	s_wait_storecnt_dscnt 0x0
	v_min_i32_e32 v10, v10, v48
	ds_bpermute_b32 v23, v43, v10
	s_wait_dscnt 0x0
	v_min_i32_e32 v10, v23, v10
	ds_bpermute_b32 v23, v44, v10
	s_wait_dscnt 0x0
	;; [unrolled: 3-line block ×5, first 2 shown]
	v_cmp_le_i32_e32 vcc_lo, s5, v24
	v_ashrrev_i32_e32 v25, 31, v24
	s_or_b32 s21, vcc_lo, s21
	s_delay_alu instid0(SALU_CYCLE_1)
	s_and_not1_b32 exec_lo, exec_lo, s21
	s_cbranch_execz .LBB155_26
.LBB155_10:                             ; =>This Loop Header: Depth=1
                                        ;     Child Loop BB155_13 Depth 2
	v_add_nc_u64_e32 v[18:19], v[18:19], v[8:9]
	v_mov_b64_e32 v[30:31], v[4:5]
	v_mov_b32_e32 v48, s5
	s_mov_b32 s22, exec_lo
	ds_store_b8 v36, v11 offset:8192
	ds_store_b128 v38, v[0:3]
	ds_store_b128 v38, v[0:3] offset:64
	s_wait_dscnt 0x0
	v_cmpx_lt_i64_e64 v[18:19], v[4:5]
	s_cbranch_execz .LBB155_18
; %bb.11:                               ;   in Loop: Header=BB155_10 Depth=1
	v_mov_b64_e32 v[30:31], v[4:5]
	v_lshl_add_u64 v[26:27], v[18:19], 4, s[12:13]
	v_lshl_add_u64 v[28:29], v[18:19], 2, s[14:15]
	v_mov_b32_e32 v48, s5
	s_mov_b32 s23, 0
	s_branch .LBB155_13
.LBB155_12:                             ;   in Loop: Header=BB155_13 Depth=2
	s_wait_xcnt 0x0
	s_or_b32 exec_lo, exec_lo, s1
	v_add_nc_u64_e32 v[18:19], 4, v[18:19]
	s_xor_b32 s24, vcc_lo, -1
	v_add_nc_u64_e32 v[26:27], 64, v[26:27]
	v_add_nc_u64_e32 v[28:29], 16, v[28:29]
	s_delay_alu instid0(VALU_DEP_3) | instskip(SKIP_1) | instid1(SALU_CYCLE_1)
	v_cmp_ge_i64_e64 s1, v[18:19], v[4:5]
	s_or_b32 s1, s24, s1
	s_and_b32 s1, exec_lo, s1
	s_delay_alu instid0(SALU_CYCLE_1) | instskip(NEXT) | instid1(SALU_CYCLE_1)
	s_or_b32 s23, s1, s23
	s_and_not1_b32 exec_lo, exec_lo, s23
	s_cbranch_execz .LBB155_17
.LBB155_13:                             ;   Parent Loop BB155_10 Depth=1
                                        ; =>  This Inner Loop Header: Depth=2
	global_load_b32 v10, v[28:29], off
	s_wait_loadcnt 0x0
	v_subrev_nc_u32_e32 v23, s7, v10
	s_delay_alu instid0(VALU_DEP_1) | instskip(NEXT) | instid1(VALU_DEP_1)
	v_sub_nc_u32_e32 v10, 0, v23
	v_max_i32_e32 v10, v23, v10
	s_delay_alu instid0(VALU_DEP_1) | instskip(NEXT) | instid1(VALU_DEP_1)
	v_mul_u64_e32 v[32:33], s[2:3], v[10:11]
	v_mul_lo_u32 v32, v33, s9
	s_delay_alu instid0(VALU_DEP_1) | instskip(NEXT) | instid1(VALU_DEP_1)
	v_dual_sub_nc_u32 v10, v10, v32 :: v_dual_add_nc_u32 v32, 1, v33
	v_cmp_le_u32_e32 vcc_lo, s9, v10
	s_delay_alu instid0(VALU_DEP_2) | instskip(SKIP_1) | instid1(VALU_DEP_1)
	v_dual_cndmask_b32 v32, v33, v32 :: v_dual_ashrrev_i32 v33, 31, v23
	v_subrev_nc_u32_e32 v34, s9, v10
	v_dual_cndmask_b32 v10, v10, v34, vcc_lo :: v_dual_add_nc_u32 v34, 1, v32
	s_delay_alu instid0(VALU_DEP_1) | instskip(NEXT) | instid1(VALU_DEP_2)
	v_cmp_le_u32_e32 vcc_lo, s9, v10
	v_dual_cndmask_b32 v10, v32, v34, vcc_lo :: v_dual_bitop2_b32 v33, s20, v33 bitop3:0x14
	v_mov_b64_e32 v[34:35], v[30:31]
	s_delay_alu instid0(VALU_DEP_2) | instskip(NEXT) | instid1(VALU_DEP_1)
	v_xor_b32_e32 v10, v10, v33
	v_sub_nc_u32_e32 v32, v10, v33
	s_delay_alu instid0(VALU_DEP_1) | instskip(NEXT) | instid1(VALU_DEP_1)
	v_ashrrev_i32_e32 v33, 31, v32
	v_cmp_ne_u64_e64 s1, v[24:25], v[32:33]
	v_cmp_eq_u64_e32 vcc_lo, v[24:25], v[32:33]
	s_wait_xcnt 0x0
	s_and_saveexec_b32 s24, s1
	s_delay_alu instid0(SALU_CYCLE_1)
	s_xor_b32 s1, exec_lo, s24
; %bb.14:                               ;   in Loop: Header=BB155_13 Depth=2
	v_min_i32_e32 v48, v32, v48
                                        ; implicit-def: $vgpr32
                                        ; implicit-def: $vgpr23
                                        ; implicit-def: $vgpr34_vgpr35
; %bb.15:                               ;   in Loop: Header=BB155_13 Depth=2
	s_or_saveexec_b32 s1, s1
	v_mov_b64_e32 v[30:31], v[18:19]
	s_xor_b32 exec_lo, exec_lo, s1
	s_cbranch_execz .LBB155_12
; %bb.16:                               ;   in Loop: Header=BB155_13 Depth=2
	global_load_b128 v[50:53], v[26:27], off
	v_mul_lo_u32 v10, v32, s6
	v_mov_b64_e32 v[30:31], v[34:35]
	s_delay_alu instid0(VALU_DEP_2) | instskip(NEXT) | instid1(VALU_DEP_1)
	v_sub_nc_u32_e32 v10, v23, v10
	v_lshl_add_u32 v10, v10, 4, v37
	ds_store_b8 v36, v47 offset:8192
	s_wait_loadcnt 0x0
	ds_store_2addr_b64 v10, v[50:51], v[52:53] offset1:1
	s_branch .LBB155_12
.LBB155_17:                             ;   in Loop: Header=BB155_10 Depth=1
	s_or_b32 exec_lo, exec_lo, s23
.LBB155_18:                             ;   in Loop: Header=BB155_10 Depth=1
	s_delay_alu instid0(SALU_CYCLE_1)
	s_or_b32 exec_lo, exec_lo, s22
	ds_bpermute_b32 v18, v39, v30
	ds_bpermute_b32 v19, v39, v31
	s_wait_dscnt 0x0
	ds_load_u8 v10, v36 offset:8192
	s_mov_b32 s1, exec_lo
	v_min_i64 v[18:19], v[18:19], v[30:31]
	s_wait_dscnt 0x0
	v_and_b32_e32 v10, 1, v10
	ds_bpermute_b32 v26, v40, v18
	ds_bpermute_b32 v27, v40, v19
	s_wait_dscnt 0x0
	v_min_i64 v[18:19], v[26:27], v[18:19]
	v_mov_b64_e32 v[26:27], 0
	ds_bpermute_b32 v18, v41, v18
	ds_bpermute_b32 v19, v41, v19
	v_cmpx_eq_u32_e32 1, v10
	s_cbranch_execz .LBB155_9
; %bb.19:                               ;   in Loop: Header=BB155_10 Depth=1
	v_mul_u64_e32 v[26:27], s[16:17], v[6:7]
	v_add_nc_u32_e32 v10, s8, v24
	s_delay_alu instid0(VALU_DEP_2) | instskip(NEXT) | instid1(VALU_DEP_1)
	v_lshlrev_b64_e32 v[28:29], 4, v[26:27]
	v_add_nc_u64_e32 v[26:27], v[12:13], v[28:29]
	v_add_nc_u64_e32 v[24:25], v[14:15], v[28:29]
	v_lshl_add_u64 v[28:29], v[6:7], 2, s[10:11]
	global_store_b32 v[28:29], v10, off
	s_wait_xcnt 0x0
	s_and_saveexec_b32 s22, s18
	s_cbranch_execz .LBB155_21
; %bb.20:                               ;   in Loop: Header=BB155_10 Depth=1
	ds_load_2addr_b64 v[28:31], v38 offset1:1
	v_lshl_add_u64 v[34:35], v[16:17], 4, v[26:27]
	v_mov_b32_e32 v23, v11
	s_delay_alu instid0(VALU_DEP_1) | instskip(NEXT) | instid1(VALU_DEP_1)
	v_add_nc_u64_e32 v[32:33], v[24:25], v[22:23]
	v_dual_cndmask_b32 v33, v35, v33, s0 :: v_dual_cndmask_b32 v32, v34, v32, s0
	s_wait_dscnt 0x0
	global_store_b128 v[32:33], v[28:31], off
.LBB155_21:                             ;   in Loop: Header=BB155_10 Depth=1
	s_wait_xcnt 0x0
	s_or_b32 exec_lo, exec_lo, s22
	s_and_saveexec_b32 s22, s19
	s_cbranch_execz .LBB155_8
; %bb.22:                               ;   in Loop: Header=BB155_10 Depth=1
	s_and_not1_b32 vcc_lo, exec_lo, s4
	s_mov_b32 s23, -1
	s_cbranch_vccnz .LBB155_24
; %bb.23:                               ;   in Loop: Header=BB155_10 Depth=1
	ds_load_2addr_b64 v[28:31], v46 offset1:1
	v_lshl_add_u64 v[26:27], v[20:21], 4, v[26:27]
	s_mov_b32 s23, 0
	s_wait_dscnt 0x0
	global_store_b128 v[26:27], v[28:31], off
.LBB155_24:                             ;   in Loop: Header=BB155_10 Depth=1
	s_and_not1_b32 vcc_lo, exec_lo, s23
	s_cbranch_vccnz .LBB155_8
; %bb.25:                               ;   in Loop: Header=BB155_10 Depth=1
	s_wait_xcnt 0x0
	ds_load_2addr_b64 v[26:29], v46 offset1:1
	v_mov_b32_e32 v23, v11
	s_delay_alu instid0(VALU_DEP_1)
	v_add_nc_u64_e32 v[24:25], v[24:25], v[22:23]
	s_wait_dscnt 0x0
	global_store_b128 v[24:25], v[26:29], off offset:64
	s_branch .LBB155_8
.LBB155_26:
	s_endpgm
	.section	.rodata,"a",@progbits
	.p2align	6, 0x0
	.amdhsa_kernel _ZN9rocsparseL42csr2bsr_wavefront_per_row_multipass_kernelILj256ELj32ELj8E21rocsparse_complex_numIdEliEEv20rocsparse_direction_T4_S4_S4_S4_S4_21rocsparse_index_base_PKT2_PKT3_PKS4_S5_PS6_PS9_PS4_
		.amdhsa_group_segment_fixed_size 8200
		.amdhsa_private_segment_fixed_size 0
		.amdhsa_kernarg_size 88
		.amdhsa_user_sgpr_count 2
		.amdhsa_user_sgpr_dispatch_ptr 0
		.amdhsa_user_sgpr_queue_ptr 0
		.amdhsa_user_sgpr_kernarg_segment_ptr 1
		.amdhsa_user_sgpr_dispatch_id 0
		.amdhsa_user_sgpr_kernarg_preload_length 0
		.amdhsa_user_sgpr_kernarg_preload_offset 0
		.amdhsa_user_sgpr_private_segment_size 0
		.amdhsa_wavefront_size32 1
		.amdhsa_uses_dynamic_stack 0
		.amdhsa_enable_private_segment 0
		.amdhsa_system_sgpr_workgroup_id_x 1
		.amdhsa_system_sgpr_workgroup_id_y 0
		.amdhsa_system_sgpr_workgroup_id_z 0
		.amdhsa_system_sgpr_workgroup_info 0
		.amdhsa_system_vgpr_workitem_id 0
		.amdhsa_next_free_vgpr 54
		.amdhsa_next_free_sgpr 25
		.amdhsa_named_barrier_count 0
		.amdhsa_reserve_vcc 1
		.amdhsa_float_round_mode_32 0
		.amdhsa_float_round_mode_16_64 0
		.amdhsa_float_denorm_mode_32 3
		.amdhsa_float_denorm_mode_16_64 3
		.amdhsa_fp16_overflow 0
		.amdhsa_memory_ordered 1
		.amdhsa_forward_progress 1
		.amdhsa_inst_pref_size 13
		.amdhsa_round_robin_scheduling 0
		.amdhsa_exception_fp_ieee_invalid_op 0
		.amdhsa_exception_fp_denorm_src 0
		.amdhsa_exception_fp_ieee_div_zero 0
		.amdhsa_exception_fp_ieee_overflow 0
		.amdhsa_exception_fp_ieee_underflow 0
		.amdhsa_exception_fp_ieee_inexact 0
		.amdhsa_exception_int_div_zero 0
	.end_amdhsa_kernel
	.section	.text._ZN9rocsparseL42csr2bsr_wavefront_per_row_multipass_kernelILj256ELj32ELj8E21rocsparse_complex_numIdEliEEv20rocsparse_direction_T4_S4_S4_S4_S4_21rocsparse_index_base_PKT2_PKT3_PKS4_S5_PS6_PS9_PS4_,"axG",@progbits,_ZN9rocsparseL42csr2bsr_wavefront_per_row_multipass_kernelILj256ELj32ELj8E21rocsparse_complex_numIdEliEEv20rocsparse_direction_T4_S4_S4_S4_S4_21rocsparse_index_base_PKT2_PKT3_PKS4_S5_PS6_PS9_PS4_,comdat
.Lfunc_end155:
	.size	_ZN9rocsparseL42csr2bsr_wavefront_per_row_multipass_kernelILj256ELj32ELj8E21rocsparse_complex_numIdEliEEv20rocsparse_direction_T4_S4_S4_S4_S4_21rocsparse_index_base_PKT2_PKT3_PKS4_S5_PS6_PS9_PS4_, .Lfunc_end155-_ZN9rocsparseL42csr2bsr_wavefront_per_row_multipass_kernelILj256ELj32ELj8E21rocsparse_complex_numIdEliEEv20rocsparse_direction_T4_S4_S4_S4_S4_21rocsparse_index_base_PKT2_PKT3_PKS4_S5_PS6_PS9_PS4_
                                        ; -- End function
	.set _ZN9rocsparseL42csr2bsr_wavefront_per_row_multipass_kernelILj256ELj32ELj8E21rocsparse_complex_numIdEliEEv20rocsparse_direction_T4_S4_S4_S4_S4_21rocsparse_index_base_PKT2_PKT3_PKS4_S5_PS6_PS9_PS4_.num_vgpr, 54
	.set _ZN9rocsparseL42csr2bsr_wavefront_per_row_multipass_kernelILj256ELj32ELj8E21rocsparse_complex_numIdEliEEv20rocsparse_direction_T4_S4_S4_S4_S4_21rocsparse_index_base_PKT2_PKT3_PKS4_S5_PS6_PS9_PS4_.num_agpr, 0
	.set _ZN9rocsparseL42csr2bsr_wavefront_per_row_multipass_kernelILj256ELj32ELj8E21rocsparse_complex_numIdEliEEv20rocsparse_direction_T4_S4_S4_S4_S4_21rocsparse_index_base_PKT2_PKT3_PKS4_S5_PS6_PS9_PS4_.numbered_sgpr, 25
	.set _ZN9rocsparseL42csr2bsr_wavefront_per_row_multipass_kernelILj256ELj32ELj8E21rocsparse_complex_numIdEliEEv20rocsparse_direction_T4_S4_S4_S4_S4_21rocsparse_index_base_PKT2_PKT3_PKS4_S5_PS6_PS9_PS4_.num_named_barrier, 0
	.set _ZN9rocsparseL42csr2bsr_wavefront_per_row_multipass_kernelILj256ELj32ELj8E21rocsparse_complex_numIdEliEEv20rocsparse_direction_T4_S4_S4_S4_S4_21rocsparse_index_base_PKT2_PKT3_PKS4_S5_PS6_PS9_PS4_.private_seg_size, 0
	.set _ZN9rocsparseL42csr2bsr_wavefront_per_row_multipass_kernelILj256ELj32ELj8E21rocsparse_complex_numIdEliEEv20rocsparse_direction_T4_S4_S4_S4_S4_21rocsparse_index_base_PKT2_PKT3_PKS4_S5_PS6_PS9_PS4_.uses_vcc, 1
	.set _ZN9rocsparseL42csr2bsr_wavefront_per_row_multipass_kernelILj256ELj32ELj8E21rocsparse_complex_numIdEliEEv20rocsparse_direction_T4_S4_S4_S4_S4_21rocsparse_index_base_PKT2_PKT3_PKS4_S5_PS6_PS9_PS4_.uses_flat_scratch, 0
	.set _ZN9rocsparseL42csr2bsr_wavefront_per_row_multipass_kernelILj256ELj32ELj8E21rocsparse_complex_numIdEliEEv20rocsparse_direction_T4_S4_S4_S4_S4_21rocsparse_index_base_PKT2_PKT3_PKS4_S5_PS6_PS9_PS4_.has_dyn_sized_stack, 0
	.set _ZN9rocsparseL42csr2bsr_wavefront_per_row_multipass_kernelILj256ELj32ELj8E21rocsparse_complex_numIdEliEEv20rocsparse_direction_T4_S4_S4_S4_S4_21rocsparse_index_base_PKT2_PKT3_PKS4_S5_PS6_PS9_PS4_.has_recursion, 0
	.set _ZN9rocsparseL42csr2bsr_wavefront_per_row_multipass_kernelILj256ELj32ELj8E21rocsparse_complex_numIdEliEEv20rocsparse_direction_T4_S4_S4_S4_S4_21rocsparse_index_base_PKT2_PKT3_PKS4_S5_PS6_PS9_PS4_.has_indirect_call, 0
	.section	.AMDGPU.csdata,"",@progbits
; Kernel info:
; codeLenInByte = 1612
; TotalNumSgprs: 27
; NumVgprs: 54
; ScratchSize: 0
; MemoryBound: 0
; FloatMode: 240
; IeeeMode: 1
; LDSByteSize: 8200 bytes/workgroup (compile time only)
; SGPRBlocks: 0
; VGPRBlocks: 3
; NumSGPRsForWavesPerEU: 27
; NumVGPRsForWavesPerEU: 54
; NamedBarCnt: 0
; Occupancy: 16
; WaveLimiterHint : 0
; COMPUTE_PGM_RSRC2:SCRATCH_EN: 0
; COMPUTE_PGM_RSRC2:USER_SGPR: 2
; COMPUTE_PGM_RSRC2:TRAP_HANDLER: 0
; COMPUTE_PGM_RSRC2:TGID_X_EN: 1
; COMPUTE_PGM_RSRC2:TGID_Y_EN: 0
; COMPUTE_PGM_RSRC2:TGID_Z_EN: 0
; COMPUTE_PGM_RSRC2:TIDIG_COMP_CNT: 0
	.section	.text._ZN9rocsparseL42csr2bsr_wavefront_per_row_multipass_kernelILj256ELj64ELj16E21rocsparse_complex_numIdEliEEv20rocsparse_direction_T4_S4_S4_S4_S4_21rocsparse_index_base_PKT2_PKT3_PKS4_S5_PS6_PS9_PS4_,"axG",@progbits,_ZN9rocsparseL42csr2bsr_wavefront_per_row_multipass_kernelILj256ELj64ELj16E21rocsparse_complex_numIdEliEEv20rocsparse_direction_T4_S4_S4_S4_S4_21rocsparse_index_base_PKT2_PKT3_PKS4_S5_PS6_PS9_PS4_,comdat
	.globl	_ZN9rocsparseL42csr2bsr_wavefront_per_row_multipass_kernelILj256ELj64ELj16E21rocsparse_complex_numIdEliEEv20rocsparse_direction_T4_S4_S4_S4_S4_21rocsparse_index_base_PKT2_PKT3_PKS4_S5_PS6_PS9_PS4_ ; -- Begin function _ZN9rocsparseL42csr2bsr_wavefront_per_row_multipass_kernelILj256ELj64ELj16E21rocsparse_complex_numIdEliEEv20rocsparse_direction_T4_S4_S4_S4_S4_21rocsparse_index_base_PKT2_PKT3_PKS4_S5_PS6_PS9_PS4_
	.p2align	8
	.type	_ZN9rocsparseL42csr2bsr_wavefront_per_row_multipass_kernelILj256ELj64ELj16E21rocsparse_complex_numIdEliEEv20rocsparse_direction_T4_S4_S4_S4_S4_21rocsparse_index_base_PKT2_PKT3_PKS4_S5_PS6_PS9_PS4_,@function
_ZN9rocsparseL42csr2bsr_wavefront_per_row_multipass_kernelILj256ELj64ELj16E21rocsparse_complex_numIdEliEEv20rocsparse_direction_T4_S4_S4_S4_S4_21rocsparse_index_base_PKT2_PKT3_PKS4_S5_PS6_PS9_PS4_: ; @_ZN9rocsparseL42csr2bsr_wavefront_per_row_multipass_kernelILj256ELj64ELj16E21rocsparse_complex_numIdEliEEv20rocsparse_direction_T4_S4_S4_S4_S4_21rocsparse_index_base_PKT2_PKT3_PKS4_S5_PS6_PS9_PS4_
; %bb.0:
	s_clause 0x1
	s_load_b128 s[4:7], s[0:1], 0xc
	s_load_b64 s[16:17], s[0:1], 0x0
	s_bfe_u32 s2, ttmp6, 0x4000c
	s_and_b32 s3, ttmp6, 15
	s_add_co_i32 s2, s2, 1
	s_getreg_b32 s8, hwreg(HW_REG_IB_STS2, 6, 4)
	s_mul_i32 s2, ttmp9, s2
	v_lshrrev_b32_e32 v40, 6, v0
	s_add_co_i32 s3, s3, s2
	s_cmp_eq_u32 s8, 0
	v_bfe_u32 v1, v0, 2, 4
	s_cselect_b32 s2, ttmp9, s3
	s_load_b64 s[8:9], s[0:1], 0x28
	v_lshl_or_b32 v2, s2, 2, v40
	v_mov_b64_e32 v[4:5], 0
	v_mov_b64_e32 v[18:19], 0
	s_mov_b32 s3, 0
	s_wait_kmcnt 0x0
	v_mad_u32 v3, v2, s6, v1
	v_cmp_gt_i32_e32 vcc_lo, s6, v1
	s_delay_alu instid0(VALU_DEP_2) | instskip(SKIP_1) | instid1(SALU_CYCLE_1)
	v_cmp_gt_i32_e64 s2, s17, v3
	s_and_b32 s10, vcc_lo, s2
	s_and_saveexec_b32 s11, s10
	s_cbranch_execz .LBB156_2
; %bb.1:
	global_load_b64 v[6:7], v3, s[8:9] scale_offset
	s_mov_b32 s2, s7
	s_wait_loadcnt 0x0
	v_sub_nc_u64_e64 v[18:19], v[6:7], s[2:3]
.LBB156_2:
	s_or_b32 exec_lo, exec_lo, s11
	s_and_saveexec_b32 s2, s10
	s_cbranch_execz .LBB156_4
; %bb.3:
	global_load_b64 v[4:5], v3, s[8:9] offset:8 scale_offset
	s_wait_xcnt 0x0
	s_mov_b32 s9, 0
	s_mov_b32 s8, s7
	s_wait_loadcnt 0x0
	v_sub_nc_u64_e64 v[4:5], v[4:5], s[8:9]
.LBB156_4:
	s_or_b32 exec_lo, exec_lo, s2
	s_load_b32 s8, s[0:1], 0x38
	v_mov_b64_e32 v[6:7], 0
	s_mov_b32 s3, exec_lo
	v_cmpx_gt_i32_e64 s4, v2
	s_cbranch_execz .LBB156_6
; %bb.5:
	s_load_b64 s[10:11], s[0:1], 0x48
	s_mov_b32 s9, 0
	s_wait_kmcnt 0x0
	global_load_b64 v[2:3], v2, s[10:11] scale_offset
	s_wait_loadcnt 0x0
	v_sub_nc_u64_e64 v[6:7], v[2:3], s[8:9]
.LBB156_6:
	s_or_b32 exec_lo, exec_lo, s3
	s_cmp_lt_i32 s5, 1
	s_cbranch_scc1 .LBB156_36
; %bb.7:
	v_mbcnt_lo_u32_b32 v3, -1, 0
	v_lshlrev_b32_e32 v2, 8, v1
	s_clause 0x3
	s_load_b64 s[2:3], s[0:1], 0x40
	s_load_b64 s[10:11], s[0:1], 0x50
	s_load_b64 s[12:13], s[0:1], 0x20
	s_load_b64 s[14:15], s[0:1], 0x30
	v_dual_mov_b32 v11, 0 :: v_dual_bitop2_b32 v8, 3, v0 bitop3:0x40
	v_xor_b32_e32 v9, 2, v3
	v_lshl_or_b32 v41, v40, 12, v2
	v_lshlrev_b32_e32 v10, 4, v1
	s_cmp_eq_u32 s16, 0
	v_lshl_or_b32 v45, v3, 2, 12
	s_wait_xcnt 0x0
	v_cmp_gt_i32_e64 s0, 32, v9
	v_xor_b32_e32 v0, 1, v3
	v_mul_lo_u32 v16, v8, s6
	s_mov_b32 s17, 0
	v_lshl_or_b32 v42, v8, 4, v41
	v_cndmask_b32_e64 v2, v3, v9, s0
	v_cmp_gt_i32_e64 s0, 32, v0
	s_mov_b32 s24, s17
	s_mov_b32 s25, s17
	;; [unrolled: 1-line block ×3, first 2 shown]
	v_dual_lshlrev_b32 v43, 2, v2 :: v_dual_cndmask_b32 v0, v3, v0, s0
	v_mov_b32_e32 v9, v11
	s_cselect_b32 s0, -1, 0
	s_cmp_lg_u32 s16, 0
	s_mov_b32 s16, s6
	v_dual_lshlrev_b32 v44, 2, v0 :: v_dual_bitop2_b32 v0, 32, v3 bitop3:0x54
	s_wait_kmcnt 0x0
	v_add_nc_u64_e32 v[12:13], s[2:3], v[10:11]
	v_mul_lo_u32 v10, s6, v1
	s_cselect_b32 s9, -1, 0
	s_abs_i32 s20, s6
	v_cmp_gt_i32_e64 s1, 32, v0
	v_xor_b32_e32 v1, 16, v3
	s_mul_u64 s[18:19], s[16:17], s[16:17]
	s_lshl_b32 s16, s6, 2
	s_delay_alu instid0(SALU_CYCLE_1) | instskip(SKIP_3) | instid1(VALU_DEP_4)
	v_dual_mov_b32 v21, v11 :: v_dual_add_nc_u32 v20, s16, v16
	v_cndmask_b32_e64 v0, v3, v0, s1
	v_cmp_gt_i32_e64 s1, 32, v1
	v_dual_mov_b32 v25, v11 :: v_dual_bitop2_b32 v2, 8, v3 bitop3:0x14
	v_add_nc_u32_e32 v22, s16, v20
	s_mov_b32 s27, s17
	v_cndmask_b32_e64 v1, v3, v1, s1
	s_delay_alu instid0(VALU_DEP_3)
	v_cmp_gt_i32_e64 s1, 32, v2
	v_xor_b32_e32 v14, 4, v3
	v_mov_b64_e32 v[28:29], 0
	v_bfrev_b32_e32 v50, 0.5
	v_or_b32_e32 v52, 0x80, v42
	v_cndmask_b32_e64 v2, v3, v2, s1
	v_cmp_gt_i32_e64 s1, 32, v14
	v_dual_lshlrev_b32 v47, 2, v1 :: v_dual_lshlrev_b32 v46, 2, v0
	v_dual_mov_b32 v17, v11 :: v_dual_bitop2_b32 v0, 4, v8 bitop3:0x54
	s_delay_alu instid0(VALU_DEP_3)
	v_cndmask_b32_e64 v3, v3, v14, s1
	v_lshl_add_u64 v[14:15], v[10:11], 4, s[2:3]
	s_cvt_f32_u32 s2, s20
	v_cmp_gt_u32_e64 s1, s6, v8
	v_dual_lshlrev_b32 v48, 2, v2 :: v_dual_bitop2_b32 v2, 12, v8 bitop3:0x54
	v_add_nc_u32_e32 v24, s16, v22
	v_rcp_iflag_f32_e32 v1, s2
	v_cmp_gt_u32_e64 s2, s6, v0
	v_dual_mov_b32 v23, v11 :: v_dual_bitop2_b32 v0, 8, v8 bitop3:0x54
	v_dual_lshlrev_b32 v49, 2, v3 :: v_dual_bitop2_b32 v51, 64, v42 bitop3:0x54
	v_cmp_gt_u32_e64 s4, s6, v2
	s_delay_alu instid0(TRANS32_DEP_1) | instskip(NEXT) | instid1(VALU_DEP_4)
	v_readfirstlane_b32 s21, v1
	v_cmp_gt_u32_e64 s3, s6, v0
	s_sub_co_i32 s16, 0, s20
	v_mov_b64_e32 v[0:1], s[24:25]
	v_mov_b64_e32 v[2:3], s[26:27]
	s_mul_f32 s22, s21, 0x4f7ffffe
	s_and_b32 s21, s1, vcc_lo
	v_or_b32_e32 v53, 0xc0, v42
	v_dual_mov_b32 v54, 1 :: v_dual_lshlrev_b32 v26, 4, v8
	s_cvt_u32_f32 s1, s22
	s_and_b32 s2, vcc_lo, s2
	s_and_b32 s3, vcc_lo, s3
	;; [unrolled: 1-line block ×3, first 2 shown]
	s_mul_i32 s16, s16, s1
	s_ashr_i32 s22, s6, 31
	s_mul_hi_u32 s16, s1, s16
	s_mov_b32 s23, s17
	s_add_co_i32 s16, s1, s16
	s_branch .LBB156_10
.LBB156_8:                              ;   in Loop: Header=BB156_10 Depth=1
	s_wait_xcnt 0x0
	s_or_b32 exec_lo, exec_lo, s24
	v_mov_b64_e32 v[30:31], 1
.LBB156_9:                              ;   in Loop: Header=BB156_10 Depth=1
	s_or_b32 exec_lo, exec_lo, s1
	ds_bpermute_b32 v10, v46, v55
	v_add_nc_u64_e32 v[6:7], v[30:31], v[6:7]
	s_wait_storecnt_dscnt 0x0
	v_min_i32_e32 v10, v10, v55
	ds_bpermute_b32 v27, v47, v10
	s_wait_dscnt 0x0
	v_min_i32_e32 v10, v27, v10
	ds_bpermute_b32 v27, v48, v10
	s_wait_dscnt 0x0
	;; [unrolled: 3-line block ×6, first 2 shown]
	v_cmp_le_i32_e32 vcc_lo, s5, v28
	v_ashrrev_i32_e32 v29, 31, v28
	s_or_b32 s23, vcc_lo, s23
	s_delay_alu instid0(SALU_CYCLE_1)
	s_and_not1_b32 exec_lo, exec_lo, s23
	s_cbranch_execz .LBB156_36
.LBB156_10:                             ; =>This Loop Header: Depth=1
                                        ;     Child Loop BB156_13 Depth 2
	v_add_nc_u64_e32 v[18:19], v[18:19], v[8:9]
	v_mov_b64_e32 v[34:35], v[4:5]
	v_mov_b32_e32 v55, s5
	s_mov_b32 s24, exec_lo
	ds_store_b8 v40, v11 offset:16384
	ds_store_b128 v42, v[0:3]
	ds_store_b128 v42, v[0:3] offset:64
	ds_store_b128 v42, v[0:3] offset:128
	;; [unrolled: 1-line block ×3, first 2 shown]
	s_wait_dscnt 0x0
	v_cmpx_lt_i64_e64 v[18:19], v[4:5]
	s_cbranch_execz .LBB156_18
; %bb.11:                               ;   in Loop: Header=BB156_10 Depth=1
	v_mov_b64_e32 v[34:35], v[4:5]
	v_lshl_add_u64 v[30:31], v[18:19], 4, s[12:13]
	v_lshl_add_u64 v[32:33], v[18:19], 2, s[14:15]
	v_mov_b32_e32 v55, s5
	s_mov_b32 s25, 0
	s_branch .LBB156_13
.LBB156_12:                             ;   in Loop: Header=BB156_13 Depth=2
	s_wait_xcnt 0x0
	s_or_b32 exec_lo, exec_lo, s1
	v_add_nc_u64_e32 v[18:19], 4, v[18:19]
	s_xor_b32 s26, vcc_lo, -1
	v_add_nc_u64_e32 v[30:31], 64, v[30:31]
	v_add_nc_u64_e32 v[32:33], 16, v[32:33]
	s_delay_alu instid0(VALU_DEP_3) | instskip(SKIP_1) | instid1(SALU_CYCLE_1)
	v_cmp_ge_i64_e64 s1, v[18:19], v[4:5]
	s_or_b32 s1, s26, s1
	s_and_b32 s1, exec_lo, s1
	s_delay_alu instid0(SALU_CYCLE_1) | instskip(NEXT) | instid1(SALU_CYCLE_1)
	s_or_b32 s25, s1, s25
	s_and_not1_b32 exec_lo, exec_lo, s25
	s_cbranch_execz .LBB156_17
.LBB156_13:                             ;   Parent Loop BB156_10 Depth=1
                                        ; =>  This Inner Loop Header: Depth=2
	global_load_b32 v10, v[32:33], off
	s_wait_loadcnt 0x0
	v_subrev_nc_u32_e32 v27, s7, v10
	s_delay_alu instid0(VALU_DEP_1) | instskip(NEXT) | instid1(VALU_DEP_1)
	v_sub_nc_u32_e32 v10, 0, v27
	v_max_i32_e32 v10, v27, v10
	s_delay_alu instid0(VALU_DEP_1) | instskip(NEXT) | instid1(VALU_DEP_1)
	v_mul_u64_e32 v[36:37], s[16:17], v[10:11]
	v_mul_lo_u32 v36, v37, s20
	s_delay_alu instid0(VALU_DEP_1) | instskip(NEXT) | instid1(VALU_DEP_1)
	v_dual_sub_nc_u32 v10, v10, v36 :: v_dual_add_nc_u32 v36, 1, v37
	v_cmp_le_u32_e32 vcc_lo, s20, v10
	s_delay_alu instid0(VALU_DEP_2) | instskip(SKIP_1) | instid1(VALU_DEP_1)
	v_dual_cndmask_b32 v36, v37, v36 :: v_dual_ashrrev_i32 v37, 31, v27
	v_subrev_nc_u32_e32 v38, s20, v10
	v_dual_cndmask_b32 v10, v10, v38, vcc_lo :: v_dual_add_nc_u32 v38, 1, v36
	s_delay_alu instid0(VALU_DEP_1) | instskip(NEXT) | instid1(VALU_DEP_2)
	v_cmp_le_u32_e32 vcc_lo, s20, v10
	v_dual_cndmask_b32 v10, v36, v38, vcc_lo :: v_dual_bitop2_b32 v37, s22, v37 bitop3:0x14
	v_mov_b64_e32 v[38:39], v[34:35]
	s_delay_alu instid0(VALU_DEP_2) | instskip(NEXT) | instid1(VALU_DEP_1)
	v_xor_b32_e32 v10, v10, v37
	v_sub_nc_u32_e32 v36, v10, v37
	s_delay_alu instid0(VALU_DEP_1) | instskip(NEXT) | instid1(VALU_DEP_1)
	v_ashrrev_i32_e32 v37, 31, v36
	v_cmp_ne_u64_e64 s1, v[28:29], v[36:37]
	v_cmp_eq_u64_e32 vcc_lo, v[28:29], v[36:37]
	s_wait_xcnt 0x0
	s_and_saveexec_b32 s26, s1
	s_delay_alu instid0(SALU_CYCLE_1)
	s_xor_b32 s1, exec_lo, s26
; %bb.14:                               ;   in Loop: Header=BB156_13 Depth=2
	v_min_i32_e32 v55, v36, v55
                                        ; implicit-def: $vgpr36
                                        ; implicit-def: $vgpr27
                                        ; implicit-def: $vgpr38_vgpr39
; %bb.15:                               ;   in Loop: Header=BB156_13 Depth=2
	s_or_saveexec_b32 s1, s1
	v_mov_b64_e32 v[34:35], v[18:19]
	s_xor_b32 exec_lo, exec_lo, s1
	s_cbranch_execz .LBB156_12
; %bb.16:                               ;   in Loop: Header=BB156_13 Depth=2
	global_load_b128 v[56:59], v[30:31], off
	v_mul_lo_u32 v10, v36, s6
	v_mov_b64_e32 v[34:35], v[38:39]
	s_delay_alu instid0(VALU_DEP_2) | instskip(NEXT) | instid1(VALU_DEP_1)
	v_sub_nc_u32_e32 v10, v27, v10
	v_lshl_add_u32 v10, v10, 4, v41
	ds_store_b8 v40, v54 offset:16384
	s_wait_loadcnt 0x0
	ds_store_2addr_b64 v10, v[56:57], v[58:59] offset1:1
	s_branch .LBB156_12
.LBB156_17:                             ;   in Loop: Header=BB156_10 Depth=1
	s_or_b32 exec_lo, exec_lo, s25
.LBB156_18:                             ;   in Loop: Header=BB156_10 Depth=1
	s_delay_alu instid0(SALU_CYCLE_1)
	s_or_b32 exec_lo, exec_lo, s24
	ds_bpermute_b32 v18, v43, v34
	ds_bpermute_b32 v19, v43, v35
	s_wait_dscnt 0x0
	ds_load_u8 v10, v40 offset:16384
	s_mov_b32 s1, exec_lo
	v_min_i64 v[18:19], v[18:19], v[34:35]
	s_wait_dscnt 0x0
	v_and_b32_e32 v10, 1, v10
	ds_bpermute_b32 v30, v44, v18
	ds_bpermute_b32 v31, v44, v19
	s_wait_dscnt 0x0
	v_min_i64 v[18:19], v[30:31], v[18:19]
	v_mov_b64_e32 v[30:31], 0
	ds_bpermute_b32 v18, v45, v18
	ds_bpermute_b32 v19, v45, v19
	v_cmpx_eq_u32_e32 1, v10
	s_cbranch_execz .LBB156_9
; %bb.19:                               ;   in Loop: Header=BB156_10 Depth=1
	v_mul_u64_e32 v[30:31], s[18:19], v[6:7]
	v_add_nc_u32_e32 v10, s8, v28
	s_delay_alu instid0(VALU_DEP_2) | instskip(NEXT) | instid1(VALU_DEP_1)
	v_lshlrev_b64_e32 v[32:33], 4, v[30:31]
	v_add_nc_u64_e32 v[30:31], v[12:13], v[32:33]
	v_add_nc_u64_e32 v[28:29], v[14:15], v[32:33]
	v_lshl_add_u64 v[32:33], v[6:7], 2, s[10:11]
	global_store_b32 v[32:33], v10, off
	s_wait_xcnt 0x0
	s_and_saveexec_b32 s24, s21
	s_cbranch_execz .LBB156_21
; %bb.20:                               ;   in Loop: Header=BB156_10 Depth=1
	ds_load_2addr_b64 v[32:35], v42 offset1:1
	v_lshl_add_u64 v[38:39], v[16:17], 4, v[30:31]
	v_mov_b32_e32 v27, v11
	s_delay_alu instid0(VALU_DEP_1) | instskip(NEXT) | instid1(VALU_DEP_1)
	v_add_nc_u64_e32 v[36:37], v[28:29], v[26:27]
	v_dual_cndmask_b32 v37, v39, v37, s0 :: v_dual_cndmask_b32 v36, v38, v36, s0
	s_wait_dscnt 0x0
	global_store_b128 v[36:37], v[32:35], off
.LBB156_21:                             ;   in Loop: Header=BB156_10 Depth=1
	s_wait_xcnt 0x0
	s_or_b32 exec_lo, exec_lo, s24
	s_and_saveexec_b32 s24, s2
	s_cbranch_execz .LBB156_26
; %bb.22:                               ;   in Loop: Header=BB156_10 Depth=1
	s_and_not1_b32 vcc_lo, exec_lo, s9
	s_mov_b32 s25, -1
	s_cbranch_vccnz .LBB156_24
; %bb.23:                               ;   in Loop: Header=BB156_10 Depth=1
	ds_load_2addr_b64 v[32:35], v51 offset1:1
	v_lshl_add_u64 v[36:37], v[20:21], 4, v[30:31]
	s_mov_b32 s25, 0
	s_wait_dscnt 0x0
	global_store_b128 v[36:37], v[32:35], off
.LBB156_24:                             ;   in Loop: Header=BB156_10 Depth=1
	s_and_not1_b32 vcc_lo, exec_lo, s25
	s_cbranch_vccnz .LBB156_26
; %bb.25:                               ;   in Loop: Header=BB156_10 Depth=1
	s_wait_xcnt 0x0
	ds_load_2addr_b64 v[32:35], v51 offset1:1
	v_mov_b32_e32 v27, v11
	s_delay_alu instid0(VALU_DEP_1)
	v_add_nc_u64_e32 v[36:37], v[28:29], v[26:27]
	s_wait_dscnt 0x0
	global_store_b128 v[36:37], v[32:35], off offset:64
.LBB156_26:                             ;   in Loop: Header=BB156_10 Depth=1
	s_wait_xcnt 0x0
	s_or_b32 exec_lo, exec_lo, s24
	s_and_saveexec_b32 s24, s3
	s_cbranch_execz .LBB156_31
; %bb.27:                               ;   in Loop: Header=BB156_10 Depth=1
	s_and_not1_b32 vcc_lo, exec_lo, s9
	s_mov_b32 s25, -1
	s_cbranch_vccnz .LBB156_29
; %bb.28:                               ;   in Loop: Header=BB156_10 Depth=1
	ds_load_2addr_b64 v[32:35], v52 offset1:1
	v_lshl_add_u64 v[36:37], v[22:23], 4, v[30:31]
	s_mov_b32 s25, 0
	s_wait_dscnt 0x0
	global_store_b128 v[36:37], v[32:35], off
.LBB156_29:                             ;   in Loop: Header=BB156_10 Depth=1
	s_and_not1_b32 vcc_lo, exec_lo, s25
	s_cbranch_vccnz .LBB156_31
; %bb.30:                               ;   in Loop: Header=BB156_10 Depth=1
	s_wait_xcnt 0x0
	ds_load_2addr_b64 v[32:35], v52 offset1:1
	v_mov_b32_e32 v27, v11
	s_delay_alu instid0(VALU_DEP_1)
	v_add_nc_u64_e32 v[36:37], v[28:29], v[26:27]
	s_wait_dscnt 0x0
	global_store_b128 v[36:37], v[32:35], off offset:128
.LBB156_31:                             ;   in Loop: Header=BB156_10 Depth=1
	s_wait_xcnt 0x0
	s_or_b32 exec_lo, exec_lo, s24
	s_and_saveexec_b32 s24, s4
	s_cbranch_execz .LBB156_8
; %bb.32:                               ;   in Loop: Header=BB156_10 Depth=1
	s_and_not1_b32 vcc_lo, exec_lo, s9
	s_mov_b32 s25, -1
	s_cbranch_vccnz .LBB156_34
; %bb.33:                               ;   in Loop: Header=BB156_10 Depth=1
	ds_load_2addr_b64 v[32:35], v53 offset1:1
	v_lshl_add_u64 v[30:31], v[24:25], 4, v[30:31]
	s_mov_b32 s25, 0
	s_wait_dscnt 0x0
	global_store_b128 v[30:31], v[32:35], off
.LBB156_34:                             ;   in Loop: Header=BB156_10 Depth=1
	s_and_not1_b32 vcc_lo, exec_lo, s25
	s_cbranch_vccnz .LBB156_8
; %bb.35:                               ;   in Loop: Header=BB156_10 Depth=1
	s_wait_xcnt 0x0
	ds_load_2addr_b64 v[30:33], v53 offset1:1
	v_mov_b32_e32 v27, v11
	s_delay_alu instid0(VALU_DEP_1)
	v_add_nc_u64_e32 v[28:29], v[28:29], v[26:27]
	s_wait_dscnt 0x0
	global_store_b128 v[28:29], v[30:33], off offset:192
	s_branch .LBB156_8
.LBB156_36:
	s_endpgm
	.section	.rodata,"a",@progbits
	.p2align	6, 0x0
	.amdhsa_kernel _ZN9rocsparseL42csr2bsr_wavefront_per_row_multipass_kernelILj256ELj64ELj16E21rocsparse_complex_numIdEliEEv20rocsparse_direction_T4_S4_S4_S4_S4_21rocsparse_index_base_PKT2_PKT3_PKS4_S5_PS6_PS9_PS4_
		.amdhsa_group_segment_fixed_size 16392
		.amdhsa_private_segment_fixed_size 0
		.amdhsa_kernarg_size 88
		.amdhsa_user_sgpr_count 2
		.amdhsa_user_sgpr_dispatch_ptr 0
		.amdhsa_user_sgpr_queue_ptr 0
		.amdhsa_user_sgpr_kernarg_segment_ptr 1
		.amdhsa_user_sgpr_dispatch_id 0
		.amdhsa_user_sgpr_kernarg_preload_length 0
		.amdhsa_user_sgpr_kernarg_preload_offset 0
		.amdhsa_user_sgpr_private_segment_size 0
		.amdhsa_wavefront_size32 1
		.amdhsa_uses_dynamic_stack 0
		.amdhsa_enable_private_segment 0
		.amdhsa_system_sgpr_workgroup_id_x 1
		.amdhsa_system_sgpr_workgroup_id_y 0
		.amdhsa_system_sgpr_workgroup_id_z 0
		.amdhsa_system_sgpr_workgroup_info 0
		.amdhsa_system_vgpr_workitem_id 0
		.amdhsa_next_free_vgpr 60
		.amdhsa_next_free_sgpr 28
		.amdhsa_named_barrier_count 0
		.amdhsa_reserve_vcc 1
		.amdhsa_float_round_mode_32 0
		.amdhsa_float_round_mode_16_64 0
		.amdhsa_float_denorm_mode_32 3
		.amdhsa_float_denorm_mode_16_64 3
		.amdhsa_fp16_overflow 0
		.amdhsa_memory_ordered 1
		.amdhsa_forward_progress 1
		.amdhsa_inst_pref_size 16
		.amdhsa_round_robin_scheduling 0
		.amdhsa_exception_fp_ieee_invalid_op 0
		.amdhsa_exception_fp_denorm_src 0
		.amdhsa_exception_fp_ieee_div_zero 0
		.amdhsa_exception_fp_ieee_overflow 0
		.amdhsa_exception_fp_ieee_underflow 0
		.amdhsa_exception_fp_ieee_inexact 0
		.amdhsa_exception_int_div_zero 0
	.end_amdhsa_kernel
	.section	.text._ZN9rocsparseL42csr2bsr_wavefront_per_row_multipass_kernelILj256ELj64ELj16E21rocsparse_complex_numIdEliEEv20rocsparse_direction_T4_S4_S4_S4_S4_21rocsparse_index_base_PKT2_PKT3_PKS4_S5_PS6_PS9_PS4_,"axG",@progbits,_ZN9rocsparseL42csr2bsr_wavefront_per_row_multipass_kernelILj256ELj64ELj16E21rocsparse_complex_numIdEliEEv20rocsparse_direction_T4_S4_S4_S4_S4_21rocsparse_index_base_PKT2_PKT3_PKS4_S5_PS6_PS9_PS4_,comdat
.Lfunc_end156:
	.size	_ZN9rocsparseL42csr2bsr_wavefront_per_row_multipass_kernelILj256ELj64ELj16E21rocsparse_complex_numIdEliEEv20rocsparse_direction_T4_S4_S4_S4_S4_21rocsparse_index_base_PKT2_PKT3_PKS4_S5_PS6_PS9_PS4_, .Lfunc_end156-_ZN9rocsparseL42csr2bsr_wavefront_per_row_multipass_kernelILj256ELj64ELj16E21rocsparse_complex_numIdEliEEv20rocsparse_direction_T4_S4_S4_S4_S4_21rocsparse_index_base_PKT2_PKT3_PKS4_S5_PS6_PS9_PS4_
                                        ; -- End function
	.set _ZN9rocsparseL42csr2bsr_wavefront_per_row_multipass_kernelILj256ELj64ELj16E21rocsparse_complex_numIdEliEEv20rocsparse_direction_T4_S4_S4_S4_S4_21rocsparse_index_base_PKT2_PKT3_PKS4_S5_PS6_PS9_PS4_.num_vgpr, 60
	.set _ZN9rocsparseL42csr2bsr_wavefront_per_row_multipass_kernelILj256ELj64ELj16E21rocsparse_complex_numIdEliEEv20rocsparse_direction_T4_S4_S4_S4_S4_21rocsparse_index_base_PKT2_PKT3_PKS4_S5_PS6_PS9_PS4_.num_agpr, 0
	.set _ZN9rocsparseL42csr2bsr_wavefront_per_row_multipass_kernelILj256ELj64ELj16E21rocsparse_complex_numIdEliEEv20rocsparse_direction_T4_S4_S4_S4_S4_21rocsparse_index_base_PKT2_PKT3_PKS4_S5_PS6_PS9_PS4_.numbered_sgpr, 28
	.set _ZN9rocsparseL42csr2bsr_wavefront_per_row_multipass_kernelILj256ELj64ELj16E21rocsparse_complex_numIdEliEEv20rocsparse_direction_T4_S4_S4_S4_S4_21rocsparse_index_base_PKT2_PKT3_PKS4_S5_PS6_PS9_PS4_.num_named_barrier, 0
	.set _ZN9rocsparseL42csr2bsr_wavefront_per_row_multipass_kernelILj256ELj64ELj16E21rocsparse_complex_numIdEliEEv20rocsparse_direction_T4_S4_S4_S4_S4_21rocsparse_index_base_PKT2_PKT3_PKS4_S5_PS6_PS9_PS4_.private_seg_size, 0
	.set _ZN9rocsparseL42csr2bsr_wavefront_per_row_multipass_kernelILj256ELj64ELj16E21rocsparse_complex_numIdEliEEv20rocsparse_direction_T4_S4_S4_S4_S4_21rocsparse_index_base_PKT2_PKT3_PKS4_S5_PS6_PS9_PS4_.uses_vcc, 1
	.set _ZN9rocsparseL42csr2bsr_wavefront_per_row_multipass_kernelILj256ELj64ELj16E21rocsparse_complex_numIdEliEEv20rocsparse_direction_T4_S4_S4_S4_S4_21rocsparse_index_base_PKT2_PKT3_PKS4_S5_PS6_PS9_PS4_.uses_flat_scratch, 0
	.set _ZN9rocsparseL42csr2bsr_wavefront_per_row_multipass_kernelILj256ELj64ELj16E21rocsparse_complex_numIdEliEEv20rocsparse_direction_T4_S4_S4_S4_S4_21rocsparse_index_base_PKT2_PKT3_PKS4_S5_PS6_PS9_PS4_.has_dyn_sized_stack, 0
	.set _ZN9rocsparseL42csr2bsr_wavefront_per_row_multipass_kernelILj256ELj64ELj16E21rocsparse_complex_numIdEliEEv20rocsparse_direction_T4_S4_S4_S4_S4_21rocsparse_index_base_PKT2_PKT3_PKS4_S5_PS6_PS9_PS4_.has_recursion, 0
	.set _ZN9rocsparseL42csr2bsr_wavefront_per_row_multipass_kernelILj256ELj64ELj16E21rocsparse_complex_numIdEliEEv20rocsparse_direction_T4_S4_S4_S4_S4_21rocsparse_index_base_PKT2_PKT3_PKS4_S5_PS6_PS9_PS4_.has_indirect_call, 0
	.section	.AMDGPU.csdata,"",@progbits
; Kernel info:
; codeLenInByte = 1992
; TotalNumSgprs: 30
; NumVgprs: 60
; ScratchSize: 0
; MemoryBound: 0
; FloatMode: 240
; IeeeMode: 1
; LDSByteSize: 16392 bytes/workgroup (compile time only)
; SGPRBlocks: 0
; VGPRBlocks: 3
; NumSGPRsForWavesPerEU: 30
; NumVGPRsForWavesPerEU: 60
; NamedBarCnt: 0
; Occupancy: 16
; WaveLimiterHint : 0
; COMPUTE_PGM_RSRC2:SCRATCH_EN: 0
; COMPUTE_PGM_RSRC2:USER_SGPR: 2
; COMPUTE_PGM_RSRC2:TRAP_HANDLER: 0
; COMPUTE_PGM_RSRC2:TGID_X_EN: 1
; COMPUTE_PGM_RSRC2:TGID_Y_EN: 0
; COMPUTE_PGM_RSRC2:TGID_Z_EN: 0
; COMPUTE_PGM_RSRC2:TIDIG_COMP_CNT: 0
	.section	.text._ZN9rocsparseL42csr2bsr_wavefront_per_row_multipass_kernelILj256ELj32ELj16E21rocsparse_complex_numIdEliEEv20rocsparse_direction_T4_S4_S4_S4_S4_21rocsparse_index_base_PKT2_PKT3_PKS4_S5_PS6_PS9_PS4_,"axG",@progbits,_ZN9rocsparseL42csr2bsr_wavefront_per_row_multipass_kernelILj256ELj32ELj16E21rocsparse_complex_numIdEliEEv20rocsparse_direction_T4_S4_S4_S4_S4_21rocsparse_index_base_PKT2_PKT3_PKS4_S5_PS6_PS9_PS4_,comdat
	.globl	_ZN9rocsparseL42csr2bsr_wavefront_per_row_multipass_kernelILj256ELj32ELj16E21rocsparse_complex_numIdEliEEv20rocsparse_direction_T4_S4_S4_S4_S4_21rocsparse_index_base_PKT2_PKT3_PKS4_S5_PS6_PS9_PS4_ ; -- Begin function _ZN9rocsparseL42csr2bsr_wavefront_per_row_multipass_kernelILj256ELj32ELj16E21rocsparse_complex_numIdEliEEv20rocsparse_direction_T4_S4_S4_S4_S4_21rocsparse_index_base_PKT2_PKT3_PKS4_S5_PS6_PS9_PS4_
	.p2align	8
	.type	_ZN9rocsparseL42csr2bsr_wavefront_per_row_multipass_kernelILj256ELj32ELj16E21rocsparse_complex_numIdEliEEv20rocsparse_direction_T4_S4_S4_S4_S4_21rocsparse_index_base_PKT2_PKT3_PKS4_S5_PS6_PS9_PS4_,@function
_ZN9rocsparseL42csr2bsr_wavefront_per_row_multipass_kernelILj256ELj32ELj16E21rocsparse_complex_numIdEliEEv20rocsparse_direction_T4_S4_S4_S4_S4_21rocsparse_index_base_PKT2_PKT3_PKS4_S5_PS6_PS9_PS4_: ; @_ZN9rocsparseL42csr2bsr_wavefront_per_row_multipass_kernelILj256ELj32ELj16E21rocsparse_complex_numIdEliEEv20rocsparse_direction_T4_S4_S4_S4_S4_21rocsparse_index_base_PKT2_PKT3_PKS4_S5_PS6_PS9_PS4_
; %bb.0:
	s_clause 0x1
	s_load_b128 s[8:11], s[0:1], 0xc
	s_load_b64 s[4:5], s[0:1], 0x0
	s_bfe_u32 s2, ttmp6, 0x4000c
	s_and_b32 s3, ttmp6, 15
	s_add_co_i32 s2, s2, 1
	s_getreg_b32 s6, hwreg(HW_REG_IB_STS2, 6, 4)
	s_mul_i32 s2, ttmp9, s2
	v_lshrrev_b32_e32 v48, 5, v0
	s_add_co_i32 s3, s3, s2
	s_cmp_eq_u32 s6, 0
	v_bfe_u32 v1, v0, 1, 4
	s_cselect_b32 s2, ttmp9, s3
	s_load_b64 s[6:7], s[0:1], 0x28
	v_lshl_or_b32 v2, s2, 3, v48
	v_mov_b64_e32 v[4:5], 0
	v_mov_b64_e32 v[20:21], 0
	s_mov_b32 s3, 0
	s_wait_kmcnt 0x0
	v_mad_u32 v3, v2, s10, v1
	v_cmp_gt_i32_e32 vcc_lo, s10, v1
	s_delay_alu instid0(VALU_DEP_2) | instskip(SKIP_1) | instid1(SALU_CYCLE_1)
	v_cmp_gt_i32_e64 s2, s5, v3
	s_and_b32 s5, vcc_lo, s2
	s_and_saveexec_b32 s12, s5
	s_cbranch_execz .LBB157_2
; %bb.1:
	global_load_b64 v[6:7], v3, s[6:7] scale_offset
	s_mov_b32 s2, s11
	s_wait_loadcnt 0x0
	v_sub_nc_u64_e64 v[20:21], v[6:7], s[2:3]
.LBB157_2:
	s_or_b32 exec_lo, exec_lo, s12
	s_and_saveexec_b32 s2, s5
	s_cbranch_execz .LBB157_4
; %bb.3:
	global_load_b64 v[4:5], v3, s[6:7] offset:8 scale_offset
	s_wait_xcnt 0x0
	s_mov_b32 s7, 0
	s_mov_b32 s6, s11
	s_wait_loadcnt 0x0
	v_sub_nc_u64_e64 v[4:5], v[4:5], s[6:7]
.LBB157_4:
	s_or_b32 exec_lo, exec_lo, s2
	s_load_b32 s12, s[0:1], 0x38
	v_mov_b64_e32 v[6:7], 0
	s_mov_b32 s3, exec_lo
	v_cmpx_gt_i32_e64 s8, v2
	s_cbranch_execz .LBB157_6
; %bb.5:
	s_load_b64 s[6:7], s[0:1], 0x48
	s_mov_b32 s13, 0
	s_wait_kmcnt 0x0
	global_load_b64 v[2:3], v2, s[6:7] scale_offset
	s_wait_loadcnt 0x0
	v_sub_nc_u64_e64 v[6:7], v[2:3], s[12:13]
.LBB157_6:
	s_or_b32 exec_lo, exec_lo, s3
	s_cmp_lt_i32 s9, 1
	s_cbranch_scc1 .LBB157_56
; %bb.7:
	v_mbcnt_lo_u32_b32 v2, -1, 0
	v_lshlrev_b32_e32 v3, 8, v1
	s_load_b64 s[6:7], s[0:1], 0x40
	v_dual_mov_b32 v11, 0 :: v_dual_bitop2_b32 v8, 1, v0 bitop3:0x40
	s_delay_alu instid0(VALU_DEP_3)
	v_xor_b32_e32 v9, 1, v2
	s_clause 0x2
	s_load_b64 s[14:15], s[0:1], 0x50
	s_load_b64 s[16:17], s[0:1], 0x20
	;; [unrolled: 1-line block ×3, first 2 shown]
	v_lshl_or_b32 v49, v48, 12, v3
	v_mul_lo_u32 v16, v8, s10
	s_cmp_eq_u32 s4, 0
	v_cmp_gt_i32_e64 s2, 32, v9
	s_mov_b32 s21, 0
	s_wait_xcnt 0x0
	s_cselect_b32 s0, -1, 0
	s_cmp_lg_u32 s4, 0
	s_mov_b32 s20, s10
	v_dual_cndmask_b32 v0, v2, v9, s2 :: v_dual_mov_b32 v9, v11
	s_cselect_b32 s13, -1, 0
	s_mul_u64 s[22:23], s[20:21], s[20:21]
	s_lshl_b32 s20, s10, 1
	s_delay_alu instid0(VALU_DEP_1)
	v_dual_lshlrev_b32 v51, 2, v0 :: v_dual_lshlrev_b32 v10, 4, v1
	v_dual_mov_b32 v57, 0x7c :: v_dual_add_nc_u32 v18, s20, v16
	v_lshl_or_b32 v52, v2, 2, 4
	s_abs_i32 s24, s10
	s_wait_kmcnt 0x0
	v_add_nc_u64_e32 v[12:13], s[6:7], v[10:11]
	v_mul_lo_u32 v10, s10, v1
	v_xor_b32_e32 v1, 8, v2
	v_xor_b32_e32 v0, 16, v2
	v_lshl_or_b32 v50, v8, 4, v49
	s_mov_b32 s28, s21
	s_mov_b32 s29, s21
	;; [unrolled: 1-line block ×3, first 2 shown]
	v_cmp_gt_i32_e64 s1, 32, v0
	s_mov_b32 s31, s21
	v_mov_b64_e32 v[36:37], 0
	v_dual_mov_b32 v17, v11 :: v_dual_bitop2_b32 v58, 32, v50 bitop3:0x54
	v_dual_cndmask_b32 v0, v2, v0, s1 :: v_dual_bitop2_b32 v3, 4, v2 bitop3:0x14
	v_cmp_gt_i32_e64 s1, 32, v1
	v_add_nc_u32_e32 v22, s20, v18
	v_dual_mov_b32 v19, v11 :: v_dual_bitop2_b32 v59, 64, v50 bitop3:0x54
	s_delay_alu instid0(VALU_DEP_3) | instskip(SKIP_3) | instid1(VALU_DEP_3)
	v_dual_lshlrev_b32 v53, 2, v0 :: v_dual_cndmask_b32 v1, v2, v1, s1
	v_cmp_gt_i32_e64 s1, 32, v3
	v_xor_b32_e32 v14, 2, v2
	v_dual_mov_b32 v23, v11 :: v_dual_bitop2_b32 v0, 2, v8 bitop3:0x54
	v_dual_lshlrev_b32 v54, 2, v1 :: v_dual_cndmask_b32 v3, v2, v3, s1
	s_delay_alu instid0(VALU_DEP_3) | instskip(SKIP_1) | instid1(VALU_DEP_4)
	v_cmp_gt_i32_e64 s1, 32, v14
	v_or_b32_e32 v1, 4, v8
	v_cmp_gt_u32_e64 s2, s10, v0
	v_dual_add_nc_u32 v24, s20, v22 :: v_dual_bitop2_b32 v0, 6, v8 bitop3:0x54
	s_delay_alu instid0(VALU_DEP_4) | instskip(NEXT) | instid1(VALU_DEP_4)
	v_cndmask_b32_e64 v2, v2, v14, s1
	v_cmp_gt_u32_e64 s3, s10, v1
	v_dual_mov_b32 v25, v11 :: v_dual_bitop2_b32 v1, 8, v8 bitop3:0x54
	v_lshl_add_u64 v[14:15], v[10:11], 4, s[6:7]
	s_cvt_f32_u32 s7, s24
	v_dual_mov_b32 v29, v11 :: v_dual_add_nc_u32 v26, s20, v24
	s_delay_alu instid0(VALU_DEP_3) | instskip(NEXT) | instid1(SALU_CYCLE_1)
	v_cmp_gt_u32_e64 s5, s10, v1
	v_rcp_iflag_f32_e32 v1, s7
	v_cmp_gt_u32_e64 s1, s10, v8
	v_cmp_gt_u32_e64 s4, s10, v0
	v_dual_mov_b32 v27, v11 :: v_dual_bitop2_b32 v0, 10, v8 bitop3:0x54
	v_add_nc_u32_e32 v28, s20, v26
	s_and_b32 s25, s1, vcc_lo
	s_delay_alu instid0(TRANS32_DEP_1)
	v_readfirstlane_b32 s26, v1
	v_dual_lshlrev_b32 v55, 2, v3 :: v_dual_lshlrev_b32 v56, 2, v2
	v_cmp_gt_u32_e64 s6, s10, v0
	v_or_b32_e32 v0, 12, v8
	s_mul_f32 s1, s26, 0x4f7ffffe
	v_dual_mov_b32 v31, v11 :: v_dual_bitop2_b32 v2, 14, v8 bitop3:0x54
	v_dual_mov_b32 v33, v11 :: v_dual_add_nc_u32 v30, s20, v28
	s_delay_alu instid0(SALU_CYCLE_1) | instskip(SKIP_1) | instid1(VALU_DEP_3)
	s_cvt_u32_f32 s1, s1
	v_cmp_gt_u32_e64 s7, s10, v0
	v_cmp_gt_u32_e64 s8, s10, v2
	s_delay_alu instid0(VALU_DEP_3)
	v_dual_mov_b32 v65, 1 :: v_dual_add_nc_u32 v32, s20, v30
	s_sub_co_i32 s20, 0, s24
	v_mov_b64_e32 v[0:1], s[28:29]
	v_mov_b64_e32 v[2:3], s[30:31]
	s_mul_i32 s20, s20, s1
	v_or_b32_e32 v60, 0x60, v50
	v_or_b32_e32 v61, 0x80, v50
	v_or_b32_e32 v62, 0xa0, v50
	v_or_b32_e32 v63, 0xc0, v50
	v_or_b32_e32 v64, 0xe0, v50
	v_lshlrev_b32_e32 v34, 4, v8
	s_mul_hi_u32 s20, s1, s20
	s_and_b32 s2, vcc_lo, s2
	s_and_b32 s3, vcc_lo, s3
	;; [unrolled: 1-line block ×7, first 2 shown]
	s_ashr_i32 s26, s10, 31
	s_add_co_i32 s20, s1, s20
	s_mov_b32 s27, s21
	s_branch .LBB157_10
.LBB157_8:                              ;   in Loop: Header=BB157_10 Depth=1
	s_wait_xcnt 0x0
	s_or_b32 exec_lo, exec_lo, s28
	v_mov_b64_e32 v[38:39], 1
.LBB157_9:                              ;   in Loop: Header=BB157_10 Depth=1
	s_or_b32 exec_lo, exec_lo, s1
	ds_bpermute_b32 v10, v53, v66
	v_add_nc_u64_e32 v[6:7], v[38:39], v[6:7]
	s_wait_storecnt_dscnt 0x0
	v_min_i32_e32 v10, v10, v66
	ds_bpermute_b32 v35, v54, v10
	s_wait_dscnt 0x0
	v_min_i32_e32 v10, v35, v10
	ds_bpermute_b32 v35, v55, v10
	s_wait_dscnt 0x0
	;; [unrolled: 3-line block ×5, first 2 shown]
	v_cmp_le_i32_e32 vcc_lo, s9, v36
	v_ashrrev_i32_e32 v37, 31, v36
	s_or_b32 s27, vcc_lo, s27
	s_delay_alu instid0(SALU_CYCLE_1)
	s_and_not1_b32 exec_lo, exec_lo, s27
	s_cbranch_execz .LBB157_56
.LBB157_10:                             ; =>This Loop Header: Depth=1
                                        ;     Child Loop BB157_13 Depth 2
	v_add_nc_u64_e32 v[20:21], v[20:21], v[8:9]
	v_mov_b64_e32 v[42:43], v[4:5]
	v_mov_b32_e32 v66, s9
	s_mov_b32 s28, exec_lo
	ds_store_b8 v48, v11 offset:32768
	ds_store_b128 v50, v[0:3]
	ds_store_b128 v50, v[0:3] offset:32
	ds_store_b128 v50, v[0:3] offset:64
	;; [unrolled: 1-line block ×7, first 2 shown]
	s_wait_dscnt 0x0
	v_cmpx_lt_i64_e64 v[20:21], v[4:5]
	s_cbranch_execz .LBB157_18
; %bb.11:                               ;   in Loop: Header=BB157_10 Depth=1
	v_mov_b64_e32 v[42:43], v[4:5]
	v_lshl_add_u64 v[38:39], v[20:21], 4, s[16:17]
	v_lshl_add_u64 v[40:41], v[20:21], 2, s[18:19]
	v_mov_b32_e32 v66, s9
	s_mov_b32 s29, 0
	s_branch .LBB157_13
.LBB157_12:                             ;   in Loop: Header=BB157_13 Depth=2
	s_wait_xcnt 0x0
	s_or_b32 exec_lo, exec_lo, s1
	v_add_nc_u64_e32 v[20:21], 2, v[20:21]
	s_xor_b32 s30, vcc_lo, -1
	v_add_nc_u64_e32 v[38:39], 32, v[38:39]
	v_add_nc_u64_e32 v[40:41], 8, v[40:41]
	s_delay_alu instid0(VALU_DEP_3) | instskip(SKIP_1) | instid1(SALU_CYCLE_1)
	v_cmp_ge_i64_e64 s1, v[20:21], v[4:5]
	s_or_b32 s1, s30, s1
	s_and_b32 s1, exec_lo, s1
	s_delay_alu instid0(SALU_CYCLE_1) | instskip(NEXT) | instid1(SALU_CYCLE_1)
	s_or_b32 s29, s1, s29
	s_and_not1_b32 exec_lo, exec_lo, s29
	s_cbranch_execz .LBB157_17
.LBB157_13:                             ;   Parent Loop BB157_10 Depth=1
                                        ; =>  This Inner Loop Header: Depth=2
	global_load_b32 v10, v[40:41], off
	s_wait_loadcnt 0x0
	v_subrev_nc_u32_e32 v35, s11, v10
	s_delay_alu instid0(VALU_DEP_1) | instskip(NEXT) | instid1(VALU_DEP_1)
	v_sub_nc_u32_e32 v10, 0, v35
	v_max_i32_e32 v10, v35, v10
	s_delay_alu instid0(VALU_DEP_1) | instskip(NEXT) | instid1(VALU_DEP_1)
	v_mul_u64_e32 v[44:45], s[20:21], v[10:11]
	v_mul_lo_u32 v44, v45, s24
	s_delay_alu instid0(VALU_DEP_1) | instskip(NEXT) | instid1(VALU_DEP_1)
	v_dual_sub_nc_u32 v10, v10, v44 :: v_dual_add_nc_u32 v44, 1, v45
	v_cmp_le_u32_e32 vcc_lo, s24, v10
	s_delay_alu instid0(VALU_DEP_2) | instskip(SKIP_1) | instid1(VALU_DEP_1)
	v_dual_cndmask_b32 v44, v45, v44 :: v_dual_ashrrev_i32 v45, 31, v35
	v_subrev_nc_u32_e32 v46, s24, v10
	v_dual_cndmask_b32 v10, v10, v46, vcc_lo :: v_dual_add_nc_u32 v46, 1, v44
	s_delay_alu instid0(VALU_DEP_1) | instskip(NEXT) | instid1(VALU_DEP_2)
	v_cmp_le_u32_e32 vcc_lo, s24, v10
	v_dual_cndmask_b32 v10, v44, v46, vcc_lo :: v_dual_bitop2_b32 v45, s26, v45 bitop3:0x14
	v_mov_b64_e32 v[46:47], v[42:43]
	s_delay_alu instid0(VALU_DEP_2) | instskip(NEXT) | instid1(VALU_DEP_1)
	v_xor_b32_e32 v10, v10, v45
	v_sub_nc_u32_e32 v44, v10, v45
	s_delay_alu instid0(VALU_DEP_1) | instskip(NEXT) | instid1(VALU_DEP_1)
	v_ashrrev_i32_e32 v45, 31, v44
	v_cmp_ne_u64_e64 s1, v[36:37], v[44:45]
	v_cmp_eq_u64_e32 vcc_lo, v[36:37], v[44:45]
	s_wait_xcnt 0x0
	s_and_saveexec_b32 s30, s1
	s_delay_alu instid0(SALU_CYCLE_1)
	s_xor_b32 s1, exec_lo, s30
; %bb.14:                               ;   in Loop: Header=BB157_13 Depth=2
	v_min_i32_e32 v66, v44, v66
                                        ; implicit-def: $vgpr44
                                        ; implicit-def: $vgpr35
                                        ; implicit-def: $vgpr46_vgpr47
; %bb.15:                               ;   in Loop: Header=BB157_13 Depth=2
	s_or_saveexec_b32 s1, s1
	v_mov_b64_e32 v[42:43], v[20:21]
	s_xor_b32 exec_lo, exec_lo, s1
	s_cbranch_execz .LBB157_12
; %bb.16:                               ;   in Loop: Header=BB157_13 Depth=2
	global_load_b128 v[68:71], v[38:39], off
	v_mul_lo_u32 v10, v44, s10
	v_mov_b64_e32 v[42:43], v[46:47]
	s_delay_alu instid0(VALU_DEP_2) | instskip(NEXT) | instid1(VALU_DEP_1)
	v_sub_nc_u32_e32 v10, v35, v10
	v_lshl_add_u32 v10, v10, 4, v49
	ds_store_b8 v48, v65 offset:32768
	s_wait_loadcnt 0x0
	ds_store_2addr_b64 v10, v[68:69], v[70:71] offset1:1
	s_branch .LBB157_12
.LBB157_17:                             ;   in Loop: Header=BB157_10 Depth=1
	s_or_b32 exec_lo, exec_lo, s29
.LBB157_18:                             ;   in Loop: Header=BB157_10 Depth=1
	s_delay_alu instid0(SALU_CYCLE_1)
	s_or_b32 exec_lo, exec_lo, s28
	ds_bpermute_b32 v20, v51, v42
	ds_bpermute_b32 v21, v51, v43
	s_wait_dscnt 0x0
	ds_load_u8 v10, v48 offset:32768
	v_mov_b64_e32 v[38:39], 0
	s_mov_b32 s1, exec_lo
	v_min_i64 v[20:21], v[20:21], v[42:43]
	s_wait_dscnt 0x0
	v_and_b32_e32 v10, 1, v10
	ds_bpermute_b32 v20, v52, v20
	ds_bpermute_b32 v21, v52, v21
	v_cmpx_eq_u32_e32 1, v10
	s_cbranch_execz .LBB157_9
; %bb.19:                               ;   in Loop: Header=BB157_10 Depth=1
	v_mul_u64_e32 v[38:39], s[22:23], v[6:7]
	v_add_nc_u32_e32 v10, s12, v36
	s_delay_alu instid0(VALU_DEP_2) | instskip(NEXT) | instid1(VALU_DEP_1)
	v_lshlrev_b64_e32 v[40:41], 4, v[38:39]
	v_add_nc_u64_e32 v[38:39], v[12:13], v[40:41]
	v_add_nc_u64_e32 v[36:37], v[14:15], v[40:41]
	v_lshl_add_u64 v[40:41], v[6:7], 2, s[14:15]
	global_store_b32 v[40:41], v10, off
	s_wait_xcnt 0x0
	s_and_saveexec_b32 s28, s25
	s_cbranch_execz .LBB157_21
; %bb.20:                               ;   in Loop: Header=BB157_10 Depth=1
	ds_load_2addr_b64 v[40:43], v50 offset1:1
	v_lshl_add_u64 v[46:47], v[16:17], 4, v[38:39]
	v_mov_b32_e32 v35, v11
	s_delay_alu instid0(VALU_DEP_1) | instskip(NEXT) | instid1(VALU_DEP_1)
	v_add_nc_u64_e32 v[44:45], v[36:37], v[34:35]
	v_dual_cndmask_b32 v45, v47, v45, s0 :: v_dual_cndmask_b32 v44, v46, v44, s0
	s_wait_dscnt 0x0
	global_store_b128 v[44:45], v[40:43], off
.LBB157_21:                             ;   in Loop: Header=BB157_10 Depth=1
	s_wait_xcnt 0x0
	s_or_b32 exec_lo, exec_lo, s28
	s_and_saveexec_b32 s28, s2
	s_cbranch_execz .LBB157_26
; %bb.22:                               ;   in Loop: Header=BB157_10 Depth=1
	s_and_not1_b32 vcc_lo, exec_lo, s13
	s_mov_b32 s29, -1
	s_cbranch_vccnz .LBB157_24
; %bb.23:                               ;   in Loop: Header=BB157_10 Depth=1
	ds_load_2addr_b64 v[40:43], v58 offset1:1
	v_lshl_add_u64 v[44:45], v[18:19], 4, v[38:39]
	s_mov_b32 s29, 0
	s_wait_dscnt 0x0
	global_store_b128 v[44:45], v[40:43], off
.LBB157_24:                             ;   in Loop: Header=BB157_10 Depth=1
	s_and_not1_b32 vcc_lo, exec_lo, s29
	s_cbranch_vccnz .LBB157_26
; %bb.25:                               ;   in Loop: Header=BB157_10 Depth=1
	s_wait_xcnt 0x0
	ds_load_2addr_b64 v[40:43], v58 offset1:1
	v_mov_b32_e32 v35, v11
	s_delay_alu instid0(VALU_DEP_1)
	v_add_nc_u64_e32 v[44:45], v[36:37], v[34:35]
	s_wait_dscnt 0x0
	global_store_b128 v[44:45], v[40:43], off offset:32
.LBB157_26:                             ;   in Loop: Header=BB157_10 Depth=1
	s_wait_xcnt 0x0
	s_or_b32 exec_lo, exec_lo, s28
	s_and_saveexec_b32 s28, s3
	s_cbranch_execz .LBB157_31
; %bb.27:                               ;   in Loop: Header=BB157_10 Depth=1
	s_and_not1_b32 vcc_lo, exec_lo, s13
	s_mov_b32 s29, -1
	s_cbranch_vccnz .LBB157_29
; %bb.28:                               ;   in Loop: Header=BB157_10 Depth=1
	ds_load_2addr_b64 v[40:43], v59 offset1:1
	v_lshl_add_u64 v[44:45], v[22:23], 4, v[38:39]
	s_mov_b32 s29, 0
	s_wait_dscnt 0x0
	global_store_b128 v[44:45], v[40:43], off
.LBB157_29:                             ;   in Loop: Header=BB157_10 Depth=1
	s_and_not1_b32 vcc_lo, exec_lo, s29
	s_cbranch_vccnz .LBB157_31
; %bb.30:                               ;   in Loop: Header=BB157_10 Depth=1
	s_wait_xcnt 0x0
	ds_load_2addr_b64 v[40:43], v59 offset1:1
	v_mov_b32_e32 v35, v11
	s_delay_alu instid0(VALU_DEP_1)
	v_add_nc_u64_e32 v[44:45], v[36:37], v[34:35]
	s_wait_dscnt 0x0
	global_store_b128 v[44:45], v[40:43], off offset:64
.LBB157_31:                             ;   in Loop: Header=BB157_10 Depth=1
	;; [unrolled: 26-line block ×6, first 2 shown]
	s_wait_xcnt 0x0
	s_or_b32 exec_lo, exec_lo, s28
	s_and_saveexec_b32 s28, s8
	s_cbranch_execz .LBB157_8
; %bb.52:                               ;   in Loop: Header=BB157_10 Depth=1
	s_and_not1_b32 vcc_lo, exec_lo, s13
	s_mov_b32 s29, -1
	s_cbranch_vccnz .LBB157_54
; %bb.53:                               ;   in Loop: Header=BB157_10 Depth=1
	ds_load_2addr_b64 v[40:43], v64 offset1:1
	v_lshl_add_u64 v[38:39], v[32:33], 4, v[38:39]
	s_mov_b32 s29, 0
	s_wait_dscnt 0x0
	global_store_b128 v[38:39], v[40:43], off
.LBB157_54:                             ;   in Loop: Header=BB157_10 Depth=1
	s_and_not1_b32 vcc_lo, exec_lo, s29
	s_cbranch_vccnz .LBB157_8
; %bb.55:                               ;   in Loop: Header=BB157_10 Depth=1
	s_wait_xcnt 0x0
	ds_load_2addr_b64 v[38:41], v64 offset1:1
	v_mov_b32_e32 v35, v11
	s_delay_alu instid0(VALU_DEP_1)
	v_add_nc_u64_e32 v[36:37], v[36:37], v[34:35]
	s_wait_dscnt 0x0
	global_store_b128 v[36:37], v[38:41], off offset:224
	s_branch .LBB157_8
.LBB157_56:
	s_endpgm
	.section	.rodata,"a",@progbits
	.p2align	6, 0x0
	.amdhsa_kernel _ZN9rocsparseL42csr2bsr_wavefront_per_row_multipass_kernelILj256ELj32ELj16E21rocsparse_complex_numIdEliEEv20rocsparse_direction_T4_S4_S4_S4_S4_21rocsparse_index_base_PKT2_PKT3_PKS4_S5_PS6_PS9_PS4_
		.amdhsa_group_segment_fixed_size 32776
		.amdhsa_private_segment_fixed_size 0
		.amdhsa_kernarg_size 88
		.amdhsa_user_sgpr_count 2
		.amdhsa_user_sgpr_dispatch_ptr 0
		.amdhsa_user_sgpr_queue_ptr 0
		.amdhsa_user_sgpr_kernarg_segment_ptr 1
		.amdhsa_user_sgpr_dispatch_id 0
		.amdhsa_user_sgpr_kernarg_preload_length 0
		.amdhsa_user_sgpr_kernarg_preload_offset 0
		.amdhsa_user_sgpr_private_segment_size 0
		.amdhsa_wavefront_size32 1
		.amdhsa_uses_dynamic_stack 0
		.amdhsa_enable_private_segment 0
		.amdhsa_system_sgpr_workgroup_id_x 1
		.amdhsa_system_sgpr_workgroup_id_y 0
		.amdhsa_system_sgpr_workgroup_id_z 0
		.amdhsa_system_sgpr_workgroup_info 0
		.amdhsa_system_vgpr_workitem_id 0
		.amdhsa_next_free_vgpr 72
		.amdhsa_next_free_sgpr 32
		.amdhsa_named_barrier_count 0
		.amdhsa_reserve_vcc 1
		.amdhsa_float_round_mode_32 0
		.amdhsa_float_round_mode_16_64 0
		.amdhsa_float_denorm_mode_32 3
		.amdhsa_float_denorm_mode_16_64 3
		.amdhsa_fp16_overflow 0
		.amdhsa_memory_ordered 1
		.amdhsa_forward_progress 1
		.amdhsa_inst_pref_size 20
		.amdhsa_round_robin_scheduling 0
		.amdhsa_exception_fp_ieee_invalid_op 0
		.amdhsa_exception_fp_denorm_src 0
		.amdhsa_exception_fp_ieee_div_zero 0
		.amdhsa_exception_fp_ieee_overflow 0
		.amdhsa_exception_fp_ieee_underflow 0
		.amdhsa_exception_fp_ieee_inexact 0
		.amdhsa_exception_int_div_zero 0
	.end_amdhsa_kernel
	.section	.text._ZN9rocsparseL42csr2bsr_wavefront_per_row_multipass_kernelILj256ELj32ELj16E21rocsparse_complex_numIdEliEEv20rocsparse_direction_T4_S4_S4_S4_S4_21rocsparse_index_base_PKT2_PKT3_PKS4_S5_PS6_PS9_PS4_,"axG",@progbits,_ZN9rocsparseL42csr2bsr_wavefront_per_row_multipass_kernelILj256ELj32ELj16E21rocsparse_complex_numIdEliEEv20rocsparse_direction_T4_S4_S4_S4_S4_21rocsparse_index_base_PKT2_PKT3_PKS4_S5_PS6_PS9_PS4_,comdat
.Lfunc_end157:
	.size	_ZN9rocsparseL42csr2bsr_wavefront_per_row_multipass_kernelILj256ELj32ELj16E21rocsparse_complex_numIdEliEEv20rocsparse_direction_T4_S4_S4_S4_S4_21rocsparse_index_base_PKT2_PKT3_PKS4_S5_PS6_PS9_PS4_, .Lfunc_end157-_ZN9rocsparseL42csr2bsr_wavefront_per_row_multipass_kernelILj256ELj32ELj16E21rocsparse_complex_numIdEliEEv20rocsparse_direction_T4_S4_S4_S4_S4_21rocsparse_index_base_PKT2_PKT3_PKS4_S5_PS6_PS9_PS4_
                                        ; -- End function
	.set _ZN9rocsparseL42csr2bsr_wavefront_per_row_multipass_kernelILj256ELj32ELj16E21rocsparse_complex_numIdEliEEv20rocsparse_direction_T4_S4_S4_S4_S4_21rocsparse_index_base_PKT2_PKT3_PKS4_S5_PS6_PS9_PS4_.num_vgpr, 72
	.set _ZN9rocsparseL42csr2bsr_wavefront_per_row_multipass_kernelILj256ELj32ELj16E21rocsparse_complex_numIdEliEEv20rocsparse_direction_T4_S4_S4_S4_S4_21rocsparse_index_base_PKT2_PKT3_PKS4_S5_PS6_PS9_PS4_.num_agpr, 0
	.set _ZN9rocsparseL42csr2bsr_wavefront_per_row_multipass_kernelILj256ELj32ELj16E21rocsparse_complex_numIdEliEEv20rocsparse_direction_T4_S4_S4_S4_S4_21rocsparse_index_base_PKT2_PKT3_PKS4_S5_PS6_PS9_PS4_.numbered_sgpr, 32
	.set _ZN9rocsparseL42csr2bsr_wavefront_per_row_multipass_kernelILj256ELj32ELj16E21rocsparse_complex_numIdEliEEv20rocsparse_direction_T4_S4_S4_S4_S4_21rocsparse_index_base_PKT2_PKT3_PKS4_S5_PS6_PS9_PS4_.num_named_barrier, 0
	.set _ZN9rocsparseL42csr2bsr_wavefront_per_row_multipass_kernelILj256ELj32ELj16E21rocsparse_complex_numIdEliEEv20rocsparse_direction_T4_S4_S4_S4_S4_21rocsparse_index_base_PKT2_PKT3_PKS4_S5_PS6_PS9_PS4_.private_seg_size, 0
	.set _ZN9rocsparseL42csr2bsr_wavefront_per_row_multipass_kernelILj256ELj32ELj16E21rocsparse_complex_numIdEliEEv20rocsparse_direction_T4_S4_S4_S4_S4_21rocsparse_index_base_PKT2_PKT3_PKS4_S5_PS6_PS9_PS4_.uses_vcc, 1
	.set _ZN9rocsparseL42csr2bsr_wavefront_per_row_multipass_kernelILj256ELj32ELj16E21rocsparse_complex_numIdEliEEv20rocsparse_direction_T4_S4_S4_S4_S4_21rocsparse_index_base_PKT2_PKT3_PKS4_S5_PS6_PS9_PS4_.uses_flat_scratch, 0
	.set _ZN9rocsparseL42csr2bsr_wavefront_per_row_multipass_kernelILj256ELj32ELj16E21rocsparse_complex_numIdEliEEv20rocsparse_direction_T4_S4_S4_S4_S4_21rocsparse_index_base_PKT2_PKT3_PKS4_S5_PS6_PS9_PS4_.has_dyn_sized_stack, 0
	.set _ZN9rocsparseL42csr2bsr_wavefront_per_row_multipass_kernelILj256ELj32ELj16E21rocsparse_complex_numIdEliEEv20rocsparse_direction_T4_S4_S4_S4_S4_21rocsparse_index_base_PKT2_PKT3_PKS4_S5_PS6_PS9_PS4_.has_recursion, 0
	.set _ZN9rocsparseL42csr2bsr_wavefront_per_row_multipass_kernelILj256ELj32ELj16E21rocsparse_complex_numIdEliEEv20rocsparse_direction_T4_S4_S4_S4_S4_21rocsparse_index_base_PKT2_PKT3_PKS4_S5_PS6_PS9_PS4_.has_indirect_call, 0
	.section	.AMDGPU.csdata,"",@progbits
; Kernel info:
; codeLenInByte = 2556
; TotalNumSgprs: 34
; NumVgprs: 72
; ScratchSize: 0
; MemoryBound: 0
; FloatMode: 240
; IeeeMode: 1
; LDSByteSize: 32776 bytes/workgroup (compile time only)
; SGPRBlocks: 0
; VGPRBlocks: 4
; NumSGPRsForWavesPerEU: 34
; NumVGPRsForWavesPerEU: 72
; NamedBarCnt: 0
; Occupancy: 12
; WaveLimiterHint : 0
; COMPUTE_PGM_RSRC2:SCRATCH_EN: 0
; COMPUTE_PGM_RSRC2:USER_SGPR: 2
; COMPUTE_PGM_RSRC2:TRAP_HANDLER: 0
; COMPUTE_PGM_RSRC2:TGID_X_EN: 1
; COMPUTE_PGM_RSRC2:TGID_Y_EN: 0
; COMPUTE_PGM_RSRC2:TGID_Z_EN: 0
; COMPUTE_PGM_RSRC2:TIDIG_COMP_CNT: 0
	.section	.text._ZN9rocsparseL38csr2bsr_block_per_row_multipass_kernelILj256ELj32E21rocsparse_complex_numIdEliEEv20rocsparse_direction_T3_S4_S4_S4_S4_21rocsparse_index_base_PKT1_PKT2_PKS4_S5_PS6_PS9_PS4_,"axG",@progbits,_ZN9rocsparseL38csr2bsr_block_per_row_multipass_kernelILj256ELj32E21rocsparse_complex_numIdEliEEv20rocsparse_direction_T3_S4_S4_S4_S4_21rocsparse_index_base_PKT1_PKT2_PKS4_S5_PS6_PS9_PS4_,comdat
	.globl	_ZN9rocsparseL38csr2bsr_block_per_row_multipass_kernelILj256ELj32E21rocsparse_complex_numIdEliEEv20rocsparse_direction_T3_S4_S4_S4_S4_21rocsparse_index_base_PKT1_PKT2_PKS4_S5_PS6_PS9_PS4_ ; -- Begin function _ZN9rocsparseL38csr2bsr_block_per_row_multipass_kernelILj256ELj32E21rocsparse_complex_numIdEliEEv20rocsparse_direction_T3_S4_S4_S4_S4_21rocsparse_index_base_PKT1_PKT2_PKS4_S5_PS6_PS9_PS4_
	.p2align	8
	.type	_ZN9rocsparseL38csr2bsr_block_per_row_multipass_kernelILj256ELj32E21rocsparse_complex_numIdEliEEv20rocsparse_direction_T3_S4_S4_S4_S4_21rocsparse_index_base_PKT1_PKT2_PKS4_S5_PS6_PS9_PS4_,@function
_ZN9rocsparseL38csr2bsr_block_per_row_multipass_kernelILj256ELj32E21rocsparse_complex_numIdEliEEv20rocsparse_direction_T3_S4_S4_S4_S4_21rocsparse_index_base_PKT1_PKT2_PKS4_S5_PS6_PS9_PS4_: ; @_ZN9rocsparseL38csr2bsr_block_per_row_multipass_kernelILj256ELj32E21rocsparse_complex_numIdEliEEv20rocsparse_direction_T3_S4_S4_S4_S4_21rocsparse_index_base_PKT1_PKT2_PKS4_S5_PS6_PS9_PS4_
; %bb.0:
	s_clause 0x1
	s_load_b96 s[12:14], s[0:1], 0x10
	s_load_b64 s[4:5], s[0:1], 0x0
	s_bfe_u32 s2, ttmp6, 0x4000c
	s_and_b32 s3, ttmp6, 15
	s_add_co_i32 s2, s2, 1
	s_getreg_b32 s6, hwreg(HW_REG_IB_STS2, 6, 4)
	s_mul_i32 s2, ttmp9, s2
	v_lshrrev_b32_e32 v1, 3, v0
	s_add_co_i32 s3, s3, s2
	s_cmp_eq_u32 s6, 0
	s_load_b64 s[8:9], s[0:1], 0x28
	s_cselect_b32 s6, ttmp9, s3
	v_mov_b64_e32 v[4:5], 0
	v_mov_b64_e32 v[20:21], 0
	s_mov_b32 s3, 0
	s_wait_kmcnt 0x0
	v_mad_u32 v2, s13, s6, v1
	v_cmp_gt_i32_e32 vcc_lo, s13, v1
	s_delay_alu instid0(VALU_DEP_2) | instskip(SKIP_1) | instid1(SALU_CYCLE_1)
	v_cmp_gt_i32_e64 s2, s5, v2
	s_and_b32 s5, vcc_lo, s2
	s_and_saveexec_b32 s7, s5
	s_cbranch_execnz .LBB158_3
; %bb.1:
	s_or_b32 exec_lo, exec_lo, s7
	s_and_saveexec_b32 s2, s5
	s_cbranch_execnz .LBB158_4
.LBB158_2:
	s_or_b32 exec_lo, exec_lo, s2
	s_cmp_lt_i32 s12, 1
	s_cbranch_scc0 .LBB158_5
	s_branch .LBB158_41
.LBB158_3:
	global_load_b64 v[6:7], v2, s[8:9] scale_offset
	s_mov_b32 s2, s14
	s_wait_loadcnt 0x0
	v_sub_nc_u64_e64 v[20:21], v[6:7], s[2:3]
	s_or_b32 exec_lo, exec_lo, s7
	s_and_saveexec_b32 s2, s5
	s_cbranch_execz .LBB158_2
.LBB158_4:
	global_load_b64 v[2:3], v2, s[8:9] offset:8 scale_offset
	s_wait_xcnt 0x0
	s_mov_b32 s9, 0
	s_mov_b32 s8, s14
	s_wait_loadcnt 0x0
	v_sub_nc_u64_e64 v[4:5], v[2:3], s[8:9]
	s_or_b32 exec_lo, exec_lo, s2
	s_cmp_lt_i32 s12, 1
	s_cbranch_scc1 .LBB158_41
.LBB158_5:
	s_clause 0x3
	s_load_b128 s[8:11], s[0:1], 0x40
	s_load_b64 s[20:21], s[0:1], 0x50
	s_load_b64 s[22:23], s[0:1], 0x20
	s_load_b96 s[16:18], s[0:1], 0x30
	v_dual_mov_b32 v9, 0 :: v_dual_lshlrev_b32 v8, 4, v1
	v_mbcnt_lo_u32_b32 v12, -1, 0
	s_ashr_i32 s7, s6, 31
	v_dual_lshlrev_b32 v36, 9, v1 :: v_dual_bitop2_b32 v6, 7, v0 bitop3:0x40
	s_lshl_b64 s[6:7], s[6:7], 3
	s_delay_alu instid0(VALU_DEP_2)
	v_dual_mov_b32 v7, v9 :: v_dual_bitop2_b32 v13, 4, v12 bitop3:0x14
	s_cmp_eq_u32 s4, 0
	v_dual_mov_b32 v3, v9 :: v_dual_bitop2_b32 v14, 2, v12 bitop3:0x14
	s_mov_b32 s25, 0
	s_cselect_b32 s3, -1, 0
	s_abs_i32 s15, s13
	v_dual_lshlrev_b32 v37, 2, v0 :: v_dual_lshlrev_b32 v2, 4, v6
	s_wait_kmcnt 0x0
	s_add_nc_u64 s[4:5], s[10:11], s[6:7]
	v_add_nc_u64_e32 v[10:11], s[8:9], v[8:9]
	s_load_b64 s[6:7], s[4:5], 0x0
	s_wait_xcnt 0x0
	v_cmp_gt_i32_e64 s4, 32, v13
	v_xor_b32_e32 v15, 1, v12
	v_mul_lo_u32 v8, s13, v1
	s_mov_b32 s24, s18
	v_cmp_gt_u32_e64 s0, 0x80, v0
	v_cndmask_b32_e64 v1, v12, v13, s4
	v_cmp_gt_i32_e64 s4, 32, v14
	v_cmp_gt_u32_e64 s1, 64, v0
	v_cmp_gt_u32_e64 s2, 32, v0
	v_lshl_or_b32 v38, v12, 2, 28
	v_cmp_gt_u32_e64 s5, 8, v0
	v_cndmask_b32_e64 v13, v12, v14, s4
	v_cmp_gt_i32_e64 s4, 32, v15
	s_cvt_f32_u32 s11, s15
	v_dual_lshlrev_b32 v40, 2, v1 :: v_dual_bitop2_b32 v39, v36, v2 bitop3:0x54
	v_dual_mov_b32 v17, v9 :: v_dual_bitop2_b32 v1, 16, v6 bitop3:0x54
	v_dual_cndmask_b32 v14, v12, v15, s4 :: v_dual_lshlrev_b32 v41, 2, v13
	v_lshl_add_u64 v[12:13], v[8:9], 4, s[8:9]
	s_wait_kmcnt 0x0
	s_sub_nc_u64 s[26:27], s[6:7], s[24:25]
	v_cmp_gt_u32_e64 s4, 16, v0
	v_cmp_gt_u32_e64 s6, 4, v0
	;; [unrolled: 1-line block ×3, first 2 shown]
	v_cmp_eq_u32_e64 s8, 0, v0
	v_dual_mov_b32 v15, v9 :: v_dual_bitop2_b32 v0, 8, v6 bitop3:0x54
	v_lshlrev_b32_e32 v42, 2, v14
	v_mul_lo_u32 v14, v6, s13
	s_mov_b32 s24, s13
	s_delay_alu instid0(VALU_DEP_3)
	v_cmp_gt_u32_e64 s10, s13, v0
	v_rcp_iflag_f32_e32 v0, s11
	v_cmp_gt_u32_e64 s9, s13, v6
	s_lshl_b32 s11, s13, 3
	s_mul_u64 s[28:29], s[24:25], s[24:25]
	v_add_nc_u64_e32 v[12:13], v[12:13], v[2:3]
	v_mov_b32_e32 v19, v9
	s_and_b32 s19, vcc_lo, s9
	v_readfirstlane_b32 s24, v0
	v_add_nc_u32_e32 v16, s11, v14
	v_or_b32_e32 v2, 24, v6
	v_cmp_gt_u32_e64 s9, s13, v1
	s_and_b32 s30, vcc_lo, s10
	s_mul_f32 s24, s24, 0x4f7ffffe
	v_add_nc_u32_e32 v18, s11, v16
	v_cmp_gt_u32_e64 s10, s13, v2
	s_and_b32 s31, vcc_lo, s9
	s_cvt_u32_f32 s9, s24
	s_mov_b32 s36, s25
	s_mov_b32 s37, s25
	;; [unrolled: 1-line block ×4, first 2 shown]
	s_and_b32 s33, vcc_lo, s10
	s_sub_co_i32 s10, 0, s15
	v_mov_b64_e32 v[0:1], s[36:37]
	v_mov_b64_e32 v[24:25], 0
	;; [unrolled: 1-line block ×3, first 2 shown]
	s_mul_i32 s10, s10, s9
	v_or_b32_e32 v43, 0x80, v39
	v_or_b32_e32 v44, 0x100, v39
	;; [unrolled: 1-line block ×3, first 2 shown]
	v_dual_mov_b32 v23, v9 :: v_dual_add_nc_u32 v22, s11, v18
	v_mov_b32_e32 v46, 1
	s_mul_hi_u32 s10, s9, s10
	s_ashr_i32 s34, s13, 31
	s_add_co_i32 s24, s9, s10
	s_branch .LBB158_7
.LBB158_6:                              ;   in Loop: Header=BB158_7 Depth=1
	s_or_b32 exec_lo, exec_lo, s9
	s_wait_dscnt 0x0
	s_barrier_signal -1
	s_barrier_wait -1
	ds_load_b32 v24, v9
	s_add_nc_u64 s[26:27], s[10:11], s[26:27]
	s_wait_dscnt 0x0
	s_barrier_signal -1
	s_barrier_wait -1
	v_cmp_gt_i32_e32 vcc_lo, s12, v24
	v_ashrrev_i32_e32 v25, 31, v24
	s_cbranch_vccz .LBB158_41
.LBB158_7:                              ; =>This Loop Header: Depth=1
                                        ;     Child Loop BB158_10 Depth 2
	v_add_nc_u64_e32 v[20:21], v[20:21], v[6:7]
	v_mov_b64_e32 v[30:31], v[4:5]
	v_mov_b32_e32 v47, s12
	s_mov_b32 s10, exec_lo
	ds_store_b8 v9, v9 offset:16384
	ds_store_b128 v39, v[0:3]
	ds_store_b128 v39, v[0:3] offset:128
	ds_store_b128 v39, v[0:3] offset:256
	;; [unrolled: 1-line block ×3, first 2 shown]
	s_wait_dscnt 0x0
	s_barrier_signal -1
	s_barrier_wait -1
	v_cmpx_lt_i64_e64 v[20:21], v[4:5]
	s_cbranch_execz .LBB158_15
; %bb.8:                                ;   in Loop: Header=BB158_7 Depth=1
	v_mov_b64_e32 v[30:31], v[4:5]
	v_lshl_add_u64 v[26:27], v[20:21], 4, s[22:23]
	v_lshl_add_u64 v[28:29], v[20:21], 2, s[16:17]
	v_mov_b32_e32 v47, s12
	s_mov_b32 s11, 0
	s_branch .LBB158_10
.LBB158_9:                              ;   in Loop: Header=BB158_10 Depth=2
	s_wait_xcnt 0x0
	s_or_b32 exec_lo, exec_lo, s9
	v_add_nc_u64_e32 v[20:21], 8, v[20:21]
	s_xor_b32 s35, vcc_lo, -1
	v_add_nc_u64_e32 v[26:27], 0x80, v[26:27]
	v_add_nc_u64_e32 v[28:29], 32, v[28:29]
	s_delay_alu instid0(VALU_DEP_3) | instskip(SKIP_1) | instid1(SALU_CYCLE_1)
	v_cmp_ge_i64_e64 s9, v[20:21], v[4:5]
	s_or_b32 s9, s35, s9
	s_and_b32 s9, exec_lo, s9
	s_delay_alu instid0(SALU_CYCLE_1) | instskip(NEXT) | instid1(SALU_CYCLE_1)
	s_or_b32 s11, s9, s11
	s_and_not1_b32 exec_lo, exec_lo, s11
	s_cbranch_execz .LBB158_14
.LBB158_10:                             ;   Parent Loop BB158_7 Depth=1
                                        ; =>  This Inner Loop Header: Depth=2
	global_load_b32 v8, v[28:29], off
	s_wait_loadcnt 0x0
	v_subrev_nc_u32_e32 v48, s14, v8
	s_delay_alu instid0(VALU_DEP_1) | instskip(NEXT) | instid1(VALU_DEP_1)
	v_sub_nc_u32_e32 v8, 0, v48
	v_max_i32_e32 v8, v48, v8
	s_delay_alu instid0(VALU_DEP_1) | instskip(NEXT) | instid1(VALU_DEP_1)
	v_mul_u64_e32 v[32:33], s[24:25], v[8:9]
	v_mul_lo_u32 v32, v33, s15
	s_delay_alu instid0(VALU_DEP_1) | instskip(NEXT) | instid1(VALU_DEP_1)
	v_dual_sub_nc_u32 v8, v8, v32 :: v_dual_add_nc_u32 v32, 1, v33
	v_cmp_le_u32_e32 vcc_lo, s15, v8
	s_delay_alu instid0(VALU_DEP_2) | instskip(SKIP_1) | instid1(VALU_DEP_1)
	v_cndmask_b32_e32 v32, v33, v32, vcc_lo
	v_subrev_nc_u32_e32 v34, s15, v8
	v_dual_cndmask_b32 v8, v8, v34 :: v_dual_ashrrev_i32 v33, 31, v48
	s_delay_alu instid0(VALU_DEP_1) | instskip(NEXT) | instid1(VALU_DEP_2)
	v_dual_add_nc_u32 v34, 1, v32 :: v_dual_bitop2_b32 v33, s34, v33 bitop3:0x14
	v_cmp_le_u32_e32 vcc_lo, s15, v8
	s_delay_alu instid0(VALU_DEP_2) | instskip(SKIP_1) | instid1(VALU_DEP_2)
	v_cndmask_b32_e32 v8, v32, v34, vcc_lo
	v_mov_b64_e32 v[34:35], v[30:31]
	v_xor_b32_e32 v8, v8, v33
	s_delay_alu instid0(VALU_DEP_1) | instskip(NEXT) | instid1(VALU_DEP_1)
	v_sub_nc_u32_e32 v32, v8, v33
	v_ashrrev_i32_e32 v33, 31, v32
	s_delay_alu instid0(VALU_DEP_1) | instskip(SKIP_3) | instid1(SALU_CYCLE_1)
	v_cmp_ne_u64_e64 s9, v[24:25], v[32:33]
	v_cmp_eq_u64_e32 vcc_lo, v[24:25], v[32:33]
	s_wait_xcnt 0x0
	s_and_saveexec_b32 s35, s9
	s_xor_b32 s9, exec_lo, s35
; %bb.11:                               ;   in Loop: Header=BB158_10 Depth=2
	v_min_i32_e32 v47, v32, v47
                                        ; implicit-def: $vgpr32
                                        ; implicit-def: $vgpr48
                                        ; implicit-def: $vgpr34_vgpr35
; %bb.12:                               ;   in Loop: Header=BB158_10 Depth=2
	s_or_saveexec_b32 s9, s9
	v_mov_b64_e32 v[30:31], v[20:21]
	s_xor_b32 exec_lo, exec_lo, s9
	s_cbranch_execz .LBB158_9
; %bb.13:                               ;   in Loop: Header=BB158_10 Depth=2
	global_load_b128 v[50:53], v[26:27], off
	v_mul_lo_u32 v8, v32, s13
	v_mov_b64_e32 v[30:31], v[34:35]
	s_delay_alu instid0(VALU_DEP_2) | instskip(NEXT) | instid1(VALU_DEP_1)
	v_sub_nc_u32_e32 v8, v48, v8
	v_lshl_add_u32 v8, v8, 4, v36
	ds_store_b8 v9, v46 offset:16384
	s_wait_loadcnt 0x0
	ds_store_2addr_b64 v8, v[50:51], v[52:53] offset1:1
	s_branch .LBB158_9
.LBB158_14:                             ;   in Loop: Header=BB158_7 Depth=1
	s_or_b32 exec_lo, exec_lo, s11
.LBB158_15:                             ;   in Loop: Header=BB158_7 Depth=1
	s_delay_alu instid0(SALU_CYCLE_1)
	s_or_b32 exec_lo, exec_lo, s10
	ds_bpermute_b32 v20, v40, v30
	ds_bpermute_b32 v21, v40, v31
	s_wait_dscnt 0x0
	s_barrier_signal -1
	s_barrier_wait -1
	ds_load_u8 v8, v9 offset:16384
	s_mov_b64 s[10:11], 0
	v_min_i64 v[20:21], v[20:21], v[30:31]
	s_wait_dscnt 0x0
	v_and_b32_e32 v8, 1, v8
	s_delay_alu instid0(VALU_DEP_1)
	v_cmp_eq_u32_e32 vcc_lo, 0, v8
	s_and_b32 vcc_lo, exec_lo, vcc_lo
	ds_bpermute_b32 v26, v41, v20
	ds_bpermute_b32 v27, v41, v21
	s_wait_dscnt 0x0
	v_min_i64 v[20:21], v[26:27], v[20:21]
	ds_bpermute_b32 v26, v42, v20
	ds_bpermute_b32 v27, v42, v21
	s_wait_dscnt 0x0
	v_min_i64 v[20:21], v[26:27], v[20:21]
	ds_bpermute_b32 v20, v38, v20
	ds_bpermute_b32 v21, v38, v21
	s_cbranch_vccnz .LBB158_22
; %bb.16:                               ;   in Loop: Header=BB158_7 Depth=1
	s_mul_u64 s[10:11], s[28:29], s[26:27]
	v_add_nc_u32_e32 v8, s18, v24
	s_lshl_b64 s[10:11], s[10:11], 4
	s_delay_alu instid0(SALU_CYCLE_1) | instskip(SKIP_2) | instid1(SALU_CYCLE_1)
	v_add_nc_u64_e32 v[26:27], s[10:11], v[10:11]
	v_add_nc_u64_e32 v[28:29], s[10:11], v[12:13]
	s_lshl_b64 s[10:11], s[26:27], 2
	s_add_nc_u64 s[10:11], s[20:21], s[10:11]
	global_store_b32 v9, v8, s[10:11]
	s_wait_xcnt 0x0
	s_and_saveexec_b32 s9, s19
	s_cbranch_execnz .LBB158_38
; %bb.17:                               ;   in Loop: Header=BB158_7 Depth=1
	s_or_b32 exec_lo, exec_lo, s9
	s_and_saveexec_b32 s9, s30
	s_cbranch_execnz .LBB158_39
.LBB158_18:                             ;   in Loop: Header=BB158_7 Depth=1
	s_or_b32 exec_lo, exec_lo, s9
	s_and_saveexec_b32 s9, s31
	s_cbranch_execnz .LBB158_40
.LBB158_19:                             ;   in Loop: Header=BB158_7 Depth=1
	s_or_b32 exec_lo, exec_lo, s9
	s_and_saveexec_b32 s9, s33
	s_cbranch_execz .LBB158_21
.LBB158_20:                             ;   in Loop: Header=BB158_7 Depth=1
	ds_load_2addr_b64 v[30:33], v45 offset1:1
	v_add_nc_u64_e32 v[24:25], 0x180, v[28:29]
	v_lshl_add_u64 v[26:27], v[22:23], 4, v[26:27]
	s_delay_alu instid0(VALU_DEP_1)
	v_dual_cndmask_b32 v25, v27, v25, s3 :: v_dual_cndmask_b32 v24, v26, v24, s3
	s_wait_dscnt 0x0
	global_store_b128 v[24:25], v[30:33], off
.LBB158_21:                             ;   in Loop: Header=BB158_7 Depth=1
	s_wait_xcnt 0x0
	s_or_b32 exec_lo, exec_lo, s9
	s_mov_b64 s[10:11], 1
.LBB158_22:                             ;   in Loop: Header=BB158_7 Depth=1
	s_wait_storecnt_dscnt 0x0
	s_barrier_signal -1
	s_barrier_wait -1
	ds_store_b32 v37, v47
	s_wait_dscnt 0x0
	s_barrier_signal -1
	s_barrier_wait -1
	s_and_saveexec_b32 s9, s0
	s_cbranch_execz .LBB158_24
; %bb.23:                               ;   in Loop: Header=BB158_7 Depth=1
	ds_load_2addr_stride64_b32 v[24:25], v37 offset1:2
	s_wait_dscnt 0x0
	v_min_i32_e32 v8, v25, v24
	ds_store_b32 v37, v8
.LBB158_24:                             ;   in Loop: Header=BB158_7 Depth=1
	s_or_b32 exec_lo, exec_lo, s9
	s_wait_dscnt 0x0
	s_barrier_signal -1
	s_barrier_wait -1
	s_and_saveexec_b32 s9, s1
	s_cbranch_execz .LBB158_26
; %bb.25:                               ;   in Loop: Header=BB158_7 Depth=1
	ds_load_2addr_stride64_b32 v[24:25], v37 offset1:1
	s_wait_dscnt 0x0
	v_min_i32_e32 v8, v25, v24
	ds_store_b32 v37, v8
.LBB158_26:                             ;   in Loop: Header=BB158_7 Depth=1
	s_or_b32 exec_lo, exec_lo, s9
	s_wait_dscnt 0x0
	s_barrier_signal -1
	s_barrier_wait -1
	s_and_saveexec_b32 s9, s2
	s_cbranch_execz .LBB158_28
; %bb.27:                               ;   in Loop: Header=BB158_7 Depth=1
	ds_load_2addr_b32 v[24:25], v37 offset1:32
	s_wait_dscnt 0x0
	v_min_i32_e32 v8, v25, v24
	ds_store_b32 v37, v8
.LBB158_28:                             ;   in Loop: Header=BB158_7 Depth=1
	s_or_b32 exec_lo, exec_lo, s9
	s_wait_dscnt 0x0
	s_barrier_signal -1
	s_barrier_wait -1
	s_and_saveexec_b32 s9, s4
	s_cbranch_execz .LBB158_30
; %bb.29:                               ;   in Loop: Header=BB158_7 Depth=1
	ds_load_2addr_b32 v[24:25], v37 offset1:16
	s_wait_dscnt 0x0
	v_min_i32_e32 v8, v25, v24
	ds_store_b32 v37, v8
.LBB158_30:                             ;   in Loop: Header=BB158_7 Depth=1
	;; [unrolled: 12-line block ×5, first 2 shown]
	s_or_b32 exec_lo, exec_lo, s9
	s_wait_dscnt 0x0
	s_barrier_signal -1
	s_barrier_wait -1
	s_and_saveexec_b32 s9, s8
	s_cbranch_execz .LBB158_6
; %bb.37:                               ;   in Loop: Header=BB158_7 Depth=1
	ds_load_b64 v[24:25], v9
	s_wait_dscnt 0x0
	v_min_i32_e32 v8, v25, v24
	ds_store_b32 v9, v8
	s_branch .LBB158_6
.LBB158_38:                             ;   in Loop: Header=BB158_7 Depth=1
	ds_load_2addr_b64 v[30:33], v39 offset1:1
	v_lshl_add_u64 v[24:25], v[14:15], 4, v[26:27]
	s_delay_alu instid0(VALU_DEP_1)
	v_dual_cndmask_b32 v25, v25, v29, s3 :: v_dual_cndmask_b32 v24, v24, v28, s3
	s_wait_dscnt 0x0
	global_store_b128 v[24:25], v[30:33], off
	s_wait_xcnt 0x0
	s_or_b32 exec_lo, exec_lo, s9
	s_and_saveexec_b32 s9, s30
	s_cbranch_execz .LBB158_18
.LBB158_39:                             ;   in Loop: Header=BB158_7 Depth=1
	ds_load_2addr_b64 v[30:33], v43 offset1:1
	v_add_nc_u64_e32 v[24:25], 0x80, v[28:29]
	v_lshl_add_u64 v[34:35], v[16:17], 4, v[26:27]
	s_delay_alu instid0(VALU_DEP_1)
	v_dual_cndmask_b32 v25, v35, v25, s3 :: v_dual_cndmask_b32 v24, v34, v24, s3
	s_wait_dscnt 0x0
	global_store_b128 v[24:25], v[30:33], off
	s_wait_xcnt 0x0
	s_or_b32 exec_lo, exec_lo, s9
	s_and_saveexec_b32 s9, s31
	s_cbranch_execz .LBB158_19
.LBB158_40:                             ;   in Loop: Header=BB158_7 Depth=1
	ds_load_2addr_b64 v[30:33], v44 offset1:1
	v_add_nc_u64_e32 v[24:25], 0x100, v[28:29]
	v_lshl_add_u64 v[34:35], v[18:19], 4, v[26:27]
	s_delay_alu instid0(VALU_DEP_1)
	v_dual_cndmask_b32 v25, v35, v25, s3 :: v_dual_cndmask_b32 v24, v34, v24, s3
	s_wait_dscnt 0x0
	global_store_b128 v[24:25], v[30:33], off
	s_wait_xcnt 0x0
	s_or_b32 exec_lo, exec_lo, s9
	s_and_saveexec_b32 s9, s33
	s_cbranch_execnz .LBB158_20
	s_branch .LBB158_21
.LBB158_41:
	s_endpgm
	.section	.rodata,"a",@progbits
	.p2align	6, 0x0
	.amdhsa_kernel _ZN9rocsparseL38csr2bsr_block_per_row_multipass_kernelILj256ELj32E21rocsparse_complex_numIdEliEEv20rocsparse_direction_T3_S4_S4_S4_S4_21rocsparse_index_base_PKT1_PKT2_PKS4_S5_PS6_PS9_PS4_
		.amdhsa_group_segment_fixed_size 16392
		.amdhsa_private_segment_fixed_size 0
		.amdhsa_kernarg_size 88
		.amdhsa_user_sgpr_count 2
		.amdhsa_user_sgpr_dispatch_ptr 0
		.amdhsa_user_sgpr_queue_ptr 0
		.amdhsa_user_sgpr_kernarg_segment_ptr 1
		.amdhsa_user_sgpr_dispatch_id 0
		.amdhsa_user_sgpr_kernarg_preload_length 0
		.amdhsa_user_sgpr_kernarg_preload_offset 0
		.amdhsa_user_sgpr_private_segment_size 0
		.amdhsa_wavefront_size32 1
		.amdhsa_uses_dynamic_stack 0
		.amdhsa_enable_private_segment 0
		.amdhsa_system_sgpr_workgroup_id_x 1
		.amdhsa_system_sgpr_workgroup_id_y 0
		.amdhsa_system_sgpr_workgroup_id_z 0
		.amdhsa_system_sgpr_workgroup_info 0
		.amdhsa_system_vgpr_workitem_id 0
		.amdhsa_next_free_vgpr 54
		.amdhsa_next_free_sgpr 40
		.amdhsa_named_barrier_count 0
		.amdhsa_reserve_vcc 1
		.amdhsa_float_round_mode_32 0
		.amdhsa_float_round_mode_16_64 0
		.amdhsa_float_denorm_mode_32 3
		.amdhsa_float_denorm_mode_16_64 3
		.amdhsa_fp16_overflow 0
		.amdhsa_memory_ordered 1
		.amdhsa_forward_progress 1
		.amdhsa_inst_pref_size 18
		.amdhsa_round_robin_scheduling 0
		.amdhsa_exception_fp_ieee_invalid_op 0
		.amdhsa_exception_fp_denorm_src 0
		.amdhsa_exception_fp_ieee_div_zero 0
		.amdhsa_exception_fp_ieee_overflow 0
		.amdhsa_exception_fp_ieee_underflow 0
		.amdhsa_exception_fp_ieee_inexact 0
		.amdhsa_exception_int_div_zero 0
	.end_amdhsa_kernel
	.section	.text._ZN9rocsparseL38csr2bsr_block_per_row_multipass_kernelILj256ELj32E21rocsparse_complex_numIdEliEEv20rocsparse_direction_T3_S4_S4_S4_S4_21rocsparse_index_base_PKT1_PKT2_PKS4_S5_PS6_PS9_PS4_,"axG",@progbits,_ZN9rocsparseL38csr2bsr_block_per_row_multipass_kernelILj256ELj32E21rocsparse_complex_numIdEliEEv20rocsparse_direction_T3_S4_S4_S4_S4_21rocsparse_index_base_PKT1_PKT2_PKS4_S5_PS6_PS9_PS4_,comdat
.Lfunc_end158:
	.size	_ZN9rocsparseL38csr2bsr_block_per_row_multipass_kernelILj256ELj32E21rocsparse_complex_numIdEliEEv20rocsparse_direction_T3_S4_S4_S4_S4_21rocsparse_index_base_PKT1_PKT2_PKS4_S5_PS6_PS9_PS4_, .Lfunc_end158-_ZN9rocsparseL38csr2bsr_block_per_row_multipass_kernelILj256ELj32E21rocsparse_complex_numIdEliEEv20rocsparse_direction_T3_S4_S4_S4_S4_21rocsparse_index_base_PKT1_PKT2_PKS4_S5_PS6_PS9_PS4_
                                        ; -- End function
	.set _ZN9rocsparseL38csr2bsr_block_per_row_multipass_kernelILj256ELj32E21rocsparse_complex_numIdEliEEv20rocsparse_direction_T3_S4_S4_S4_S4_21rocsparse_index_base_PKT1_PKT2_PKS4_S5_PS6_PS9_PS4_.num_vgpr, 54
	.set _ZN9rocsparseL38csr2bsr_block_per_row_multipass_kernelILj256ELj32E21rocsparse_complex_numIdEliEEv20rocsparse_direction_T3_S4_S4_S4_S4_21rocsparse_index_base_PKT1_PKT2_PKS4_S5_PS6_PS9_PS4_.num_agpr, 0
	.set _ZN9rocsparseL38csr2bsr_block_per_row_multipass_kernelILj256ELj32E21rocsparse_complex_numIdEliEEv20rocsparse_direction_T3_S4_S4_S4_S4_21rocsparse_index_base_PKT1_PKT2_PKS4_S5_PS6_PS9_PS4_.numbered_sgpr, 40
	.set _ZN9rocsparseL38csr2bsr_block_per_row_multipass_kernelILj256ELj32E21rocsparse_complex_numIdEliEEv20rocsparse_direction_T3_S4_S4_S4_S4_21rocsparse_index_base_PKT1_PKT2_PKS4_S5_PS6_PS9_PS4_.num_named_barrier, 0
	.set _ZN9rocsparseL38csr2bsr_block_per_row_multipass_kernelILj256ELj32E21rocsparse_complex_numIdEliEEv20rocsparse_direction_T3_S4_S4_S4_S4_21rocsparse_index_base_PKT1_PKT2_PKS4_S5_PS6_PS9_PS4_.private_seg_size, 0
	.set _ZN9rocsparseL38csr2bsr_block_per_row_multipass_kernelILj256ELj32E21rocsparse_complex_numIdEliEEv20rocsparse_direction_T3_S4_S4_S4_S4_21rocsparse_index_base_PKT1_PKT2_PKS4_S5_PS6_PS9_PS4_.uses_vcc, 1
	.set _ZN9rocsparseL38csr2bsr_block_per_row_multipass_kernelILj256ELj32E21rocsparse_complex_numIdEliEEv20rocsparse_direction_T3_S4_S4_S4_S4_21rocsparse_index_base_PKT1_PKT2_PKS4_S5_PS6_PS9_PS4_.uses_flat_scratch, 0
	.set _ZN9rocsparseL38csr2bsr_block_per_row_multipass_kernelILj256ELj32E21rocsparse_complex_numIdEliEEv20rocsparse_direction_T3_S4_S4_S4_S4_21rocsparse_index_base_PKT1_PKT2_PKS4_S5_PS6_PS9_PS4_.has_dyn_sized_stack, 0
	.set _ZN9rocsparseL38csr2bsr_block_per_row_multipass_kernelILj256ELj32E21rocsparse_complex_numIdEliEEv20rocsparse_direction_T3_S4_S4_S4_S4_21rocsparse_index_base_PKT1_PKT2_PKS4_S5_PS6_PS9_PS4_.has_recursion, 0
	.set _ZN9rocsparseL38csr2bsr_block_per_row_multipass_kernelILj256ELj32E21rocsparse_complex_numIdEliEEv20rocsparse_direction_T3_S4_S4_S4_S4_21rocsparse_index_base_PKT1_PKT2_PKS4_S5_PS6_PS9_PS4_.has_indirect_call, 0
	.section	.AMDGPU.csdata,"",@progbits
; Kernel info:
; codeLenInByte = 2204
; TotalNumSgprs: 42
; NumVgprs: 54
; ScratchSize: 0
; MemoryBound: 0
; FloatMode: 240
; IeeeMode: 1
; LDSByteSize: 16392 bytes/workgroup (compile time only)
; SGPRBlocks: 0
; VGPRBlocks: 3
; NumSGPRsForWavesPerEU: 42
; NumVGPRsForWavesPerEU: 54
; NamedBarCnt: 0
; Occupancy: 16
; WaveLimiterHint : 0
; COMPUTE_PGM_RSRC2:SCRATCH_EN: 0
; COMPUTE_PGM_RSRC2:USER_SGPR: 2
; COMPUTE_PGM_RSRC2:TRAP_HANDLER: 0
; COMPUTE_PGM_RSRC2:TGID_X_EN: 1
; COMPUTE_PGM_RSRC2:TGID_Y_EN: 0
; COMPUTE_PGM_RSRC2:TGID_Z_EN: 0
; COMPUTE_PGM_RSRC2:TIDIG_COMP_CNT: 0
	.section	.text._ZN9rocsparseL21csr2bsr_65_inf_kernelILj32E21rocsparse_complex_numIdEliEEv20rocsparse_direction_T2_S4_S4_S4_S4_S4_21rocsparse_index_base_PKT0_PKT1_PKS4_S5_PS6_PS9_PS4_SF_SG_SE_,"axG",@progbits,_ZN9rocsparseL21csr2bsr_65_inf_kernelILj32E21rocsparse_complex_numIdEliEEv20rocsparse_direction_T2_S4_S4_S4_S4_S4_21rocsparse_index_base_PKT0_PKT1_PKS4_S5_PS6_PS9_PS4_SF_SG_SE_,comdat
	.globl	_ZN9rocsparseL21csr2bsr_65_inf_kernelILj32E21rocsparse_complex_numIdEliEEv20rocsparse_direction_T2_S4_S4_S4_S4_S4_21rocsparse_index_base_PKT0_PKT1_PKS4_S5_PS6_PS9_PS4_SF_SG_SE_ ; -- Begin function _ZN9rocsparseL21csr2bsr_65_inf_kernelILj32E21rocsparse_complex_numIdEliEEv20rocsparse_direction_T2_S4_S4_S4_S4_S4_21rocsparse_index_base_PKT0_PKT1_PKS4_S5_PS6_PS9_PS4_SF_SG_SE_
	.p2align	8
	.type	_ZN9rocsparseL21csr2bsr_65_inf_kernelILj32E21rocsparse_complex_numIdEliEEv20rocsparse_direction_T2_S4_S4_S4_S4_S4_21rocsparse_index_base_PKT0_PKT1_PKS4_S5_PS6_PS9_PS4_SF_SG_SE_,@function
_ZN9rocsparseL21csr2bsr_65_inf_kernelILj32E21rocsparse_complex_numIdEliEEv20rocsparse_direction_T2_S4_S4_S4_S4_S4_21rocsparse_index_base_PKT0_PKT1_PKS4_S5_PS6_PS9_PS4_SF_SG_SE_: ; @_ZN9rocsparseL21csr2bsr_65_inf_kernelILj32E21rocsparse_complex_numIdEliEEv20rocsparse_direction_T2_S4_S4_S4_S4_S4_21rocsparse_index_base_PKT0_PKT1_PKS4_S5_PS6_PS9_PS4_SF_SG_SE_
; %bb.0:
	s_clause 0x2
	s_load_b128 s[4:7], s[0:1], 0x0
	s_load_b64 s[2:3], s[0:1], 0x58
	s_load_b32 s15, s[0:1], 0x38
	s_bfe_u32 s8, ttmp6, 0x4000c
	s_and_b32 s9, ttmp6, 15
	s_add_co_i32 s8, s8, 1
	s_getreg_b32 s10, hwreg(HW_REG_IB_STS2, 6, 4)
	s_mul_i32 s8, ttmp9, s8
	s_mov_b32 s25, 0
	s_add_co_i32 s9, s9, s8
	s_cmp_eq_u32 s10, 0
	s_cselect_b32 s22, ttmp9, s9
	s_wait_kmcnt 0x0
	s_cmp_ge_i32 s22, s7
	s_mov_b32 s7, 0
	s_cbranch_scc1 .LBB159_2
; %bb.1:
	s_load_b64 s[8:9], s[0:1], 0x48
	s_ashr_i32 s23, s22, 31
	s_delay_alu instid0(SALU_CYCLE_1)
	s_lshl_b64 s[10:11], s[22:23], 3
	s_wait_kmcnt 0x0
	s_add_nc_u64 s[8:9], s[8:9], s[10:11]
	s_load_b32 s7, s[8:9], 0x0
	s_wait_kmcnt 0x0
	s_sub_co_i32 s7, s7, s15
.LBB159_2:
	s_load_b96 s[12:14], s[0:1], 0x14
	s_wait_kmcnt 0x0
	v_mul_lo_u32 v2, s13, v0
	s_mul_i32 s8, s22, s13
	s_delay_alu instid0(SALU_CYCLE_1) | instskip(NEXT) | instid1(SALU_CYCLE_1)
	s_lshl_b32 s24, s8, 6
	s_lshl_b64 s[8:9], s[24:25], 3
	s_lshl_b32 s24, s13, 5
	s_add_nc_u64 s[26:27], s[2:3], s[8:9]
	s_cmp_gt_i32 s13, 0
	s_cselect_b32 s28, -1, 0
	s_delay_alu instid0(VALU_DEP_1) | instskip(SKIP_1) | instid1(VALU_DEP_1)
	v_ashrrev_i32_e32 v3, 31, v2
	s_cmp_lt_i32 s13, 1
	v_lshl_add_u64 v[6:7], v[2:3], 3, s[26:27]
	s_cbranch_scc1 .LBB159_7
; %bb.3:
	s_load_b64 s[8:9], s[0:1], 0x28
	v_mov_b64_e32 v[4:5], 0
	s_delay_alu instid0(VALU_DEP_2)
	v_mov_b64_e32 v[8:9], v[6:7]
	v_mov_b32_e32 v1, v0
	s_mul_i32 s3, s12, s22
	s_mov_b32 s11, 0
	s_mov_b32 s10, s14
	s_lshl_b64 s[16:17], s[24:25], 3
	s_mov_b32 s18, s13
	s_branch .LBB159_5
.LBB159_4:                              ;   in Loop: Header=BB159_5 Depth=1
	s_wait_xcnt 0x0
	s_or_b32 exec_lo, exec_lo, s2
	v_add_nc_u64_e32 v[8:9], 8, v[8:9]
	v_add_nc_u32_e32 v1, 32, v1
	s_add_co_i32 s18, s18, -1
	s_delay_alu instid0(SALU_CYCLE_1)
	s_cmp_eq_u32 s18, 0
	s_cbranch_scc1 .LBB159_7
.LBB159_5:                              ; =>This Inner Loop Header: Depth=1
	s_delay_alu instid0(VALU_DEP_1) | instskip(NEXT) | instid1(VALU_DEP_3)
	v_add_nc_u32_e32 v12, s3, v1
	v_add_nc_u64_e32 v[10:11], s[16:17], v[8:9]
	v_cmp_gt_u32_e64 s2, s12, v1
	global_store_b64 v[8:9], v[4:5], off
	v_cmp_gt_i32_e32 vcc_lo, s5, v12
	global_store_b64 v[10:11], v[4:5], off
	s_and_b32 s19, s2, vcc_lo
	s_wait_xcnt 0x0
	s_and_saveexec_b32 s2, s19
	s_cbranch_execz .LBB159_4
; %bb.6:                                ;   in Loop: Header=BB159_5 Depth=1
	v_ashrrev_i32_e32 v13, 31, v12
	s_wait_kmcnt 0x0
	s_delay_alu instid0(VALU_DEP_1)
	v_lshl_add_u64 v[12:13], v[12:13], 3, s[8:9]
	global_load_b128 v[12:15], v[12:13], off
	s_wait_loadcnt 0x0
	v_sub_nc_u64_e64 v[12:13], v[12:13], s[10:11]
	v_sub_nc_u64_e64 v[14:15], v[14:15], s[10:11]
	s_clause 0x1
	global_store_b64 v[8:9], v[12:13], off
	global_store_b64 v[10:11], v[14:15], off
	s_branch .LBB159_4
.LBB159_7:
	s_cmp_lt_i32 s6, 1
	s_cbranch_scc1 .LBB159_37
; %bb.8:
	s_wait_kmcnt 0x0
	s_load_b128 s[8:11], s[0:1], 0x60
	v_mbcnt_lo_u32_b32 v4, -1, 0
	s_clause 0x3
	s_load_b64 s[2:3], s[0:1], 0x50
	s_load_b64 s[16:17], s[0:1], 0x40
	;; [unrolled: 1-line block ×4, first 2 shown]
	s_wait_xcnt 0x0
	s_lshl_b64 s[0:1], s[24:25], 3
	s_mul_i32 s22, s24, s22
	s_mov_b32 s23, 0
	v_xor_b32_e32 v5, 8, v4
	v_xor_b32_e32 v1, 16, v4
	s_add_nc_u64 s[0:1], s[26:27], s[0:1]
	s_lshl_b64 s[24:25], s[22:23], 2
	s_lshl_b64 s[26:27], s[22:23], 4
	s_cmp_lg_u32 s4, 0
	v_cmp_gt_i32_e32 vcc_lo, 32, v1
	v_lshl_add_u64 v[8:9], v[2:3], 3, s[0:1]
	v_mul_lo_u32 v33, v0, s12
	v_dual_mov_b32 v35, 0 :: v_dual_mov_b32 v36, 0
	v_dual_cndmask_b32 v1, v4, v1 :: v_dual_mov_b32 v34, 0
	v_mov_b32_e32 v32, 0x7c
	s_wait_kmcnt 0x0
	s_add_nc_u64 s[0:1], s[8:9], s[24:25]
	s_add_nc_u64 s[4:5], s[10:11], s[26:27]
	v_lshl_add_u64 v[10:11], v[2:3], 2, s[0:1]
	s_cselect_b32 s1, -1, 0
	s_abs_i32 s24, s12
	v_lshl_add_u64 v[12:13], v[2:3], 4, s[4:5]
	v_dual_lshlrev_b32 v1, 2, v1 :: v_dual_bitop2_b32 v2, 4, v4 bitop3:0x14
	s_cvt_f32_u32 s0, s24
	v_cmp_gt_i32_e32 vcc_lo, 32, v5
	s_sub_co_i32 s8, 0, s24
	s_ashr_i32 s5, s12, 31
	v_rcp_iflag_f32_e32 v15, s0
	s_add_co_i32 s25, s7, -1
	v_cndmask_b32_e32 v3, v4, v5, vcc_lo
	v_cmp_gt_i32_e32 vcc_lo, 32, v2
	v_xor_b32_e32 v5, 2, v4
	s_mov_b32 s26, 0
	s_delay_alu instid0(TRANS32_DEP_1) | instskip(SKIP_1) | instid1(VALU_DEP_3)
	v_readfirstlane_b32 s0, v15
	v_cndmask_b32_e32 v2, v4, v2, vcc_lo
	v_cmp_gt_i32_e32 vcc_lo, 32, v5
	v_dual_lshlrev_b32 v28, 2, v3 :: v_dual_bitop2_b32 v14, 1, v4 bitop3:0x14
	s_mul_f32 s4, s0, 0x4f7ffffe
	v_cmp_eq_u32_e64 s0, 31, v0
	v_cndmask_b32_e32 v5, v4, v5, vcc_lo
	s_delay_alu instid0(VALU_DEP_3) | instskip(SKIP_2) | instid1(VALU_DEP_2)
	v_cmp_gt_i32_e32 vcc_lo, 32, v14
	s_cvt_u32_f32 s10, s4
	s_mov_b32 s4, s12
	v_dual_lshlrev_b32 v29, 2, v2 :: v_dual_lshlrev_b32 v30, 2, v5
	v_cndmask_b32_e32 v4, v4, v14, vcc_lo
	s_mul_i32 s11, s8, s10
	v_mov_b32_e32 v2, 0
	s_mul_u64 s[8:9], s[4:5], s[4:5]
	s_mul_hi_u32 s4, s10, s11
	v_lshlrev_b32_e32 v31, 2, v4
	s_add_co_i32 s10, s10, s4
	s_mov_b32 s11, s23
	s_lshl_b32 s4, s12, 5
	s_branch .LBB159_10
.LBB159_9:                              ;   in Loop: Header=BB159_10 Depth=1
	s_wait_dscnt 0x1
	v_add_nc_u32_e32 v36, 1, v3
	s_delay_alu instid0(VALU_DEP_1) | instskip(SKIP_1) | instid1(SALU_CYCLE_1)
	v_cmp_le_i32_e32 vcc_lo, s6, v36
	s_or_b32 s26, vcc_lo, s26
	s_and_not1_b32 exec_lo, exec_lo, s26
	s_cbranch_execz .LBB159_37
.LBB159_10:                             ; =>This Loop Header: Depth=1
                                        ;     Child Loop BB159_14 Depth 2
                                        ;       Child Loop BB159_17 Depth 3
                                        ;     Child Loop BB159_31 Depth 2
	v_mov_b32_e32 v37, s6
	s_and_not1_b32 vcc_lo, exec_lo, s28
	s_cbranch_vccnz .LBB159_23
; %bb.11:                               ;   in Loop: Header=BB159_10 Depth=1
	v_mov_b32_e32 v37, s6
	s_mov_b32 s22, 0
	s_branch .LBB159_14
.LBB159_12:                             ;   in Loop: Header=BB159_14 Depth=2
	s_wait_xcnt 0x0
	s_or_b32 exec_lo, exec_lo, s29
.LBB159_13:                             ;   in Loop: Header=BB159_14 Depth=2
	s_delay_alu instid0(SALU_CYCLE_1) | instskip(SKIP_1) | instid1(SALU_CYCLE_1)
	s_or_b32 exec_lo, exec_lo, s27
	s_add_co_i32 s22, s22, 1
	s_cmp_eq_u32 s22, s13
	s_cbranch_scc1 .LBB159_23
.LBB159_14:                             ;   Parent Loop BB159_10 Depth=1
                                        ; =>  This Loop Header: Depth=2
                                        ;       Child Loop BB159_17 Depth 3
	s_lshl_b64 s[30:31], s[22:23], 3
	v_lshl_add_u64 v[20:21], s[22:23], 4, v[12:13]
	v_add_nc_u64_e32 v[14:15], s[30:31], v[6:7]
	v_add_nc_u64_e32 v[4:5], s[30:31], v[8:9]
	v_mov_b32_e32 v3, v2
	v_lshl_add_u64 v[16:17], s[22:23], 2, v[10:11]
	s_mov_b32 s27, exec_lo
	s_clause 0x1
	global_load_b64 v[22:23], v[14:15], off
	global_load_b64 v[18:19], v[4:5], off
	s_wait_xcnt 0x0
	v_dual_mov_b32 v4, v2 :: v_dual_mov_b32 v5, v2
	v_mov_b32_e32 v24, s6
	global_store_b128 v[20:21], v[2:5], off
	global_store_b32 v[16:17], v24, off
	s_wait_loadcnt 0x0
	s_wait_xcnt 0x0
	v_cmpx_lt_i64_e64 v[22:23], v[18:19]
	s_cbranch_execz .LBB159_13
; %bb.15:                               ;   in Loop: Header=BB159_14 Depth=2
	v_lshl_add_u64 v[24:25], v[22:23], 2, s[20:21]
	v_lshl_add_u64 v[26:27], v[22:23], 4, s[18:19]
	s_mov_b32 s29, 0
                                        ; implicit-def: $sgpr30
                                        ; implicit-def: $sgpr33
                                        ; implicit-def: $sgpr31
	s_branch .LBB159_17
.LBB159_16:                             ;   in Loop: Header=BB159_17 Depth=3
	s_or_b32 exec_lo, exec_lo, s34
	s_delay_alu instid0(SALU_CYCLE_1) | instskip(NEXT) | instid1(SALU_CYCLE_1)
	s_and_b32 s34, exec_lo, s33
	s_or_b32 s29, s34, s29
	s_and_not1_b32 s30, s30, exec_lo
	s_and_b32 s34, s31, exec_lo
	s_delay_alu instid0(SALU_CYCLE_1)
	s_or_b32 s30, s30, s34
	s_and_not1_b32 exec_lo, exec_lo, s29
	s_cbranch_execz .LBB159_19
.LBB159_17:                             ;   Parent Loop BB159_10 Depth=1
                                        ;     Parent Loop BB159_14 Depth=2
                                        ; =>    This Inner Loop Header: Depth=3
	global_load_b128 v[38:41], v[26:27], off
	v_mov_b64_e32 v[4:5], v[22:23]
	s_or_b32 s31, s31, exec_lo
	s_or_b32 s33, s33, exec_lo
	s_mov_b32 s34, exec_lo
                                        ; implicit-def: $vgpr22_vgpr23
	s_wait_loadcnt 0x0
	global_store_b128 v[20:21], v[38:41], off
	global_load_b32 v3, v[24:25], off
	s_wait_loadcnt 0x0
	v_subrev_nc_u32_e32 v3, s14, v3
	s_wait_xcnt 0x0
	s_delay_alu instid0(VALU_DEP_1)
	v_cmpx_lt_i32_e64 v3, v36
	s_cbranch_execz .LBB159_16
; %bb.18:                               ;   in Loop: Header=BB159_17 Depth=3
	v_add_nc_u64_e32 v[22:23], 1, v[4:5]
	v_add_nc_u64_e32 v[24:25], 4, v[24:25]
	;; [unrolled: 1-line block ×3, first 2 shown]
	s_and_not1_b32 s33, s33, exec_lo
	s_and_not1_b32 s31, s31, exec_lo
	s_delay_alu instid0(VALU_DEP_3) | instskip(SKIP_1) | instid1(SALU_CYCLE_1)
	v_cmp_ge_i64_e32 vcc_lo, v[22:23], v[18:19]
	s_and_b32 s35, vcc_lo, exec_lo
	s_or_b32 s33, s33, s35
	s_branch .LBB159_16
.LBB159_19:                             ;   in Loop: Header=BB159_14 Depth=2
	s_or_b32 exec_lo, exec_lo, s29
	s_xor_b32 s29, s30, -1
	s_delay_alu instid0(SALU_CYCLE_1) | instskip(NEXT) | instid1(SALU_CYCLE_1)
	s_and_saveexec_b32 s30, s29
	s_xor_b32 s29, exec_lo, s30
	s_cbranch_execz .LBB159_21
; %bb.20:                               ;   in Loop: Header=BB159_14 Depth=2
	global_store_b32 v[16:17], v3, off
                                        ; implicit-def: $vgpr16_vgpr17
                                        ; implicit-def: $vgpr14_vgpr15
.LBB159_21:                             ;   in Loop: Header=BB159_14 Depth=2
	s_wait_xcnt 0x0
	s_and_not1_saveexec_b32 s29, s29
	s_cbranch_execz .LBB159_12
; %bb.22:                               ;   in Loop: Header=BB159_14 Depth=2
	v_min_i32_e32 v37, v3, v37
	global_store_b32 v[16:17], v3, off
	global_store_b64 v[14:15], v[4:5], off
	s_branch .LBB159_12
.LBB159_23:                             ;   in Loop: Header=BB159_10 Depth=1
	ds_bpermute_b32 v3, v1, v37
	s_wait_dscnt 0x0
	v_min_i32_e32 v3, v3, v37
	ds_bpermute_b32 v4, v28, v3
	s_wait_dscnt 0x0
	v_min_i32_e32 v3, v4, v3
	ds_bpermute_b32 v4, v29, v3
	s_wait_dscnt 0x0
	v_min_i32_e32 v3, v4, v3
	ds_bpermute_b32 v4, v30, v3
	s_wait_dscnt 0x0
	v_min_i32_e32 v3, v4, v3
	ds_bpermute_b32 v4, v31, v3
	s_wait_dscnt 0x0
	v_min_i32_e32 v3, v4, v3
	s_delay_alu instid0(VALU_DEP_1) | instskip(SKIP_1) | instid1(SALU_CYCLE_1)
	v_cmp_gt_i32_e32 vcc_lo, s6, v3
	s_and_b32 s27, s0, vcc_lo
	s_and_saveexec_b32 s22, s27
	s_cbranch_execz .LBB159_27
; %bb.24:                               ;   in Loop: Header=BB159_10 Depth=1
	v_dual_mov_b32 v5, v2 :: v_dual_sub_nc_u32 v4, 0, v3
	s_mov_b32 s27, exec_lo
	s_delay_alu instid0(VALU_DEP_1) | instskip(NEXT) | instid1(VALU_DEP_1)
	v_max_i32_e32 v4, v3, v4
	v_mul_u64_e32 v[14:15], s[10:11], v[4:5]
	s_delay_alu instid0(VALU_DEP_1) | instskip(NEXT) | instid1(VALU_DEP_1)
	v_mul_lo_u32 v5, v15, s24
	v_dual_sub_nc_u32 v4, v4, v5 :: v_dual_add_nc_u32 v5, 1, v15
	s_delay_alu instid0(VALU_DEP_1) | instskip(NEXT) | instid1(VALU_DEP_2)
	v_cmp_le_u32_e32 vcc_lo, s24, v4
	v_cndmask_b32_e32 v5, v15, v5, vcc_lo
	v_subrev_nc_u32_e32 v14, s24, v4
	s_delay_alu instid0(VALU_DEP_1) | instskip(NEXT) | instid1(VALU_DEP_1)
	v_dual_cndmask_b32 v4, v4, v14 :: v_dual_ashrrev_i32 v15, 31, v3
	v_dual_add_nc_u32 v14, 1, v5 :: v_dual_bitop2_b32 v15, s5, v15 bitop3:0x14
	s_delay_alu instid0(VALU_DEP_2) | instskip(NEXT) | instid1(VALU_DEP_2)
	v_cmp_le_u32_e32 vcc_lo, s24, v4
	v_cndmask_b32_e32 v4, v5, v14, vcc_lo
	s_delay_alu instid0(VALU_DEP_1) | instskip(NEXT) | instid1(VALU_DEP_1)
	v_xor_b32_e32 v4, v4, v15
	v_sub_nc_u32_e32 v4, v4, v15
	s_delay_alu instid0(VALU_DEP_1)
	v_cmpx_ge_i32_e64 v4, v34
	s_cbranch_execz .LBB159_26
; %bb.25:                               ;   in Loop: Header=BB159_10 Depth=1
	v_dual_add_nc_u32 v5, 1, v35 :: v_dual_add_nc_u32 v34, 1, v4
	v_dual_add_nc_u32 v14, s7, v35 :: v_dual_add_nc_u32 v4, s15, v4
	s_delay_alu instid0(VALU_DEP_2)
	v_mov_b32_e32 v35, v5
	global_store_b32 v14, v4, s[2:3] scale_offset
.LBB159_26:                             ;   in Loop: Header=BB159_10 Depth=1
	s_wait_xcnt 0x0
	s_or_b32 exec_lo, exec_lo, s27
.LBB159_27:                             ;   in Loop: Header=BB159_10 Depth=1
	s_delay_alu instid0(SALU_CYCLE_1)
	s_or_b32 exec_lo, exec_lo, s22
	ds_bpermute_b32 v3, v32, v3
	ds_bpermute_b32 v35, v32, v35
	s_and_not1_b32 vcc_lo, exec_lo, s28
	s_cbranch_vccnz .LBB159_9
; %bb.28:                               ;   in Loop: Header=BB159_10 Depth=1
	s_wait_dscnt 0x1
	v_dual_mov_b32 v5, v2 :: v_dual_sub_nc_u32 v4, 0, v3
	s_mov_b32 s22, s13
	s_wait_dscnt 0x0
	s_delay_alu instid0(VALU_DEP_1) | instskip(NEXT) | instid1(VALU_DEP_1)
	v_dual_add_nc_u32 v16, s25, v35 :: v_dual_max_i32 v4, v3, v4
	v_mul_u64_e32 v[14:15], s[10:11], v[4:5]
	s_delay_alu instid0(VALU_DEP_1) | instskip(NEXT) | instid1(VALU_DEP_1)
	v_mul_lo_u32 v5, v15, s24
	v_dual_ashrrev_i32 v17, 31, v16 :: v_dual_sub_nc_u32 v4, v4, v5
	s_delay_alu instid0(VALU_DEP_1) | instskip(SKIP_1) | instid1(VALU_DEP_3)
	v_mul_u64_e32 v[18:19], s[8:9], v[16:17]
	v_mov_b32_e32 v16, v0
	v_subrev_nc_u32_e32 v14, s24, v4
	v_cmp_le_u32_e32 vcc_lo, s24, v4
	s_delay_alu instid0(VALU_DEP_2) | instskip(NEXT) | instid1(VALU_DEP_1)
	v_dual_cndmask_b32 v4, v4, v14 :: v_dual_add_nc_u32 v5, 1, v15
	v_dual_cndmask_b32 v5, v15, v5, vcc_lo :: v_dual_ashrrev_i32 v15, 31, v3
	s_delay_alu instid0(VALU_DEP_2) | instskip(NEXT) | instid1(VALU_DEP_2)
	v_cmp_le_u32_e32 vcc_lo, s24, v4
	v_dual_add_nc_u32 v14, 1, v5 :: v_dual_bitop2_b32 v17, s5, v15 bitop3:0x14
	s_delay_alu instid0(VALU_DEP_1) | instskip(SKIP_1) | instid1(VALU_DEP_2)
	v_cndmask_b32_e32 v4, v5, v14, vcc_lo
	v_mov_b64_e32 v[14:15], v[10:11]
	v_xor_b32_e32 v20, v4, v17
	v_mov_b64_e32 v[4:5], v[12:13]
	s_delay_alu instid0(VALU_DEP_2)
	v_dual_sub_nc_u32 v36, v20, v17 :: v_dual_mov_b32 v20, v33
	v_lshl_add_u64 v[18:19], v[18:19], 4, s[16:17]
	s_branch .LBB159_31
.LBB159_29:                             ;   in Loop: Header=BB159_31 Depth=2
	global_load_b128 v[38:41], v[4:5], off
	v_lshl_add_u64 v[22:23], v[24:25], 4, v[18:19]
	s_delay_alu instid0(VALU_DEP_1)
	v_lshl_add_u64 v[22:23], v[26:27], 4, v[22:23]
	s_wait_loadcnt 0x0
	global_store_b128 v[22:23], v[38:41], off
.LBB159_30:                             ;   in Loop: Header=BB159_31 Depth=2
	s_wait_xcnt 0x0
	s_or_b32 exec_lo, exec_lo, s27
	v_add_nc_u64_e32 v[14:15], 4, v[14:15]
	v_add_nc_u64_e32 v[4:5], 16, v[4:5]
	v_add_nc_u32_e32 v20, s4, v20
	v_add_nc_u32_e32 v16, 32, v16
	s_add_co_i32 s22, s22, -1
	s_delay_alu instid0(SALU_CYCLE_1)
	s_cmp_eq_u32 s22, 0
	s_cbranch_scc1 .LBB159_9
.LBB159_31:                             ;   Parent Loop BB159_10 Depth=1
                                        ; =>  This Inner Loop Header: Depth=2
	global_load_b32 v17, v[14:15], off
	s_mov_b32 s27, exec_lo
	s_wait_loadcnt 0x0
	v_cmpx_gt_i32_e64 s6, v17
	s_cbranch_execz .LBB159_30
; %bb.32:                               ;   in Loop: Header=BB159_31 Depth=2
	v_dual_sub_nc_u32 v21, 0, v17 :: v_dual_mov_b32 v23, v2
	s_delay_alu instid0(VALU_DEP_1) | instskip(NEXT) | instid1(VALU_DEP_1)
	v_max_i32_e32 v22, v17, v21
	v_mul_u64_e32 v[24:25], s[10:11], v[22:23]
	s_delay_alu instid0(VALU_DEP_1) | instskip(SKIP_1) | instid1(VALU_DEP_2)
	v_mul_lo_u32 v21, v25, s24
	v_add_nc_u32_e32 v23, 1, v25
	v_sub_nc_u32_e32 v21, v22, v21
	s_delay_alu instid0(VALU_DEP_1) | instskip(NEXT) | instid1(VALU_DEP_3)
	v_cmp_le_u32_e32 vcc_lo, s24, v21
	v_cndmask_b32_e32 v23, v25, v23, vcc_lo
	v_subrev_nc_u32_e32 v24, s24, v21
	s_delay_alu instid0(VALU_DEP_1) | instskip(NEXT) | instid1(VALU_DEP_1)
	v_dual_cndmask_b32 v21, v21, v24 :: v_dual_add_nc_u32 v24, 1, v23
	v_cmp_le_u32_e32 vcc_lo, s24, v21
	s_delay_alu instid0(VALU_DEP_2) | instskip(NEXT) | instid1(VALU_DEP_1)
	v_dual_ashrrev_i32 v37, 31, v17 :: v_dual_cndmask_b32 v21, v23, v24, vcc_lo
	v_xor_b32_e32 v25, s5, v37
	s_delay_alu instid0(VALU_DEP_1) | instskip(NEXT) | instid1(VALU_DEP_1)
	v_xor_b32_e32 v21, v21, v25
	v_sub_nc_u32_e32 v21, v21, v25
	s_delay_alu instid0(VALU_DEP_1)
	v_cmp_eq_u32_e32 vcc_lo, v21, v36
	s_and_b32 exec_lo, exec_lo, vcc_lo
	s_cbranch_execz .LBB159_30
; %bb.33:                               ;   in Loop: Header=BB159_31 Depth=2
	s_and_b32 vcc_lo, exec_lo, s1
	s_cbranch_vccz .LBB159_35
; %bb.34:                               ;   in Loop: Header=BB159_31 Depth=2
	v_mul_lo_u32 v21, v36, s12
	s_delay_alu instid0(VALU_DEP_1) | instskip(NEXT) | instid1(VALU_DEP_1)
	v_sub_nc_u32_e32 v17, v17, v21
	v_mul_lo_u32 v24, v17, s12
	v_mov_b32_e32 v17, v2
	s_delay_alu instid0(VALU_DEP_1) | instskip(NEXT) | instid1(VALU_DEP_3)
	v_mov_b64_e32 v[26:27], v[16:17]
	v_ashrrev_i32_e32 v25, 31, v24
	s_cbranch_execnz .LBB159_29
	s_branch .LBB159_36
.LBB159_35:                             ;   in Loop: Header=BB159_31 Depth=2
	v_mov_b32_e32 v21, v2
                                        ; implicit-def: $vgpr26_vgpr27
	s_delay_alu instid0(VALU_DEP_1)
	v_mov_b64_e32 v[24:25], v[20:21]
.LBB159_36:                             ;   in Loop: Header=BB159_31 Depth=2
	v_mov_b32_e32 v23, v2
	s_delay_alu instid0(VALU_DEP_1) | instskip(NEXT) | instid1(VALU_DEP_1)
	v_mul_u64_e32 v[26:27], s[10:11], v[22:23]
	v_mul_lo_u32 v17, v27, s24
	s_delay_alu instid0(VALU_DEP_1) | instskip(NEXT) | instid1(VALU_DEP_1)
	v_sub_nc_u32_e32 v17, v22, v17
	v_subrev_nc_u32_e32 v21, s24, v17
	v_cmp_le_u32_e32 vcc_lo, s24, v17
	s_delay_alu instid0(VALU_DEP_2) | instskip(NEXT) | instid1(VALU_DEP_1)
	v_cndmask_b32_e32 v17, v17, v21, vcc_lo
	v_subrev_nc_u32_e32 v21, s24, v17
	v_cmp_le_u32_e32 vcc_lo, s24, v17
	s_delay_alu instid0(VALU_DEP_2) | instskip(NEXT) | instid1(VALU_DEP_1)
	v_cndmask_b32_e32 v17, v17, v21, vcc_lo
	v_xor_b32_e32 v17, v17, v37
	s_delay_alu instid0(VALU_DEP_1) | instskip(NEXT) | instid1(VALU_DEP_1)
	v_sub_nc_u32_e32 v26, v17, v37
	v_ashrrev_i32_e32 v27, 31, v26
	s_branch .LBB159_29
.LBB159_37:
	s_endpgm
	.section	.rodata,"a",@progbits
	.p2align	6, 0x0
	.amdhsa_kernel _ZN9rocsparseL21csr2bsr_65_inf_kernelILj32E21rocsparse_complex_numIdEliEEv20rocsparse_direction_T2_S4_S4_S4_S4_S4_21rocsparse_index_base_PKT0_PKT1_PKS4_S5_PS6_PS9_PS4_SF_SG_SE_
		.amdhsa_group_segment_fixed_size 0
		.amdhsa_private_segment_fixed_size 0
		.amdhsa_kernarg_size 112
		.amdhsa_user_sgpr_count 2
		.amdhsa_user_sgpr_dispatch_ptr 0
		.amdhsa_user_sgpr_queue_ptr 0
		.amdhsa_user_sgpr_kernarg_segment_ptr 1
		.amdhsa_user_sgpr_dispatch_id 0
		.amdhsa_user_sgpr_kernarg_preload_length 0
		.amdhsa_user_sgpr_kernarg_preload_offset 0
		.amdhsa_user_sgpr_private_segment_size 0
		.amdhsa_wavefront_size32 1
		.amdhsa_uses_dynamic_stack 0
		.amdhsa_enable_private_segment 0
		.amdhsa_system_sgpr_workgroup_id_x 1
		.amdhsa_system_sgpr_workgroup_id_y 0
		.amdhsa_system_sgpr_workgroup_id_z 0
		.amdhsa_system_sgpr_workgroup_info 0
		.amdhsa_system_vgpr_workitem_id 0
		.amdhsa_next_free_vgpr 42
		.amdhsa_next_free_sgpr 36
		.amdhsa_named_barrier_count 0
		.amdhsa_reserve_vcc 1
		.amdhsa_float_round_mode_32 0
		.amdhsa_float_round_mode_16_64 0
		.amdhsa_float_denorm_mode_32 3
		.amdhsa_float_denorm_mode_16_64 3
		.amdhsa_fp16_overflow 0
		.amdhsa_memory_ordered 1
		.amdhsa_forward_progress 1
		.amdhsa_inst_pref_size 17
		.amdhsa_round_robin_scheduling 0
		.amdhsa_exception_fp_ieee_invalid_op 0
		.amdhsa_exception_fp_denorm_src 0
		.amdhsa_exception_fp_ieee_div_zero 0
		.amdhsa_exception_fp_ieee_overflow 0
		.amdhsa_exception_fp_ieee_underflow 0
		.amdhsa_exception_fp_ieee_inexact 0
		.amdhsa_exception_int_div_zero 0
	.end_amdhsa_kernel
	.section	.text._ZN9rocsparseL21csr2bsr_65_inf_kernelILj32E21rocsparse_complex_numIdEliEEv20rocsparse_direction_T2_S4_S4_S4_S4_S4_21rocsparse_index_base_PKT0_PKT1_PKS4_S5_PS6_PS9_PS4_SF_SG_SE_,"axG",@progbits,_ZN9rocsparseL21csr2bsr_65_inf_kernelILj32E21rocsparse_complex_numIdEliEEv20rocsparse_direction_T2_S4_S4_S4_S4_S4_21rocsparse_index_base_PKT0_PKT1_PKS4_S5_PS6_PS9_PS4_SF_SG_SE_,comdat
.Lfunc_end159:
	.size	_ZN9rocsparseL21csr2bsr_65_inf_kernelILj32E21rocsparse_complex_numIdEliEEv20rocsparse_direction_T2_S4_S4_S4_S4_S4_21rocsparse_index_base_PKT0_PKT1_PKS4_S5_PS6_PS9_PS4_SF_SG_SE_, .Lfunc_end159-_ZN9rocsparseL21csr2bsr_65_inf_kernelILj32E21rocsparse_complex_numIdEliEEv20rocsparse_direction_T2_S4_S4_S4_S4_S4_21rocsparse_index_base_PKT0_PKT1_PKS4_S5_PS6_PS9_PS4_SF_SG_SE_
                                        ; -- End function
	.set _ZN9rocsparseL21csr2bsr_65_inf_kernelILj32E21rocsparse_complex_numIdEliEEv20rocsparse_direction_T2_S4_S4_S4_S4_S4_21rocsparse_index_base_PKT0_PKT1_PKS4_S5_PS6_PS9_PS4_SF_SG_SE_.num_vgpr, 42
	.set _ZN9rocsparseL21csr2bsr_65_inf_kernelILj32E21rocsparse_complex_numIdEliEEv20rocsparse_direction_T2_S4_S4_S4_S4_S4_21rocsparse_index_base_PKT0_PKT1_PKS4_S5_PS6_PS9_PS4_SF_SG_SE_.num_agpr, 0
	.set _ZN9rocsparseL21csr2bsr_65_inf_kernelILj32E21rocsparse_complex_numIdEliEEv20rocsparse_direction_T2_S4_S4_S4_S4_S4_21rocsparse_index_base_PKT0_PKT1_PKS4_S5_PS6_PS9_PS4_SF_SG_SE_.numbered_sgpr, 36
	.set _ZN9rocsparseL21csr2bsr_65_inf_kernelILj32E21rocsparse_complex_numIdEliEEv20rocsparse_direction_T2_S4_S4_S4_S4_S4_21rocsparse_index_base_PKT0_PKT1_PKS4_S5_PS6_PS9_PS4_SF_SG_SE_.num_named_barrier, 0
	.set _ZN9rocsparseL21csr2bsr_65_inf_kernelILj32E21rocsparse_complex_numIdEliEEv20rocsparse_direction_T2_S4_S4_S4_S4_S4_21rocsparse_index_base_PKT0_PKT1_PKS4_S5_PS6_PS9_PS4_SF_SG_SE_.private_seg_size, 0
	.set _ZN9rocsparseL21csr2bsr_65_inf_kernelILj32E21rocsparse_complex_numIdEliEEv20rocsparse_direction_T2_S4_S4_S4_S4_S4_21rocsparse_index_base_PKT0_PKT1_PKS4_S5_PS6_PS9_PS4_SF_SG_SE_.uses_vcc, 1
	.set _ZN9rocsparseL21csr2bsr_65_inf_kernelILj32E21rocsparse_complex_numIdEliEEv20rocsparse_direction_T2_S4_S4_S4_S4_S4_21rocsparse_index_base_PKT0_PKT1_PKS4_S5_PS6_PS9_PS4_SF_SG_SE_.uses_flat_scratch, 0
	.set _ZN9rocsparseL21csr2bsr_65_inf_kernelILj32E21rocsparse_complex_numIdEliEEv20rocsparse_direction_T2_S4_S4_S4_S4_S4_21rocsparse_index_base_PKT0_PKT1_PKS4_S5_PS6_PS9_PS4_SF_SG_SE_.has_dyn_sized_stack, 0
	.set _ZN9rocsparseL21csr2bsr_65_inf_kernelILj32E21rocsparse_complex_numIdEliEEv20rocsparse_direction_T2_S4_S4_S4_S4_S4_21rocsparse_index_base_PKT0_PKT1_PKS4_S5_PS6_PS9_PS4_SF_SG_SE_.has_recursion, 0
	.set _ZN9rocsparseL21csr2bsr_65_inf_kernelILj32E21rocsparse_complex_numIdEliEEv20rocsparse_direction_T2_S4_S4_S4_S4_S4_21rocsparse_index_base_PKT0_PKT1_PKS4_S5_PS6_PS9_PS4_SF_SG_SE_.has_indirect_call, 0
	.section	.AMDGPU.csdata,"",@progbits
; Kernel info:
; codeLenInByte = 2140
; TotalNumSgprs: 38
; NumVgprs: 42
; ScratchSize: 0
; MemoryBound: 0
; FloatMode: 240
; IeeeMode: 1
; LDSByteSize: 0 bytes/workgroup (compile time only)
; SGPRBlocks: 0
; VGPRBlocks: 2
; NumSGPRsForWavesPerEU: 38
; NumVGPRsForWavesPerEU: 42
; NamedBarCnt: 0
; Occupancy: 16
; WaveLimiterHint : 0
; COMPUTE_PGM_RSRC2:SCRATCH_EN: 0
; COMPUTE_PGM_RSRC2:USER_SGPR: 2
; COMPUTE_PGM_RSRC2:TRAP_HANDLER: 0
; COMPUTE_PGM_RSRC2:TGID_X_EN: 1
; COMPUTE_PGM_RSRC2:TGID_Y_EN: 0
; COMPUTE_PGM_RSRC2:TGID_Z_EN: 0
; COMPUTE_PGM_RSRC2:TIDIG_COMP_CNT: 0
	.section	.text._ZN9rocsparseL35csr2bsr_block_dim_equals_one_kernelILj256E21rocsparse_complex_numIdEilEEvT2_S3_S3_S3_21rocsparse_index_base_PKT0_PKT1_PKS3_S4_PS5_PS8_PS3_,"axG",@progbits,_ZN9rocsparseL35csr2bsr_block_dim_equals_one_kernelILj256E21rocsparse_complex_numIdEilEEvT2_S3_S3_S3_21rocsparse_index_base_PKT0_PKT1_PKS3_S4_PS5_PS8_PS3_,comdat
	.globl	_ZN9rocsparseL35csr2bsr_block_dim_equals_one_kernelILj256E21rocsparse_complex_numIdEilEEvT2_S3_S3_S3_21rocsparse_index_base_PKT0_PKT1_PKS3_S4_PS5_PS8_PS3_ ; -- Begin function _ZN9rocsparseL35csr2bsr_block_dim_equals_one_kernelILj256E21rocsparse_complex_numIdEilEEvT2_S3_S3_S3_21rocsparse_index_base_PKT0_PKT1_PKS3_S4_PS5_PS8_PS3_
	.p2align	8
	.type	_ZN9rocsparseL35csr2bsr_block_dim_equals_one_kernelILj256E21rocsparse_complex_numIdEilEEvT2_S3_S3_S3_21rocsparse_index_base_PKT0_PKT1_PKS3_S4_PS5_PS8_PS3_,@function
_ZN9rocsparseL35csr2bsr_block_dim_equals_one_kernelILj256E21rocsparse_complex_numIdEilEEvT2_S3_S3_S3_21rocsparse_index_base_PKT0_PKT1_PKS3_S4_PS5_PS8_PS3_: ; @_ZN9rocsparseL35csr2bsr_block_dim_equals_one_kernelILj256E21rocsparse_complex_numIdEilEEvT2_S3_S3_S3_21rocsparse_index_base_PKT0_PKT1_PKS3_S4_PS5_PS8_PS3_
; %bb.0:
	s_clause 0x1
	s_load_b64 s[2:3], s[0:1], 0x0
	s_load_b128 s[4:7], s[0:1], 0x28
	s_bfe_u32 s8, ttmp6, 0x4000c
	s_and_b32 s9, ttmp6, 15
	s_add_co_i32 s8, s8, 1
	s_getreg_b32 s10, hwreg(HW_REG_IB_STS2, 6, 4)
	s_mul_i32 s8, ttmp9, s8
	s_delay_alu instid0(SALU_CYCLE_1) | instskip(SKIP_2) | instid1(SALU_CYCLE_1)
	s_add_co_i32 s9, s9, s8
	s_cmp_eq_u32 s10, 0
	s_cselect_b32 s8, ttmp9, s9
	v_lshl_or_b32 v0, s8, 8, v0
	s_wait_kmcnt 0x0
	s_lshl_b64 s[2:3], s[2:3], 2
	s_delay_alu instid0(SALU_CYCLE_1)
	s_add_nc_u64 s[2:3], s[6:7], s[2:3]
	s_clause 0x1
	s_load_b32 s9, s[2:3], 0x0
	s_load_b32 s10, s[6:7], 0x0
	s_wait_xcnt 0x0
	s_mov_b32 s3, 0
	s_mov_b32 s2, exec_lo
	s_wait_kmcnt 0x0
	s_sub_co_i32 s11, s9, s10
	s_delay_alu instid0(SALU_CYCLE_1)
	v_cmpx_gt_i32_e64 s11, v0
	s_cbranch_execz .LBB160_3
; %bb.1:
	s_clause 0x3
	s_load_b96 s[8:10], s[0:1], 0x38
	s_load_b64 s[6:7], s[0:1], 0x48
	s_load_b32 s2, s[0:1], 0x20
	s_load_b96 s[12:14], s[0:1], 0x58
	s_wait_xcnt 0x0
	s_mov_b32 s1, s3
	s_wait_kmcnt 0x0
	s_mov_b32 s0, s10
	s_delay_alu instid0(SALU_CYCLE_1)
	s_sub_nc_u64 s[0:1], s[0:1], s[2:3]
	s_lshl_b32 s2, s14, 8
.LBB160_2:                              ; =>This Inner Loop Header: Depth=1
	global_load_b64 v[2:3], v0, s[8:9] scale_offset
	s_wait_loadcnt 0x0
	v_add_nc_u64_e32 v[2:3], s[0:1], v[2:3]
	s_clause 0x1
	global_store_b64 v0, v[2:3], s[12:13] scale_offset
	global_load_b128 v[2:5], v0, s[4:5] scale_offset
	s_wait_loadcnt 0x0
	global_store_b128 v0, v[2:5], s[6:7] scale_offset
	s_wait_xcnt 0x0
	v_add_nc_u32_e32 v0, s2, v0
	s_delay_alu instid0(VALU_DEP_1) | instskip(SKIP_1) | instid1(SALU_CYCLE_1)
	v_cmp_le_i32_e32 vcc_lo, s11, v0
	s_or_b32 s3, vcc_lo, s3
	s_and_not1_b32 exec_lo, exec_lo, s3
	s_cbranch_execnz .LBB160_2
.LBB160_3:
	s_endpgm
	.section	.rodata,"a",@progbits
	.p2align	6, 0x0
	.amdhsa_kernel _ZN9rocsparseL35csr2bsr_block_dim_equals_one_kernelILj256E21rocsparse_complex_numIdEilEEvT2_S3_S3_S3_21rocsparse_index_base_PKT0_PKT1_PKS3_S4_PS5_PS8_PS3_
		.amdhsa_group_segment_fixed_size 0
		.amdhsa_private_segment_fixed_size 0
		.amdhsa_kernarg_size 352
		.amdhsa_user_sgpr_count 2
		.amdhsa_user_sgpr_dispatch_ptr 0
		.amdhsa_user_sgpr_queue_ptr 0
		.amdhsa_user_sgpr_kernarg_segment_ptr 1
		.amdhsa_user_sgpr_dispatch_id 0
		.amdhsa_user_sgpr_kernarg_preload_length 0
		.amdhsa_user_sgpr_kernarg_preload_offset 0
		.amdhsa_user_sgpr_private_segment_size 0
		.amdhsa_wavefront_size32 1
		.amdhsa_uses_dynamic_stack 0
		.amdhsa_enable_private_segment 0
		.amdhsa_system_sgpr_workgroup_id_x 1
		.amdhsa_system_sgpr_workgroup_id_y 0
		.amdhsa_system_sgpr_workgroup_id_z 0
		.amdhsa_system_sgpr_workgroup_info 0
		.amdhsa_system_vgpr_workitem_id 0
		.amdhsa_next_free_vgpr 6
		.amdhsa_next_free_sgpr 15
		.amdhsa_named_barrier_count 0
		.amdhsa_reserve_vcc 1
		.amdhsa_float_round_mode_32 0
		.amdhsa_float_round_mode_16_64 0
		.amdhsa_float_denorm_mode_32 3
		.amdhsa_float_denorm_mode_16_64 3
		.amdhsa_fp16_overflow 0
		.amdhsa_memory_ordered 1
		.amdhsa_forward_progress 1
		.amdhsa_inst_pref_size 3
		.amdhsa_round_robin_scheduling 0
		.amdhsa_exception_fp_ieee_invalid_op 0
		.amdhsa_exception_fp_denorm_src 0
		.amdhsa_exception_fp_ieee_div_zero 0
		.amdhsa_exception_fp_ieee_overflow 0
		.amdhsa_exception_fp_ieee_underflow 0
		.amdhsa_exception_fp_ieee_inexact 0
		.amdhsa_exception_int_div_zero 0
	.end_amdhsa_kernel
	.section	.text._ZN9rocsparseL35csr2bsr_block_dim_equals_one_kernelILj256E21rocsparse_complex_numIdEilEEvT2_S3_S3_S3_21rocsparse_index_base_PKT0_PKT1_PKS3_S4_PS5_PS8_PS3_,"axG",@progbits,_ZN9rocsparseL35csr2bsr_block_dim_equals_one_kernelILj256E21rocsparse_complex_numIdEilEEvT2_S3_S3_S3_21rocsparse_index_base_PKT0_PKT1_PKS3_S4_PS5_PS8_PS3_,comdat
.Lfunc_end160:
	.size	_ZN9rocsparseL35csr2bsr_block_dim_equals_one_kernelILj256E21rocsparse_complex_numIdEilEEvT2_S3_S3_S3_21rocsparse_index_base_PKT0_PKT1_PKS3_S4_PS5_PS8_PS3_, .Lfunc_end160-_ZN9rocsparseL35csr2bsr_block_dim_equals_one_kernelILj256E21rocsparse_complex_numIdEilEEvT2_S3_S3_S3_21rocsparse_index_base_PKT0_PKT1_PKS3_S4_PS5_PS8_PS3_
                                        ; -- End function
	.set _ZN9rocsparseL35csr2bsr_block_dim_equals_one_kernelILj256E21rocsparse_complex_numIdEilEEvT2_S3_S3_S3_21rocsparse_index_base_PKT0_PKT1_PKS3_S4_PS5_PS8_PS3_.num_vgpr, 6
	.set _ZN9rocsparseL35csr2bsr_block_dim_equals_one_kernelILj256E21rocsparse_complex_numIdEilEEvT2_S3_S3_S3_21rocsparse_index_base_PKT0_PKT1_PKS3_S4_PS5_PS8_PS3_.num_agpr, 0
	.set _ZN9rocsparseL35csr2bsr_block_dim_equals_one_kernelILj256E21rocsparse_complex_numIdEilEEvT2_S3_S3_S3_21rocsparse_index_base_PKT0_PKT1_PKS3_S4_PS5_PS8_PS3_.numbered_sgpr, 15
	.set _ZN9rocsparseL35csr2bsr_block_dim_equals_one_kernelILj256E21rocsparse_complex_numIdEilEEvT2_S3_S3_S3_21rocsparse_index_base_PKT0_PKT1_PKS3_S4_PS5_PS8_PS3_.num_named_barrier, 0
	.set _ZN9rocsparseL35csr2bsr_block_dim_equals_one_kernelILj256E21rocsparse_complex_numIdEilEEvT2_S3_S3_S3_21rocsparse_index_base_PKT0_PKT1_PKS3_S4_PS5_PS8_PS3_.private_seg_size, 0
	.set _ZN9rocsparseL35csr2bsr_block_dim_equals_one_kernelILj256E21rocsparse_complex_numIdEilEEvT2_S3_S3_S3_21rocsparse_index_base_PKT0_PKT1_PKS3_S4_PS5_PS8_PS3_.uses_vcc, 1
	.set _ZN9rocsparseL35csr2bsr_block_dim_equals_one_kernelILj256E21rocsparse_complex_numIdEilEEvT2_S3_S3_S3_21rocsparse_index_base_PKT0_PKT1_PKS3_S4_PS5_PS8_PS3_.uses_flat_scratch, 0
	.set _ZN9rocsparseL35csr2bsr_block_dim_equals_one_kernelILj256E21rocsparse_complex_numIdEilEEvT2_S3_S3_S3_21rocsparse_index_base_PKT0_PKT1_PKS3_S4_PS5_PS8_PS3_.has_dyn_sized_stack, 0
	.set _ZN9rocsparseL35csr2bsr_block_dim_equals_one_kernelILj256E21rocsparse_complex_numIdEilEEvT2_S3_S3_S3_21rocsparse_index_base_PKT0_PKT1_PKS3_S4_PS5_PS8_PS3_.has_recursion, 0
	.set _ZN9rocsparseL35csr2bsr_block_dim_equals_one_kernelILj256E21rocsparse_complex_numIdEilEEvT2_S3_S3_S3_21rocsparse_index_base_PKT0_PKT1_PKS3_S4_PS5_PS8_PS3_.has_indirect_call, 0
	.section	.AMDGPU.csdata,"",@progbits
; Kernel info:
; codeLenInByte = 300
; TotalNumSgprs: 17
; NumVgprs: 6
; ScratchSize: 0
; MemoryBound: 0
; FloatMode: 240
; IeeeMode: 1
; LDSByteSize: 0 bytes/workgroup (compile time only)
; SGPRBlocks: 0
; VGPRBlocks: 0
; NumSGPRsForWavesPerEU: 17
; NumVGPRsForWavesPerEU: 6
; NamedBarCnt: 0
; Occupancy: 16
; WaveLimiterHint : 0
; COMPUTE_PGM_RSRC2:SCRATCH_EN: 0
; COMPUTE_PGM_RSRC2:USER_SGPR: 2
; COMPUTE_PGM_RSRC2:TRAP_HANDLER: 0
; COMPUTE_PGM_RSRC2:TGID_X_EN: 1
; COMPUTE_PGM_RSRC2:TGID_Y_EN: 0
; COMPUTE_PGM_RSRC2:TGID_Z_EN: 0
; COMPUTE_PGM_RSRC2:TIDIG_COMP_CNT: 0
	.section	.text._ZN9rocsparseL42csr2bsr_wavefront_per_row_multipass_kernelILj256ELj16ELj4E21rocsparse_complex_numIdEilEEv20rocsparse_direction_T4_S4_S4_S4_S4_21rocsparse_index_base_PKT2_PKT3_PKS4_S5_PS6_PS9_PS4_,"axG",@progbits,_ZN9rocsparseL42csr2bsr_wavefront_per_row_multipass_kernelILj256ELj16ELj4E21rocsparse_complex_numIdEilEEv20rocsparse_direction_T4_S4_S4_S4_S4_21rocsparse_index_base_PKT2_PKT3_PKS4_S5_PS6_PS9_PS4_,comdat
	.globl	_ZN9rocsparseL42csr2bsr_wavefront_per_row_multipass_kernelILj256ELj16ELj4E21rocsparse_complex_numIdEilEEv20rocsparse_direction_T4_S4_S4_S4_S4_21rocsparse_index_base_PKT2_PKT3_PKS4_S5_PS6_PS9_PS4_ ; -- Begin function _ZN9rocsparseL42csr2bsr_wavefront_per_row_multipass_kernelILj256ELj16ELj4E21rocsparse_complex_numIdEilEEv20rocsparse_direction_T4_S4_S4_S4_S4_21rocsparse_index_base_PKT2_PKT3_PKS4_S5_PS6_PS9_PS4_
	.p2align	8
	.type	_ZN9rocsparseL42csr2bsr_wavefront_per_row_multipass_kernelILj256ELj16ELj4E21rocsparse_complex_numIdEilEEv20rocsparse_direction_T4_S4_S4_S4_S4_21rocsparse_index_base_PKT2_PKT3_PKS4_S5_PS6_PS9_PS4_,@function
_ZN9rocsparseL42csr2bsr_wavefront_per_row_multipass_kernelILj256ELj16ELj4E21rocsparse_complex_numIdEilEEv20rocsparse_direction_T4_S4_S4_S4_S4_21rocsparse_index_base_PKT2_PKT3_PKS4_S5_PS6_PS9_PS4_: ; @_ZN9rocsparseL42csr2bsr_wavefront_per_row_multipass_kernelILj256ELj16ELj4E21rocsparse_complex_numIdEilEEv20rocsparse_direction_T4_S4_S4_S4_S4_21rocsparse_index_base_PKT2_PKT3_PKS4_S5_PS6_PS9_PS4_
; %bb.0:
	s_bfe_u32 s2, ttmp6, 0x4000c
	s_clause 0x1
	s_load_b96 s[8:10], s[0:1], 0x28
	s_load_b64 s[14:15], s[0:1], 0x40
	s_add_co_i32 s2, s2, 1
	s_and_b32 s3, ttmp6, 15
	s_mul_i32 s2, ttmp9, s2
	s_getreg_b32 s4, hwreg(HW_REG_IB_STS2, 6, 4)
	s_add_co_i32 s3, s3, s2
	s_cmp_eq_u32 s4, 0
	v_dual_mov_b32 v25, 0 :: v_dual_lshrrev_b32 v24, 4, v0
	s_cselect_b32 s12, ttmp9, s3
	v_bfe_u32 v2, v0, 2, 2
	s_ashr_i32 s13, s12, 31
	v_mov_b32_e32 v16, 0
	s_lshl_b64 s[2:3], s[12:13], 4
	s_delay_alu instid0(SALU_CYCLE_1) | instskip(SKIP_2) | instid1(VALU_DEP_1)
	v_dual_mov_b32 v3, v25 :: v_dual_bitop2_b32 v1, s2, v24 bitop3:0x54
	s_load_b128 s[4:7], s[0:1], 0x18
	s_wait_kmcnt 0x0
	v_mad_nc_u64_u32 v[4:5], v1, s8, v[2:3]
	s_delay_alu instid0(VALU_DEP_1) | instskip(SKIP_1) | instid1(VALU_DEP_1)
	v_mad_u32 v5, s3, s8, v5
	s_load_b64 s[2:3], s[0:1], 0x8
	v_mad_u32 v5, v1, s9, v5
	s_wait_kmcnt 0x0
	s_delay_alu instid0(VALU_DEP_1) | instskip(SKIP_2) | instid1(SALU_CYCLE_1)
	v_cmp_gt_i64_e32 vcc_lo, s[2:3], v[4:5]
	v_cmp_gt_i64_e64 s2, s[8:9], v[2:3]
	s_and_b32 s3, s2, vcc_lo
	s_and_saveexec_b32 s11, s3
	s_cbranch_execz .LBB161_2
; %bb.1:
	v_lshl_add_u64 v[6:7], v[4:5], 2, s[14:15]
	global_load_b32 v1, v[6:7], off
	s_wait_loadcnt 0x0
	v_subrev_nc_u32_e32 v16, s10, v1
.LBB161_2:
	s_or_b32 exec_lo, exec_lo, s11
	s_and_saveexec_b32 s11, s3
	s_cbranch_execz .LBB161_4
; %bb.3:
	v_lshl_add_u64 v[4:5], v[4:5], 2, s[14:15]
	global_load_b32 v1, v[4:5], off offset:4
	s_wait_loadcnt 0x0
	v_subrev_nc_u32_e32 v25, s10, v1
.LBB161_4:
	s_or_b32 exec_lo, exec_lo, s11
	s_load_b32 s22, s[0:1], 0x50
	v_mov_b32_e32 v7, 0
	v_lshl_or_b32 v6, s12, 4, v24
	s_mov_b32 s3, exec_lo
	s_delay_alu instid0(VALU_DEP_2) | instskip(NEXT) | instid1(VALU_DEP_2)
	v_mov_b32_e32 v4, v7
	v_cmpx_gt_i64_e64 s[4:5], v[6:7]
	s_cbranch_execz .LBB161_6
; %bb.5:
	s_load_b64 s[4:5], s[0:1], 0x60
	s_wait_kmcnt 0x0
	v_lshl_add_u64 v[4:5], v[6:7], 2, s[4:5]
	global_load_b32 v1, v[4:5], off
	s_wait_loadcnt 0x0
	v_subrev_nc_u32_e32 v4, s22, v1
.LBB161_6:
	s_or_b32 exec_lo, exec_lo, s3
	v_cmp_lt_i64_e64 s3, s[6:7], 1
	s_and_b32 vcc_lo, exec_lo, s3
	s_cbranch_vccnz .LBB161_25
; %bb.7:
	v_dual_mov_b32 v6, 0 :: v_dual_bitop2_b32 v8, 3, v0 bitop3:0x40
	v_mul_u64_e32 v[10:11], s[8:9], v[2:3]
	s_clause 0x3
	s_load_b64 s[14:15], s[0:1], 0x48
	s_load_b64 s[18:19], s[0:1], 0x58
	;; [unrolled: 1-line block ×3, first 2 shown]
	s_load_b32 s3, s[0:1], 0x0
	v_mbcnt_lo_u32_b32 v5, -1, 0
	v_dual_mov_b32 v9, v6 :: v_dual_lshlrev_b32 v3, 6, v2
	v_and_b32_e32 v1, 0x3f0, v0
	s_delay_alu instid0(VALU_DEP_3) | instskip(NEXT) | instid1(VALU_DEP_3)
	v_dual_lshlrev_b32 v18, 4, v8 :: v_dual_bitop2_b32 v7, 2, v5 bitop3:0x14
	v_mul_u64_e32 v[14:15], s[8:9], v[8:9]
	v_xor_b32_e32 v21, 8, v5
	s_load_b64 s[4:5], s[0:1], 0x68
	v_lshl_or_b32 v26, v1, 4, v3
	v_dual_lshlrev_b32 v20, 2, v5 :: v_dual_bitop2_b32 v17, 1, v5 bitop3:0x14
	v_mov_b32_e32 v1, v6
	v_cmp_gt_i32_e32 vcc_lo, 32, v7
	v_xor_b32_e32 v22, 4, v5
	s_wait_xcnt 0x0
	v_cmp_gt_i32_e64 s0, 32, v21
	v_dual_lshlrev_b32 v2, 4, v2 :: v_dual_mov_b32 v0, 0
	v_dual_mov_b32 v3, v6 :: v_dual_mov_b32 v19, v6
	v_cndmask_b32_e32 v7, v5, v7, vcc_lo
	v_cmp_gt_i32_e32 vcc_lo, 32, v17
	v_dual_cndmask_b32 v21, v5, v21, s0 :: v_dual_bitop2_b32 v28, 12, v20 bitop3:0x54
	v_cmp_gt_i32_e64 s0, 32, v22
	v_dual_cndmask_b32 v17, v5, v17, vcc_lo :: v_dual_bitop2_b32 v27, v26, v18 bitop3:0x54
	v_cmp_gt_u64_e32 vcc_lo, s[8:9], v[8:9]
	s_wait_kmcnt 0x0
	s_cmp_eq_u32 s3, 0
	v_dual_cndmask_b32 v5, v5, v22, s0 :: v_dual_bitop2_b32 v9, 60, v20 bitop3:0x54
	v_lshl_add_u64 v[10:11], v[10:11], 4, s[18:19]
	v_mov_b64_e32 v[12:13], 0
	s_cselect_b32 s0, -1, 0
	v_dual_lshlrev_b32 v29, 2, v7 :: v_dual_lshlrev_b32 v30, 2, v17
	s_delay_alu instid0(VALU_DEP_3)
	v_add_nc_u64_e32 v[10:11], v[10:11], v[18:19]
	v_mov_b32_e32 v33, 1
	v_lshl_add_u64 v[14:15], v[14:15], 4, s[18:19]
	s_mov_b32 s1, 0
	s_mul_u64 s[12:13], s[8:9], s[8:9]
	s_mov_b32 s11, s1
	s_and_b32 s23, s2, vcc_lo
	v_add_nc_u64_e32 v[2:3], v[14:15], v[2:3]
	v_lshlrev_b32_e32 v31, 2, v21
	v_dual_mov_b32 v5, 0 :: v_dual_lshlrev_b32 v32, 2, v5
	s_mov_b64 s[2:3], 0xffffffff
	s_ashr_i32 s18, s9, 31
	s_sub_co_i32 s24, 0, s8
	s_delay_alu instid0(VALU_DEP_3)
	v_dual_cndmask_b32 v11, v3, v11, s0 :: v_dual_cndmask_b32 v10, v2, v10, s0
	v_dual_mov_b32 v2, v6 :: v_dual_mov_b32 v3, v6
	s_mov_b32 s25, 0
	s_branch .LBB161_10
.LBB161_8:                              ;   in Loop: Header=BB161_10 Depth=1
	s_wait_xcnt 0x0
	s_or_b32 exec_lo, exec_lo, s19
	v_mov_b32_e32 v7, 1
.LBB161_9:                              ;   in Loop: Header=BB161_10 Depth=1
	s_or_b32 exec_lo, exec_lo, s0
	ds_bpermute_b32 v12, v31, v14
	ds_bpermute_b32 v13, v31, v15
	v_add_nc_u32_e32 v4, v7, v4
	s_wait_storecnt_dscnt 0x0
	v_min_i64 v[12:13], v[12:13], v[14:15]
	ds_bpermute_b32 v14, v32, v12
	ds_bpermute_b32 v15, v32, v13
	s_wait_dscnt 0x0
	v_min_i64 v[12:13], v[14:15], v[12:13]
	ds_bpermute_b32 v14, v29, v12
	ds_bpermute_b32 v15, v29, v13
	s_wait_dscnt 0x0
	;; [unrolled: 4-line block ×3, first 2 shown]
	v_min_i64 v[12:13], v[14:15], v[12:13]
	ds_bpermute_b32 v12, v9, v12
	s_wait_dscnt 0x0
	v_dual_ashrrev_i32 v13, 31, v12 :: v_dual_mov_b32 v5, v12
	s_delay_alu instid0(VALU_DEP_1) | instskip(SKIP_1) | instid1(SALU_CYCLE_1)
	v_cmp_le_i64_e32 vcc_lo, s[6:7], v[12:13]
	s_or_b32 s25, vcc_lo, s25
	s_and_not1_b32 exec_lo, exec_lo, s25
	s_cbranch_execz .LBB161_25
.LBB161_10:                             ; =>This Loop Header: Depth=1
                                        ;     Child Loop BB161_13 Depth 2
	v_mov_b64_e32 v[14:15], s[6:7]
	v_dual_mov_b32 v7, v25 :: v_dual_add_nc_u32 v16, v16, v8
	s_mov_b32 s26, exec_lo
	ds_store_b8 v24, v6 offset:4096
	ds_store_b128 v27, v[0:3]
	s_wait_dscnt 0x0
	v_cmpx_lt_i32_e64 v16, v25
	s_cbranch_execz .LBB161_22
; %bb.11:                               ;   in Loop: Header=BB161_10 Depth=1
	v_mul_u64_e32 v[18:19], s[8:9], v[12:13]
	v_mov_b64_e32 v[14:15], s[6:7]
	v_mov_b32_e32 v19, v25
	s_mov_b32 s27, 0
	s_branch .LBB161_13
.LBB161_12:                             ;   in Loop: Header=BB161_13 Depth=2
	s_wait_xcnt 0x0
	s_or_b32 exec_lo, exec_lo, s0
	v_dual_mov_b32 v19, v7 :: v_dual_add_nc_u32 v16, 4, v16
	s_xor_b32 s19, vcc_lo, -1
	s_delay_alu instid0(VALU_DEP_1) | instskip(SKIP_1) | instid1(SALU_CYCLE_1)
	v_cmp_ge_i32_e64 s0, v16, v25
	s_or_b32 s0, s19, s0
	s_and_b32 s0, exec_lo, s0
	s_delay_alu instid0(SALU_CYCLE_1) | instskip(NEXT) | instid1(SALU_CYCLE_1)
	s_or_b32 s27, s0, s27
	s_and_not1_b32 exec_lo, exec_lo, s27
	s_cbranch_execz .LBB161_21
.LBB161_13:                             ;   Parent Loop BB161_10 Depth=1
                                        ; =>  This Inner Loop Header: Depth=2
	global_load_b64 v[20:21], v16, s[14:15] scale_offset
                                        ; implicit-def: $vgpr22_vgpr23
	s_mov_b32 s0, exec_lo
	s_wait_loadcnt 0x0
	v_sub_nc_u64_e64 v[20:21], v[20:21], s[10:11]
	s_delay_alu instid0(VALU_DEP_1) | instskip(SKIP_1) | instid1(VALU_DEP_1)
	v_or_b32_e32 v7, s9, v21
	s_wait_xcnt 0x0
	v_cmpx_ne_u64_e32 0, v[6:7]
	s_xor_b32 s28, exec_lo, s0
	s_cbranch_execz .LBB161_15
; %bb.14:                               ;   in Loop: Header=BB161_13 Depth=2
	s_mov_b32 s19, s18
	v_dual_mov_b32 v37, v6 :: v_dual_ashrrev_i32 v22, 31, v21
	s_add_nc_u64 s[20:21], s[8:9], s[18:19]
	v_mov_b32_e32 v41, v6
	s_xor_b64 s[20:21], s[20:21], s[18:19]
	s_delay_alu instid0(VALU_DEP_2)
	v_mov_b32_e32 v23, v22
	s_cvt_f32_u32 s0, s20
	s_cvt_f32_u32 s19, s21
	s_sub_nc_u64 s[34:35], 0, s[20:21]
	v_mov_b32_e32 v45, v6
	v_add_nc_u64_e32 v[34:35], v[20:21], v[22:23]
	s_fmamk_f32 s0, s19, 0x4f800000, s0
	s_delay_alu instid0(SALU_CYCLE_3) | instskip(NEXT) | instid1(VALU_DEP_1)
	v_s_rcp_f32 s0, s0
	v_xor_b32_e32 v40, v35, v22
	s_delay_alu instid0(VALU_DEP_2) | instskip(SKIP_1) | instid1(TRANS32_DEP_1)
	v_xor_b32_e32 v36, v34, v22
	v_xor_b32_e32 v22, s18, v22
	s_mul_f32 s0, s0, 0x5f7ffffc
	s_delay_alu instid0(SALU_CYCLE_3) | instskip(NEXT) | instid1(SALU_CYCLE_3)
	s_mul_f32 s19, s0, 0x2f800000
	s_trunc_f32 s19, s19
	s_delay_alu instid0(SALU_CYCLE_3) | instskip(SKIP_1) | instid1(SALU_CYCLE_2)
	s_fmamk_f32 s0, s19, 0xcf800000, s0
	s_cvt_u32_f32 s31, s19
	s_cvt_u32_f32 s30, s0
	s_delay_alu instid0(SALU_CYCLE_3) | instskip(NEXT) | instid1(SALU_CYCLE_1)
	s_mul_u64 s[36:37], s[34:35], s[30:31]
	s_mul_hi_u32 s39, s30, s37
	s_mul_i32 s38, s30, s37
	s_mul_hi_u32 s0, s30, s36
	s_mul_i32 s29, s31, s36
	s_add_nc_u64 s[38:39], s[0:1], s[38:39]
	s_mul_hi_u32 s19, s31, s36
	s_mul_hi_u32 s33, s31, s37
	s_add_co_u32 s0, s38, s29
	s_add_co_ci_u32 s0, s39, s19
	s_mul_i32 s36, s31, s37
	s_add_co_ci_u32 s37, s33, 0
	s_delay_alu instid0(SALU_CYCLE_1) | instskip(NEXT) | instid1(SALU_CYCLE_1)
	s_add_nc_u64 s[36:37], s[0:1], s[36:37]
	s_add_co_u32 s30, s30, s36
	s_cselect_b32 s0, -1, 0
	s_delay_alu instid0(SALU_CYCLE_1) | instskip(SKIP_1) | instid1(SALU_CYCLE_1)
	s_cmp_lg_u32 s0, 0
	s_add_co_ci_u32 s31, s31, s37
	s_mul_u64 s[34:35], s[34:35], s[30:31]
	s_delay_alu instid0(SALU_CYCLE_1)
	s_mul_hi_u32 s37, s30, s35
	s_mul_i32 s36, s30, s35
	s_mul_hi_u32 s0, s30, s34
	s_mul_i32 s29, s31, s34
	s_add_nc_u64 s[36:37], s[0:1], s[36:37]
	s_mul_hi_u32 s19, s31, s34
	s_mul_hi_u32 s33, s31, s35
	s_add_co_u32 s0, s36, s29
	s_add_co_ci_u32 s0, s37, s19
	s_mul_i32 s34, s31, s35
	s_add_co_ci_u32 s35, s33, 0
	s_delay_alu instid0(SALU_CYCLE_1) | instskip(NEXT) | instid1(SALU_CYCLE_1)
	s_add_nc_u64 s[34:35], s[0:1], s[34:35]
	s_add_co_u32 s30, s30, s34
	s_cselect_b32 s0, -1, 0
	v_mul_hi_u32 v44, v36, s30
	s_cmp_lg_u32 s0, 0
	s_add_co_ci_u32 s0, s31, s35
	s_and_b64 s[34:35], s[30:31], s[2:3]
	v_mul_u64_e32 v[38:39], s[0:1], v[36:37]
	v_mul_u64_e32 v[34:35], s[34:35], v[40:41]
	;; [unrolled: 1-line block ×3, first 2 shown]
	s_delay_alu instid0(VALU_DEP_3) | instskip(NEXT) | instid1(VALU_DEP_1)
	v_add_nc_u64_e32 v[38:39], v[44:45], v[38:39]
	v_add_co_u32 v7, vcc_lo, v38, v34
	s_delay_alu instid0(VALU_DEP_2) | instskip(NEXT) | instid1(VALU_DEP_4)
	v_add_co_ci_u32_e32 v44, vcc_lo, v39, v35, vcc_lo
	v_add_co_ci_u32_e32 v43, vcc_lo, 0, v43, vcc_lo
	s_delay_alu instid0(VALU_DEP_1) | instskip(NEXT) | instid1(VALU_DEP_1)
	v_add_nc_u64_e32 v[34:35], v[44:45], v[42:43]
	v_mul_u64_e32 v[38:39], s[20:21], v[34:35]
	s_delay_alu instid0(VALU_DEP_1) | instskip(NEXT) | instid1(VALU_DEP_2)
	v_sub_nc_u32_e32 v7, v40, v39
	v_sub_co_u32 v17, vcc_lo, v36, v38
	s_delay_alu instid0(VALU_DEP_1) | instskip(NEXT) | instid1(VALU_DEP_3)
	v_sub_co_ci_u32_e64 v23, null, v40, v39, vcc_lo
	v_subrev_co_ci_u32_e64 v7, null, s21, v7, vcc_lo
	s_delay_alu instid0(VALU_DEP_3) | instskip(SKIP_1) | instid1(VALU_DEP_3)
	v_sub_co_u32 v21, s0, v17, s20
	v_add_nc_u64_e32 v[38:39], 1, v[34:35]
	v_subrev_co_ci_u32_e64 v7, null, 0, v7, s0
	s_delay_alu instid0(VALU_DEP_3) | instskip(SKIP_1) | instid1(VALU_DEP_3)
	v_cmp_le_u32_e32 vcc_lo, s20, v21
	v_cndmask_b32_e64 v21, 0, -1, vcc_lo
	v_cmp_le_u32_e32 vcc_lo, s21, v7
	v_cndmask_b32_e64 v36, 0, -1, vcc_lo
	;; [unrolled: 2-line block ×4, first 2 shown]
	v_cmp_eq_u32_e32 vcc_lo, s21, v7
	v_cndmask_b32_e32 v7, v36, v21, vcc_lo
	v_cmp_eq_u32_e32 vcc_lo, s21, v23
	v_add_nc_u64_e32 v[36:37], 2, v[34:35]
	v_dual_mov_b32 v23, v22 :: v_dual_cndmask_b32 v17, v40, v17, vcc_lo
	s_delay_alu instid0(VALU_DEP_4) | instskip(NEXT) | instid1(VALU_DEP_2)
	v_cmp_ne_u32_e32 vcc_lo, 0, v7
	v_cmp_ne_u32_e64 s0, 0, v17
	s_delay_alu instid0(VALU_DEP_4) | instskip(NEXT) | instid1(VALU_DEP_1)
	v_dual_cndmask_b32 v7, v39, v37, vcc_lo :: v_dual_cndmask_b32 v17, v38, v36, vcc_lo
	v_dual_cndmask_b32 v7, v35, v7, s0 :: v_dual_cndmask_b32 v17, v34, v17, s0
	s_delay_alu instid0(VALU_DEP_1) | instskip(NEXT) | instid1(VALU_DEP_2)
	v_xor_b32_e32 v35, v7, v22
	v_xor_b32_e32 v34, v17, v22
	s_delay_alu instid0(VALU_DEP_1)
	v_sub_nc_u64_e32 v[22:23], v[34:35], v[22:23]
.LBB161_15:                             ;   in Loop: Header=BB161_13 Depth=2
	s_and_not1_saveexec_b32 s0, s28
	s_cbranch_execz .LBB161_17
; %bb.16:                               ;   in Loop: Header=BB161_13 Depth=2
	v_cvt_f32_u32_e32 v7, s8
	v_mov_b32_e32 v23, v6
	s_delay_alu instid0(VALU_DEP_2) | instskip(SKIP_1) | instid1(TRANS32_DEP_1)
	v_rcp_iflag_f32_e32 v7, v7
	v_nop
	v_mul_f32_e32 v7, 0x4f7ffffe, v7
	s_delay_alu instid0(VALU_DEP_1) | instskip(NEXT) | instid1(VALU_DEP_1)
	v_cvt_u32_f32_e32 v7, v7
	v_mul_lo_u32 v17, s24, v7
	s_delay_alu instid0(VALU_DEP_1) | instskip(NEXT) | instid1(VALU_DEP_1)
	v_mul_hi_u32 v17, v7, v17
	v_add_nc_u32_e32 v7, v7, v17
	s_delay_alu instid0(VALU_DEP_1) | instskip(NEXT) | instid1(VALU_DEP_1)
	v_mul_hi_u32 v7, v20, v7
	v_mul_lo_u32 v17, v7, s8
	s_delay_alu instid0(VALU_DEP_1) | instskip(NEXT) | instid1(VALU_DEP_1)
	v_sub_nc_u32_e32 v17, v20, v17
	v_subrev_nc_u32_e32 v22, s8, v17
	v_cmp_le_u32_e32 vcc_lo, s8, v17
	s_delay_alu instid0(VALU_DEP_2) | instskip(NEXT) | instid1(VALU_DEP_1)
	v_dual_add_nc_u32 v21, 1, v7 :: v_dual_cndmask_b32 v17, v17, v22, vcc_lo
	v_cndmask_b32_e32 v7, v7, v21, vcc_lo
	s_delay_alu instid0(VALU_DEP_2) | instskip(NEXT) | instid1(VALU_DEP_2)
	v_cmp_le_u32_e32 vcc_lo, s8, v17
	v_add_nc_u32_e32 v21, 1, v7
	s_delay_alu instid0(VALU_DEP_1)
	v_cndmask_b32_e32 v22, v7, v21, vcc_lo
.LBB161_17:                             ;   in Loop: Header=BB161_13 Depth=2
	s_or_b32 exec_lo, exec_lo, s0
	s_delay_alu instid0(VALU_DEP_1) | instskip(SKIP_2) | instid1(SALU_CYCLE_1)
	v_cmp_ne_u64_e64 s0, v[22:23], v[12:13]
	v_cmp_eq_u64_e32 vcc_lo, v[22:23], v[12:13]
	s_and_saveexec_b32 s19, s0
	s_xor_b32 s0, exec_lo, s19
; %bb.18:                               ;   in Loop: Header=BB161_13 Depth=2
	v_min_i64 v[14:15], v[22:23], v[14:15]
                                        ; implicit-def: $vgpr20_vgpr21
                                        ; implicit-def: $vgpr19
; %bb.19:                               ;   in Loop: Header=BB161_13 Depth=2
	s_or_saveexec_b32 s0, s0
	v_mov_b32_e32 v7, v16
	s_xor_b32 exec_lo, exec_lo, s0
	s_cbranch_execz .LBB161_12
; %bb.20:                               ;   in Loop: Header=BB161_13 Depth=2
	v_dual_ashrrev_i32 v17, 31, v16 :: v_dual_sub_nc_u32 v7, v20, v18
	s_delay_alu instid0(VALU_DEP_1) | instskip(NEXT) | instid1(VALU_DEP_2)
	v_lshl_add_u64 v[22:23], v[16:17], 4, s[16:17]
	v_lshl_add_u32 v17, v7, 4, v26
	v_mov_b32_e32 v7, v19
	global_load_b128 v[34:37], v[22:23], off
	ds_store_b8 v24, v33 offset:4096
	s_wait_loadcnt 0x0
	ds_store_2addr_b64 v17, v[34:35], v[36:37] offset1:1
	s_branch .LBB161_12
.LBB161_21:                             ;   in Loop: Header=BB161_10 Depth=1
	s_or_b32 exec_lo, exec_lo, s27
.LBB161_22:                             ;   in Loop: Header=BB161_10 Depth=1
	s_delay_alu instid0(SALU_CYCLE_1)
	s_or_b32 exec_lo, exec_lo, s26
	ds_bpermute_b32 v12, v29, v7
	s_wait_dscnt 0x0
	ds_load_u8 v13, v24 offset:4096
	v_min_i32_e32 v7, v12, v7
	ds_bpermute_b32 v12, v30, v7
	s_wait_dscnt 0x0
	v_min_i32_e32 v7, v12, v7
	ds_bpermute_b32 v16, v28, v7
	v_and_b32_e32 v7, 1, v13
	s_delay_alu instid0(VALU_DEP_1)
	v_cmp_eq_u32_e32 vcc_lo, 1, v7
	v_mov_b32_e32 v7, 0
	s_and_saveexec_b32 s0, vcc_lo
	s_cbranch_execz .LBB161_9
; %bb.23:                               ;   in Loop: Header=BB161_10 Depth=1
	v_add_nc_u32_e32 v12, s22, v5
	s_delay_alu instid0(VALU_DEP_1)
	v_ashrrev_i32_e32 v13, 31, v12
	global_store_b64 v4, v[12:13], s[4:5] scale_offset
	s_wait_xcnt 0x0
	s_and_saveexec_b32 s19, s23
	s_cbranch_execz .LBB161_8
; %bb.24:                               ;   in Loop: Header=BB161_10 Depth=1
	v_ashrrev_i32_e32 v5, 31, v4
	ds_load_2addr_b64 v[18:21], v27 offset1:1
	v_mul_u64_e32 v[12:13], s[12:13], v[4:5]
	s_delay_alu instid0(VALU_DEP_1)
	v_lshl_add_u64 v[12:13], v[12:13], 4, v[10:11]
	s_wait_dscnt 0x0
	global_store_b128 v[12:13], v[18:21], off
	s_branch .LBB161_8
.LBB161_25:
	s_endpgm
	.section	.rodata,"a",@progbits
	.p2align	6, 0x0
	.amdhsa_kernel _ZN9rocsparseL42csr2bsr_wavefront_per_row_multipass_kernelILj256ELj16ELj4E21rocsparse_complex_numIdEilEEv20rocsparse_direction_T4_S4_S4_S4_S4_21rocsparse_index_base_PKT2_PKT3_PKS4_S5_PS6_PS9_PS4_
		.amdhsa_group_segment_fixed_size 4112
		.amdhsa_private_segment_fixed_size 0
		.amdhsa_kernarg_size 112
		.amdhsa_user_sgpr_count 2
		.amdhsa_user_sgpr_dispatch_ptr 0
		.amdhsa_user_sgpr_queue_ptr 0
		.amdhsa_user_sgpr_kernarg_segment_ptr 1
		.amdhsa_user_sgpr_dispatch_id 0
		.amdhsa_user_sgpr_kernarg_preload_length 0
		.amdhsa_user_sgpr_kernarg_preload_offset 0
		.amdhsa_user_sgpr_private_segment_size 0
		.amdhsa_wavefront_size32 1
		.amdhsa_uses_dynamic_stack 0
		.amdhsa_enable_private_segment 0
		.amdhsa_system_sgpr_workgroup_id_x 1
		.amdhsa_system_sgpr_workgroup_id_y 0
		.amdhsa_system_sgpr_workgroup_id_z 0
		.amdhsa_system_sgpr_workgroup_info 0
		.amdhsa_system_vgpr_workitem_id 0
		.amdhsa_next_free_vgpr 46
		.amdhsa_next_free_sgpr 40
		.amdhsa_named_barrier_count 0
		.amdhsa_reserve_vcc 1
		.amdhsa_float_round_mode_32 0
		.amdhsa_float_round_mode_16_64 0
		.amdhsa_float_denorm_mode_32 3
		.amdhsa_float_denorm_mode_16_64 3
		.amdhsa_fp16_overflow 0
		.amdhsa_memory_ordered 1
		.amdhsa_forward_progress 1
		.amdhsa_inst_pref_size 17
		.amdhsa_round_robin_scheduling 0
		.amdhsa_exception_fp_ieee_invalid_op 0
		.amdhsa_exception_fp_denorm_src 0
		.amdhsa_exception_fp_ieee_div_zero 0
		.amdhsa_exception_fp_ieee_overflow 0
		.amdhsa_exception_fp_ieee_underflow 0
		.amdhsa_exception_fp_ieee_inexact 0
		.amdhsa_exception_int_div_zero 0
	.end_amdhsa_kernel
	.section	.text._ZN9rocsparseL42csr2bsr_wavefront_per_row_multipass_kernelILj256ELj16ELj4E21rocsparse_complex_numIdEilEEv20rocsparse_direction_T4_S4_S4_S4_S4_21rocsparse_index_base_PKT2_PKT3_PKS4_S5_PS6_PS9_PS4_,"axG",@progbits,_ZN9rocsparseL42csr2bsr_wavefront_per_row_multipass_kernelILj256ELj16ELj4E21rocsparse_complex_numIdEilEEv20rocsparse_direction_T4_S4_S4_S4_S4_21rocsparse_index_base_PKT2_PKT3_PKS4_S5_PS6_PS9_PS4_,comdat
.Lfunc_end161:
	.size	_ZN9rocsparseL42csr2bsr_wavefront_per_row_multipass_kernelILj256ELj16ELj4E21rocsparse_complex_numIdEilEEv20rocsparse_direction_T4_S4_S4_S4_S4_21rocsparse_index_base_PKT2_PKT3_PKS4_S5_PS6_PS9_PS4_, .Lfunc_end161-_ZN9rocsparseL42csr2bsr_wavefront_per_row_multipass_kernelILj256ELj16ELj4E21rocsparse_complex_numIdEilEEv20rocsparse_direction_T4_S4_S4_S4_S4_21rocsparse_index_base_PKT2_PKT3_PKS4_S5_PS6_PS9_PS4_
                                        ; -- End function
	.set _ZN9rocsparseL42csr2bsr_wavefront_per_row_multipass_kernelILj256ELj16ELj4E21rocsparse_complex_numIdEilEEv20rocsparse_direction_T4_S4_S4_S4_S4_21rocsparse_index_base_PKT2_PKT3_PKS4_S5_PS6_PS9_PS4_.num_vgpr, 46
	.set _ZN9rocsparseL42csr2bsr_wavefront_per_row_multipass_kernelILj256ELj16ELj4E21rocsparse_complex_numIdEilEEv20rocsparse_direction_T4_S4_S4_S4_S4_21rocsparse_index_base_PKT2_PKT3_PKS4_S5_PS6_PS9_PS4_.num_agpr, 0
	.set _ZN9rocsparseL42csr2bsr_wavefront_per_row_multipass_kernelILj256ELj16ELj4E21rocsparse_complex_numIdEilEEv20rocsparse_direction_T4_S4_S4_S4_S4_21rocsparse_index_base_PKT2_PKT3_PKS4_S5_PS6_PS9_PS4_.numbered_sgpr, 40
	.set _ZN9rocsparseL42csr2bsr_wavefront_per_row_multipass_kernelILj256ELj16ELj4E21rocsparse_complex_numIdEilEEv20rocsparse_direction_T4_S4_S4_S4_S4_21rocsparse_index_base_PKT2_PKT3_PKS4_S5_PS6_PS9_PS4_.num_named_barrier, 0
	.set _ZN9rocsparseL42csr2bsr_wavefront_per_row_multipass_kernelILj256ELj16ELj4E21rocsparse_complex_numIdEilEEv20rocsparse_direction_T4_S4_S4_S4_S4_21rocsparse_index_base_PKT2_PKT3_PKS4_S5_PS6_PS9_PS4_.private_seg_size, 0
	.set _ZN9rocsparseL42csr2bsr_wavefront_per_row_multipass_kernelILj256ELj16ELj4E21rocsparse_complex_numIdEilEEv20rocsparse_direction_T4_S4_S4_S4_S4_21rocsparse_index_base_PKT2_PKT3_PKS4_S5_PS6_PS9_PS4_.uses_vcc, 1
	.set _ZN9rocsparseL42csr2bsr_wavefront_per_row_multipass_kernelILj256ELj16ELj4E21rocsparse_complex_numIdEilEEv20rocsparse_direction_T4_S4_S4_S4_S4_21rocsparse_index_base_PKT2_PKT3_PKS4_S5_PS6_PS9_PS4_.uses_flat_scratch, 0
	.set _ZN9rocsparseL42csr2bsr_wavefront_per_row_multipass_kernelILj256ELj16ELj4E21rocsparse_complex_numIdEilEEv20rocsparse_direction_T4_S4_S4_S4_S4_21rocsparse_index_base_PKT2_PKT3_PKS4_S5_PS6_PS9_PS4_.has_dyn_sized_stack, 0
	.set _ZN9rocsparseL42csr2bsr_wavefront_per_row_multipass_kernelILj256ELj16ELj4E21rocsparse_complex_numIdEilEEv20rocsparse_direction_T4_S4_S4_S4_S4_21rocsparse_index_base_PKT2_PKT3_PKS4_S5_PS6_PS9_PS4_.has_recursion, 0
	.set _ZN9rocsparseL42csr2bsr_wavefront_per_row_multipass_kernelILj256ELj16ELj4E21rocsparse_complex_numIdEilEEv20rocsparse_direction_T4_S4_S4_S4_S4_21rocsparse_index_base_PKT2_PKT3_PKS4_S5_PS6_PS9_PS4_.has_indirect_call, 0
	.section	.AMDGPU.csdata,"",@progbits
; Kernel info:
; codeLenInByte = 2076
; TotalNumSgprs: 42
; NumVgprs: 46
; ScratchSize: 0
; MemoryBound: 0
; FloatMode: 240
; IeeeMode: 1
; LDSByteSize: 4112 bytes/workgroup (compile time only)
; SGPRBlocks: 0
; VGPRBlocks: 2
; NumSGPRsForWavesPerEU: 42
; NumVGPRsForWavesPerEU: 46
; NamedBarCnt: 0
; Occupancy: 16
; WaveLimiterHint : 0
; COMPUTE_PGM_RSRC2:SCRATCH_EN: 0
; COMPUTE_PGM_RSRC2:USER_SGPR: 2
; COMPUTE_PGM_RSRC2:TRAP_HANDLER: 0
; COMPUTE_PGM_RSRC2:TGID_X_EN: 1
; COMPUTE_PGM_RSRC2:TGID_Y_EN: 0
; COMPUTE_PGM_RSRC2:TGID_Z_EN: 0
; COMPUTE_PGM_RSRC2:TIDIG_COMP_CNT: 0
	.section	.text._ZN9rocsparseL42csr2bsr_wavefront_per_row_multipass_kernelILj256ELj64ELj8E21rocsparse_complex_numIdEilEEv20rocsparse_direction_T4_S4_S4_S4_S4_21rocsparse_index_base_PKT2_PKT3_PKS4_S5_PS6_PS9_PS4_,"axG",@progbits,_ZN9rocsparseL42csr2bsr_wavefront_per_row_multipass_kernelILj256ELj64ELj8E21rocsparse_complex_numIdEilEEv20rocsparse_direction_T4_S4_S4_S4_S4_21rocsparse_index_base_PKT2_PKT3_PKS4_S5_PS6_PS9_PS4_,comdat
	.globl	_ZN9rocsparseL42csr2bsr_wavefront_per_row_multipass_kernelILj256ELj64ELj8E21rocsparse_complex_numIdEilEEv20rocsparse_direction_T4_S4_S4_S4_S4_21rocsparse_index_base_PKT2_PKT3_PKS4_S5_PS6_PS9_PS4_ ; -- Begin function _ZN9rocsparseL42csr2bsr_wavefront_per_row_multipass_kernelILj256ELj64ELj8E21rocsparse_complex_numIdEilEEv20rocsparse_direction_T4_S4_S4_S4_S4_21rocsparse_index_base_PKT2_PKT3_PKS4_S5_PS6_PS9_PS4_
	.p2align	8
	.type	_ZN9rocsparseL42csr2bsr_wavefront_per_row_multipass_kernelILj256ELj64ELj8E21rocsparse_complex_numIdEilEEv20rocsparse_direction_T4_S4_S4_S4_S4_21rocsparse_index_base_PKT2_PKT3_PKS4_S5_PS6_PS9_PS4_,@function
_ZN9rocsparseL42csr2bsr_wavefront_per_row_multipass_kernelILj256ELj64ELj8E21rocsparse_complex_numIdEilEEv20rocsparse_direction_T4_S4_S4_S4_S4_21rocsparse_index_base_PKT2_PKT3_PKS4_S5_PS6_PS9_PS4_: ; @_ZN9rocsparseL42csr2bsr_wavefront_per_row_multipass_kernelILj256ELj64ELj8E21rocsparse_complex_numIdEilEEv20rocsparse_direction_T4_S4_S4_S4_S4_21rocsparse_index_base_PKT2_PKT3_PKS4_S5_PS6_PS9_PS4_
; %bb.0:
	s_bfe_u32 s2, ttmp6, 0x4000c
	s_clause 0x1
	s_load_b96 s[8:10], s[0:1], 0x28
	s_load_b64 s[14:15], s[0:1], 0x40
	s_add_co_i32 s2, s2, 1
	s_and_b32 s3, ttmp6, 15
	s_mul_i32 s2, ttmp9, s2
	s_getreg_b32 s4, hwreg(HW_REG_IB_STS2, 6, 4)
	s_add_co_i32 s3, s3, s2
	s_cmp_eq_u32 s4, 0
	v_dual_mov_b32 v25, 0 :: v_dual_lshrrev_b32 v24, 6, v0
	s_cselect_b32 s12, ttmp9, s3
	v_bfe_u32 v2, v0, 3, 3
	s_ashr_i32 s13, s12, 31
	v_mov_b32_e32 v16, 0
	s_lshl_b64 s[2:3], s[12:13], 2
	s_delay_alu instid0(SALU_CYCLE_1) | instskip(SKIP_2) | instid1(VALU_DEP_1)
	v_dual_mov_b32 v3, v25 :: v_dual_bitop2_b32 v1, s2, v24 bitop3:0x54
	s_load_b128 s[4:7], s[0:1], 0x18
	s_wait_kmcnt 0x0
	v_mad_nc_u64_u32 v[4:5], v1, s8, v[2:3]
	s_delay_alu instid0(VALU_DEP_1) | instskip(SKIP_1) | instid1(VALU_DEP_1)
	v_mad_u32 v5, s3, s8, v5
	s_load_b64 s[2:3], s[0:1], 0x8
	v_mad_u32 v5, v1, s9, v5
	s_wait_kmcnt 0x0
	s_delay_alu instid0(VALU_DEP_1) | instskip(SKIP_2) | instid1(SALU_CYCLE_1)
	v_cmp_gt_i64_e32 vcc_lo, s[2:3], v[4:5]
	v_cmp_gt_i64_e64 s2, s[8:9], v[2:3]
	s_and_b32 s3, s2, vcc_lo
	s_and_saveexec_b32 s11, s3
	s_cbranch_execz .LBB162_2
; %bb.1:
	v_lshl_add_u64 v[6:7], v[4:5], 2, s[14:15]
	global_load_b32 v1, v[6:7], off
	s_wait_loadcnt 0x0
	v_subrev_nc_u32_e32 v16, s10, v1
.LBB162_2:
	s_or_b32 exec_lo, exec_lo, s11
	s_and_saveexec_b32 s11, s3
	s_cbranch_execz .LBB162_4
; %bb.3:
	v_lshl_add_u64 v[4:5], v[4:5], 2, s[14:15]
	global_load_b32 v1, v[4:5], off offset:4
	s_wait_loadcnt 0x0
	v_subrev_nc_u32_e32 v25, s10, v1
.LBB162_4:
	s_or_b32 exec_lo, exec_lo, s11
	s_load_b32 s22, s[0:1], 0x50
	v_mov_b32_e32 v7, 0
	v_lshl_or_b32 v6, s12, 2, v24
	s_mov_b32 s3, exec_lo
	s_delay_alu instid0(VALU_DEP_2) | instskip(NEXT) | instid1(VALU_DEP_2)
	v_mov_b32_e32 v4, v7
	v_cmpx_gt_i64_e64 s[4:5], v[6:7]
	s_cbranch_execz .LBB162_6
; %bb.5:
	s_load_b64 s[4:5], s[0:1], 0x60
	s_wait_kmcnt 0x0
	v_lshl_add_u64 v[4:5], v[6:7], 2, s[4:5]
	global_load_b32 v1, v[4:5], off
	s_wait_loadcnt 0x0
	v_subrev_nc_u32_e32 v4, s22, v1
.LBB162_6:
	s_or_b32 exec_lo, exec_lo, s3
	v_cmp_lt_i64_e64 s3, s[6:7], 1
	s_and_b32 vcc_lo, exec_lo, s3
	s_cbranch_vccnz .LBB162_25
; %bb.7:
	v_dual_mov_b32 v6, 0 :: v_dual_bitop2_b32 v8, 7, v0 bitop3:0x40
	v_and_b32_e32 v5, 0x3c0, v0
	v_mul_u64_e32 v[10:11], s[8:9], v[2:3]
	v_mbcnt_lo_u32_b32 v14, -1, 0
	s_delay_alu instid0(VALU_DEP_4)
	v_dual_mov_b32 v9, v6 :: v_dual_lshlrev_b32 v7, 7, v2
	s_clause 0x4
	s_load_b64 s[14:15], s[0:1], 0x48
	s_load_b64 s[18:19], s[0:1], 0x58
	;; [unrolled: 1-line block ×3, first 2 shown]
	s_load_b32 s3, s[0:1], 0x0
	s_load_b64 s[4:5], s[0:1], 0x68
	v_dual_lshlrev_b32 v2, 4, v2 :: v_dual_lshlrev_b32 v12, 4, v8
	v_mul_u64_e32 v[0:1], s[8:9], v[8:9]
	v_lshl_or_b32 v26, v5, 4, v7
	v_dual_mov_b32 v3, v6 :: v_dual_bitop2_b32 v5, 4, v14 bitop3:0x14
	v_dual_mov_b32 v13, v6 :: v_dual_bitop2_b32 v7, 2, v14 bitop3:0x14
	v_lshl_or_b32 v27, v14, 2, 28
	s_delay_alu instid0(VALU_DEP_3)
	v_cmp_gt_i32_e32 vcc_lo, 32, v5
	v_xor_b32_e32 v15, 1, v14
	v_bfrev_b32_e32 v34, 0.5
	s_wait_xcnt 0x0
	s_mov_b32 s1, 0
	s_mul_u64 s[12:13], s[8:9], s[8:9]
	v_cndmask_b32_e32 v5, v14, v5, vcc_lo
	v_cmp_gt_i32_e32 vcc_lo, 32, v7
	v_or_b32_e32 v17, 32, v14
	v_or_b32_e32 v28, v26, v12
	s_wait_kmcnt 0x0
	s_cmp_eq_u32 s3, 0
	s_mov_b32 s11, s1
	v_cndmask_b32_e32 v7, v14, v7, vcc_lo
	v_cmp_gt_i32_e32 vcc_lo, 32, v15
	v_xor_b32_e32 v18, 16, v14
	v_cmp_gt_i32_e64 s0, 32, v17
	v_xor_b32_e32 v19, 8, v14
	s_mov_b32 s25, 0
	v_cndmask_b32_e32 v15, v14, v15, vcc_lo
	v_lshl_add_u64 v[10:11], v[10:11], 4, s[18:19]
	v_cndmask_b32_e64 v17, v14, v17, s0
	v_cmp_gt_i32_e64 s0, 32, v18
	v_cmp_gt_u64_e32 vcc_lo, s[8:9], v[8:9]
	v_dual_lshlrev_b32 v9, 2, v5 :: v_dual_lshlrev_b32 v29, 2, v7
	s_delay_alu instid0(VALU_DEP_4) | instskip(SKIP_4) | instid1(VALU_DEP_4)
	v_dual_lshlrev_b32 v30, 2, v15 :: v_dual_lshlrev_b32 v31, 2, v17
	v_lshl_add_u64 v[0:1], v[0:1], 4, s[18:19]
	v_cndmask_b32_e64 v18, v14, v18, s0
	v_cmp_gt_i32_e64 s0, 32, v19
	v_mov_b32_e32 v35, 1
	v_add_nc_u64_e32 v[0:1], v[0:1], v[2:3]
	v_add_nc_u64_e32 v[2:3], v[10:11], v[12:13]
	s_delay_alu instid0(VALU_DEP_4) | instskip(SKIP_3) | instid1(VALU_DEP_2)
	v_dual_cndmask_b32 v5, v14, v19, s0 :: v_dual_lshlrev_b32 v32, 2, v18
	s_cselect_b32 s0, -1, 0
	v_mov_b64_e32 v[14:15], 0
	s_and_b32 s23, s2, vcc_lo
	v_dual_lshlrev_b32 v33, 2, v5 :: v_dual_cndmask_b32 v11, v1, v3, s0
	s_delay_alu instid0(VALU_DEP_4)
	v_dual_cndmask_b32 v10, v0, v2, s0 :: v_dual_mov_b32 v0, 0
	v_dual_mov_b32 v1, v6 :: v_dual_mov_b32 v2, v6
	v_dual_mov_b32 v3, v6 :: v_dual_mov_b32 v5, 0
	s_mov_b64 s[2:3], 0xffffffff
	s_ashr_i32 s18, s9, 31
	s_sub_co_i32 s24, 0, s8
	s_branch .LBB162_10
.LBB162_8:                              ;   in Loop: Header=BB162_10 Depth=1
	s_wait_xcnt 0x0
	s_or_b32 exec_lo, exec_lo, s19
	v_mov_b32_e32 v7, 1
.LBB162_9:                              ;   in Loop: Header=BB162_10 Depth=1
	s_or_b32 exec_lo, exec_lo, s0
	ds_bpermute_b32 v14, v31, v12
	ds_bpermute_b32 v15, v31, v13
	s_wait_storecnt_dscnt 0x0
	v_add_nc_u32_e32 v4, v7, v4
	v_min_i64 v[12:13], v[14:15], v[12:13]
	ds_bpermute_b32 v14, v32, v12
	ds_bpermute_b32 v15, v32, v13
	s_wait_dscnt 0x0
	v_min_i64 v[12:13], v[14:15], v[12:13]
	ds_bpermute_b32 v14, v33, v12
	ds_bpermute_b32 v15, v33, v13
	s_wait_dscnt 0x0
	;; [unrolled: 4-line block ×5, first 2 shown]
	v_min_i64 v[12:13], v[14:15], v[12:13]
	ds_bpermute_b32 v14, v34, v12
	s_wait_dscnt 0x0
	v_dual_ashrrev_i32 v15, 31, v14 :: v_dual_mov_b32 v5, v14
	s_delay_alu instid0(VALU_DEP_1) | instskip(SKIP_1) | instid1(SALU_CYCLE_1)
	v_cmp_le_i64_e32 vcc_lo, s[6:7], v[14:15]
	s_or_b32 s25, vcc_lo, s25
	s_and_not1_b32 exec_lo, exec_lo, s25
	s_cbranch_execz .LBB162_25
.LBB162_10:                             ; =>This Loop Header: Depth=1
                                        ;     Child Loop BB162_13 Depth 2
	v_mov_b64_e32 v[12:13], s[6:7]
	v_dual_mov_b32 v7, v25 :: v_dual_add_nc_u32 v16, v16, v8
	s_mov_b32 s26, exec_lo
	ds_store_b8 v24, v6 offset:4096
	ds_store_b128 v28, v[0:3]
	s_wait_dscnt 0x0
	v_cmpx_lt_i32_e64 v16, v25
	s_cbranch_execz .LBB162_22
; %bb.11:                               ;   in Loop: Header=BB162_10 Depth=1
	v_mul_u64_e32 v[18:19], s[8:9], v[14:15]
	v_mov_b64_e32 v[12:13], s[6:7]
	v_mov_b32_e32 v19, v25
	s_mov_b32 s27, 0
	s_branch .LBB162_13
.LBB162_12:                             ;   in Loop: Header=BB162_13 Depth=2
	s_wait_xcnt 0x0
	s_or_b32 exec_lo, exec_lo, s0
	v_dual_mov_b32 v19, v7 :: v_dual_add_nc_u32 v16, 8, v16
	s_xor_b32 s19, vcc_lo, -1
	s_delay_alu instid0(VALU_DEP_1) | instskip(SKIP_1) | instid1(SALU_CYCLE_1)
	v_cmp_ge_i32_e64 s0, v16, v25
	s_or_b32 s0, s19, s0
	s_and_b32 s0, exec_lo, s0
	s_delay_alu instid0(SALU_CYCLE_1) | instskip(NEXT) | instid1(SALU_CYCLE_1)
	s_or_b32 s27, s0, s27
	s_and_not1_b32 exec_lo, exec_lo, s27
	s_cbranch_execz .LBB162_21
.LBB162_13:                             ;   Parent Loop BB162_10 Depth=1
                                        ; =>  This Inner Loop Header: Depth=2
	global_load_b64 v[20:21], v16, s[14:15] scale_offset
                                        ; implicit-def: $vgpr22_vgpr23
	s_mov_b32 s0, exec_lo
	s_wait_loadcnt 0x0
	v_sub_nc_u64_e64 v[20:21], v[20:21], s[10:11]
	s_delay_alu instid0(VALU_DEP_1) | instskip(SKIP_1) | instid1(VALU_DEP_1)
	v_or_b32_e32 v7, s9, v21
	s_wait_xcnt 0x0
	v_cmpx_ne_u64_e32 0, v[6:7]
	s_xor_b32 s28, exec_lo, s0
	s_cbranch_execz .LBB162_15
; %bb.14:                               ;   in Loop: Header=BB162_13 Depth=2
	s_mov_b32 s19, s18
	v_dual_mov_b32 v39, v6 :: v_dual_ashrrev_i32 v22, 31, v21
	s_add_nc_u64 s[20:21], s[8:9], s[18:19]
	v_mov_b32_e32 v47, v6
	s_xor_b64 s[20:21], s[20:21], s[18:19]
	s_delay_alu instid0(VALU_DEP_2) | instskip(SKIP_3) | instid1(VALU_DEP_1)
	v_mov_b32_e32 v23, v22
	s_cvt_f32_u32 s0, s20
	s_cvt_f32_u32 s19, s21
	s_sub_nc_u64 s[34:35], 0, s[20:21]
	v_add_nc_u64_e32 v[36:37], v[20:21], v[22:23]
	s_delay_alu instid0(SALU_CYCLE_1) | instskip(SKIP_1) | instid1(SALU_CYCLE_2)
	s_fmamk_f32 s0, s19, 0x4f800000, s0
	v_mov_b32_e32 v43, v6
	v_s_rcp_f32 s0, s0
	s_delay_alu instid0(VALU_DEP_2) | instskip(NEXT) | instid1(VALU_DEP_3)
	v_xor_b32_e32 v38, v36, v22
	v_xor_b32_e32 v42, v37, v22
	;; [unrolled: 1-line block ×3, first 2 shown]
	s_delay_alu instid0(TRANS32_DEP_1) | instskip(NEXT) | instid1(SALU_CYCLE_3)
	s_mul_f32 s0, s0, 0x5f7ffffc
	s_mul_f32 s19, s0, 0x2f800000
	s_delay_alu instid0(SALU_CYCLE_3) | instskip(NEXT) | instid1(SALU_CYCLE_3)
	s_trunc_f32 s19, s19
	s_fmamk_f32 s0, s19, 0xcf800000, s0
	s_cvt_u32_f32 s31, s19
	s_delay_alu instid0(SALU_CYCLE_2) | instskip(NEXT) | instid1(SALU_CYCLE_3)
	s_cvt_u32_f32 s30, s0
	s_mul_u64 s[36:37], s[34:35], s[30:31]
	s_delay_alu instid0(SALU_CYCLE_1)
	s_mul_hi_u32 s39, s30, s37
	s_mul_i32 s38, s30, s37
	s_mul_hi_u32 s0, s30, s36
	s_mul_i32 s29, s31, s36
	s_add_nc_u64 s[38:39], s[0:1], s[38:39]
	s_mul_hi_u32 s19, s31, s36
	s_mul_hi_u32 s33, s31, s37
	s_add_co_u32 s0, s38, s29
	s_add_co_ci_u32 s0, s39, s19
	s_mul_i32 s36, s31, s37
	s_add_co_ci_u32 s37, s33, 0
	s_delay_alu instid0(SALU_CYCLE_1) | instskip(NEXT) | instid1(SALU_CYCLE_1)
	s_add_nc_u64 s[36:37], s[0:1], s[36:37]
	s_add_co_u32 s30, s30, s36
	s_cselect_b32 s0, -1, 0
	s_delay_alu instid0(SALU_CYCLE_1) | instskip(SKIP_1) | instid1(SALU_CYCLE_1)
	s_cmp_lg_u32 s0, 0
	s_add_co_ci_u32 s31, s31, s37
	s_mul_u64 s[34:35], s[34:35], s[30:31]
	s_delay_alu instid0(SALU_CYCLE_1)
	s_mul_hi_u32 s37, s30, s35
	s_mul_i32 s36, s30, s35
	s_mul_hi_u32 s0, s30, s34
	s_mul_i32 s29, s31, s34
	s_add_nc_u64 s[36:37], s[0:1], s[36:37]
	s_mul_hi_u32 s19, s31, s34
	s_mul_hi_u32 s33, s31, s35
	s_add_co_u32 s0, s36, s29
	s_add_co_ci_u32 s0, s37, s19
	s_mul_i32 s34, s31, s35
	s_add_co_ci_u32 s35, s33, 0
	s_delay_alu instid0(SALU_CYCLE_1) | instskip(NEXT) | instid1(SALU_CYCLE_1)
	s_add_nc_u64 s[34:35], s[0:1], s[34:35]
	s_add_co_u32 s30, s30, s34
	s_cselect_b32 s0, -1, 0
	v_mul_hi_u32 v46, v38, s30
	s_cmp_lg_u32 s0, 0
	s_add_co_ci_u32 s0, s31, s35
	s_and_b64 s[34:35], s[30:31], s[2:3]
	v_mul_u64_e32 v[40:41], s[0:1], v[38:39]
	v_mul_u64_e32 v[36:37], s[34:35], v[42:43]
	;; [unrolled: 1-line block ×3, first 2 shown]
	s_delay_alu instid0(VALU_DEP_3) | instskip(NEXT) | instid1(VALU_DEP_1)
	v_add_nc_u64_e32 v[40:41], v[46:47], v[40:41]
	v_add_co_u32 v7, vcc_lo, v40, v36
	s_delay_alu instid0(VALU_DEP_2) | instskip(NEXT) | instid1(VALU_DEP_4)
	v_add_co_ci_u32_e32 v46, vcc_lo, v41, v37, vcc_lo
	v_add_co_ci_u32_e32 v45, vcc_lo, 0, v45, vcc_lo
	s_delay_alu instid0(VALU_DEP_1) | instskip(NEXT) | instid1(VALU_DEP_1)
	v_add_nc_u64_e32 v[36:37], v[46:47], v[44:45]
	v_mul_u64_e32 v[40:41], s[20:21], v[36:37]
	s_delay_alu instid0(VALU_DEP_1) | instskip(NEXT) | instid1(VALU_DEP_2)
	v_sub_nc_u32_e32 v7, v42, v41
	v_sub_co_u32 v17, vcc_lo, v38, v40
	s_delay_alu instid0(VALU_DEP_1) | instskip(NEXT) | instid1(VALU_DEP_3)
	v_sub_co_ci_u32_e64 v23, null, v42, v41, vcc_lo
	v_subrev_co_ci_u32_e64 v7, null, s21, v7, vcc_lo
	s_delay_alu instid0(VALU_DEP_3) | instskip(SKIP_1) | instid1(VALU_DEP_3)
	v_sub_co_u32 v21, s0, v17, s20
	v_add_nc_u64_e32 v[40:41], 1, v[36:37]
	v_subrev_co_ci_u32_e64 v7, null, 0, v7, s0
	s_delay_alu instid0(VALU_DEP_3) | instskip(SKIP_1) | instid1(VALU_DEP_3)
	v_cmp_le_u32_e32 vcc_lo, s20, v21
	v_cndmask_b32_e64 v21, 0, -1, vcc_lo
	v_cmp_le_u32_e32 vcc_lo, s21, v7
	v_cndmask_b32_e64 v38, 0, -1, vcc_lo
	;; [unrolled: 2-line block ×4, first 2 shown]
	v_cmp_eq_u32_e32 vcc_lo, s21, v7
	v_cndmask_b32_e32 v7, v38, v21, vcc_lo
	v_cmp_eq_u32_e32 vcc_lo, s21, v23
	v_add_nc_u64_e32 v[38:39], 2, v[36:37]
	v_mov_b32_e32 v23, v22
	v_cndmask_b32_e32 v17, v42, v17, vcc_lo
	v_cmp_ne_u32_e32 vcc_lo, 0, v7
	s_delay_alu instid0(VALU_DEP_2) | instskip(SKIP_1) | instid1(VALU_DEP_1)
	v_cmp_ne_u32_e64 s0, 0, v17
	v_dual_cndmask_b32 v7, v41, v39, vcc_lo :: v_dual_cndmask_b32 v17, v40, v38, vcc_lo
	v_dual_cndmask_b32 v7, v37, v7, s0 :: v_dual_cndmask_b32 v17, v36, v17, s0
	s_delay_alu instid0(VALU_DEP_1) | instskip(NEXT) | instid1(VALU_DEP_2)
	v_xor_b32_e32 v37, v7, v22
	v_xor_b32_e32 v36, v17, v22
	s_delay_alu instid0(VALU_DEP_1)
	v_sub_nc_u64_e32 v[22:23], v[36:37], v[22:23]
.LBB162_15:                             ;   in Loop: Header=BB162_13 Depth=2
	s_and_not1_saveexec_b32 s0, s28
	s_cbranch_execz .LBB162_17
; %bb.16:                               ;   in Loop: Header=BB162_13 Depth=2
	v_cvt_f32_u32_e32 v7, s8
	v_mov_b32_e32 v23, v6
	s_delay_alu instid0(VALU_DEP_2) | instskip(SKIP_1) | instid1(TRANS32_DEP_1)
	v_rcp_iflag_f32_e32 v7, v7
	v_nop
	v_mul_f32_e32 v7, 0x4f7ffffe, v7
	s_delay_alu instid0(VALU_DEP_1) | instskip(NEXT) | instid1(VALU_DEP_1)
	v_cvt_u32_f32_e32 v7, v7
	v_mul_lo_u32 v17, s24, v7
	s_delay_alu instid0(VALU_DEP_1) | instskip(NEXT) | instid1(VALU_DEP_1)
	v_mul_hi_u32 v17, v7, v17
	v_add_nc_u32_e32 v7, v7, v17
	s_delay_alu instid0(VALU_DEP_1) | instskip(NEXT) | instid1(VALU_DEP_1)
	v_mul_hi_u32 v7, v20, v7
	v_mul_lo_u32 v17, v7, s8
	s_delay_alu instid0(VALU_DEP_1) | instskip(NEXT) | instid1(VALU_DEP_1)
	v_sub_nc_u32_e32 v17, v20, v17
	v_subrev_nc_u32_e32 v22, s8, v17
	v_cmp_le_u32_e32 vcc_lo, s8, v17
	s_delay_alu instid0(VALU_DEP_2) | instskip(NEXT) | instid1(VALU_DEP_1)
	v_dual_add_nc_u32 v21, 1, v7 :: v_dual_cndmask_b32 v17, v17, v22, vcc_lo
	v_cndmask_b32_e32 v7, v7, v21, vcc_lo
	s_delay_alu instid0(VALU_DEP_2) | instskip(NEXT) | instid1(VALU_DEP_2)
	v_cmp_le_u32_e32 vcc_lo, s8, v17
	v_add_nc_u32_e32 v21, 1, v7
	s_delay_alu instid0(VALU_DEP_1)
	v_cndmask_b32_e32 v22, v7, v21, vcc_lo
.LBB162_17:                             ;   in Loop: Header=BB162_13 Depth=2
	s_or_b32 exec_lo, exec_lo, s0
	s_delay_alu instid0(VALU_DEP_1) | instskip(SKIP_2) | instid1(SALU_CYCLE_1)
	v_cmp_ne_u64_e64 s0, v[22:23], v[14:15]
	v_cmp_eq_u64_e32 vcc_lo, v[22:23], v[14:15]
	s_and_saveexec_b32 s19, s0
	s_xor_b32 s0, exec_lo, s19
; %bb.18:                               ;   in Loop: Header=BB162_13 Depth=2
	v_min_i64 v[12:13], v[22:23], v[12:13]
                                        ; implicit-def: $vgpr20_vgpr21
                                        ; implicit-def: $vgpr19
; %bb.19:                               ;   in Loop: Header=BB162_13 Depth=2
	s_or_saveexec_b32 s0, s0
	v_mov_b32_e32 v7, v16
	s_xor_b32 exec_lo, exec_lo, s0
	s_cbranch_execz .LBB162_12
; %bb.20:                               ;   in Loop: Header=BB162_13 Depth=2
	v_dual_ashrrev_i32 v17, 31, v16 :: v_dual_sub_nc_u32 v7, v20, v18
	s_delay_alu instid0(VALU_DEP_1) | instskip(NEXT) | instid1(VALU_DEP_2)
	v_lshl_add_u64 v[22:23], v[16:17], 4, s[16:17]
	v_lshl_add_u32 v17, v7, 4, v26
	v_mov_b32_e32 v7, v19
	global_load_b128 v[36:39], v[22:23], off
	ds_store_b8 v24, v35 offset:4096
	s_wait_loadcnt 0x0
	ds_store_2addr_b64 v17, v[36:37], v[38:39] offset1:1
	s_branch .LBB162_12
.LBB162_21:                             ;   in Loop: Header=BB162_10 Depth=1
	s_or_b32 exec_lo, exec_lo, s27
.LBB162_22:                             ;   in Loop: Header=BB162_10 Depth=1
	s_delay_alu instid0(SALU_CYCLE_1)
	s_or_b32 exec_lo, exec_lo, s26
	ds_bpermute_b32 v14, v9, v7
	s_wait_dscnt 0x0
	ds_load_u8 v15, v24 offset:4096
	v_min_i32_e32 v7, v14, v7
	ds_bpermute_b32 v14, v29, v7
	s_wait_dscnt 0x0
	v_min_i32_e32 v7, v14, v7
	ds_bpermute_b32 v14, v30, v7
	s_wait_dscnt 0x0
	v_min_i32_e32 v7, v14, v7
	ds_bpermute_b32 v16, v27, v7
	v_and_b32_e32 v7, 1, v15
	s_delay_alu instid0(VALU_DEP_1)
	v_cmp_eq_u32_e32 vcc_lo, 1, v7
	v_mov_b32_e32 v7, 0
	s_and_saveexec_b32 s0, vcc_lo
	s_cbranch_execz .LBB162_9
; %bb.23:                               ;   in Loop: Header=BB162_10 Depth=1
	v_add_nc_u32_e32 v14, s22, v5
	s_delay_alu instid0(VALU_DEP_1)
	v_ashrrev_i32_e32 v15, 31, v14
	global_store_b64 v4, v[14:15], s[4:5] scale_offset
	s_wait_xcnt 0x0
	s_and_saveexec_b32 s19, s23
	s_cbranch_execz .LBB162_8
; %bb.24:                               ;   in Loop: Header=BB162_10 Depth=1
	v_ashrrev_i32_e32 v5, 31, v4
	ds_load_2addr_b64 v[18:21], v28 offset1:1
	v_mul_u64_e32 v[14:15], s[12:13], v[4:5]
	s_delay_alu instid0(VALU_DEP_1)
	v_lshl_add_u64 v[14:15], v[14:15], 4, v[10:11]
	s_wait_dscnt 0x0
	global_store_b128 v[14:15], v[18:21], off
	s_branch .LBB162_8
.LBB162_25:
	s_endpgm
	.section	.rodata,"a",@progbits
	.p2align	6, 0x0
	.amdhsa_kernel _ZN9rocsparseL42csr2bsr_wavefront_per_row_multipass_kernelILj256ELj64ELj8E21rocsparse_complex_numIdEilEEv20rocsparse_direction_T4_S4_S4_S4_S4_21rocsparse_index_base_PKT2_PKT3_PKS4_S5_PS6_PS9_PS4_
		.amdhsa_group_segment_fixed_size 4104
		.amdhsa_private_segment_fixed_size 0
		.amdhsa_kernarg_size 112
		.amdhsa_user_sgpr_count 2
		.amdhsa_user_sgpr_dispatch_ptr 0
		.amdhsa_user_sgpr_queue_ptr 0
		.amdhsa_user_sgpr_kernarg_segment_ptr 1
		.amdhsa_user_sgpr_dispatch_id 0
		.amdhsa_user_sgpr_kernarg_preload_length 0
		.amdhsa_user_sgpr_kernarg_preload_offset 0
		.amdhsa_user_sgpr_private_segment_size 0
		.amdhsa_wavefront_size32 1
		.amdhsa_uses_dynamic_stack 0
		.amdhsa_enable_private_segment 0
		.amdhsa_system_sgpr_workgroup_id_x 1
		.amdhsa_system_sgpr_workgroup_id_y 0
		.amdhsa_system_sgpr_workgroup_id_z 0
		.amdhsa_system_sgpr_workgroup_info 0
		.amdhsa_system_vgpr_workitem_id 0
		.amdhsa_next_free_vgpr 48
		.amdhsa_next_free_sgpr 40
		.amdhsa_named_barrier_count 0
		.amdhsa_reserve_vcc 1
		.amdhsa_float_round_mode_32 0
		.amdhsa_float_round_mode_16_64 0
		.amdhsa_float_denorm_mode_32 3
		.amdhsa_float_denorm_mode_16_64 3
		.amdhsa_fp16_overflow 0
		.amdhsa_memory_ordered 1
		.amdhsa_forward_progress 1
		.amdhsa_inst_pref_size 18
		.amdhsa_round_robin_scheduling 0
		.amdhsa_exception_fp_ieee_invalid_op 0
		.amdhsa_exception_fp_denorm_src 0
		.amdhsa_exception_fp_ieee_div_zero 0
		.amdhsa_exception_fp_ieee_overflow 0
		.amdhsa_exception_fp_ieee_underflow 0
		.amdhsa_exception_fp_ieee_inexact 0
		.amdhsa_exception_int_div_zero 0
	.end_amdhsa_kernel
	.section	.text._ZN9rocsparseL42csr2bsr_wavefront_per_row_multipass_kernelILj256ELj64ELj8E21rocsparse_complex_numIdEilEEv20rocsparse_direction_T4_S4_S4_S4_S4_21rocsparse_index_base_PKT2_PKT3_PKS4_S5_PS6_PS9_PS4_,"axG",@progbits,_ZN9rocsparseL42csr2bsr_wavefront_per_row_multipass_kernelILj256ELj64ELj8E21rocsparse_complex_numIdEilEEv20rocsparse_direction_T4_S4_S4_S4_S4_21rocsparse_index_base_PKT2_PKT3_PKS4_S5_PS6_PS9_PS4_,comdat
.Lfunc_end162:
	.size	_ZN9rocsparseL42csr2bsr_wavefront_per_row_multipass_kernelILj256ELj64ELj8E21rocsparse_complex_numIdEilEEv20rocsparse_direction_T4_S4_S4_S4_S4_21rocsparse_index_base_PKT2_PKT3_PKS4_S5_PS6_PS9_PS4_, .Lfunc_end162-_ZN9rocsparseL42csr2bsr_wavefront_per_row_multipass_kernelILj256ELj64ELj8E21rocsparse_complex_numIdEilEEv20rocsparse_direction_T4_S4_S4_S4_S4_21rocsparse_index_base_PKT2_PKT3_PKS4_S5_PS6_PS9_PS4_
                                        ; -- End function
	.set _ZN9rocsparseL42csr2bsr_wavefront_per_row_multipass_kernelILj256ELj64ELj8E21rocsparse_complex_numIdEilEEv20rocsparse_direction_T4_S4_S4_S4_S4_21rocsparse_index_base_PKT2_PKT3_PKS4_S5_PS6_PS9_PS4_.num_vgpr, 48
	.set _ZN9rocsparseL42csr2bsr_wavefront_per_row_multipass_kernelILj256ELj64ELj8E21rocsparse_complex_numIdEilEEv20rocsparse_direction_T4_S4_S4_S4_S4_21rocsparse_index_base_PKT2_PKT3_PKS4_S5_PS6_PS9_PS4_.num_agpr, 0
	.set _ZN9rocsparseL42csr2bsr_wavefront_per_row_multipass_kernelILj256ELj64ELj8E21rocsparse_complex_numIdEilEEv20rocsparse_direction_T4_S4_S4_S4_S4_21rocsparse_index_base_PKT2_PKT3_PKS4_S5_PS6_PS9_PS4_.numbered_sgpr, 40
	.set _ZN9rocsparseL42csr2bsr_wavefront_per_row_multipass_kernelILj256ELj64ELj8E21rocsparse_complex_numIdEilEEv20rocsparse_direction_T4_S4_S4_S4_S4_21rocsparse_index_base_PKT2_PKT3_PKS4_S5_PS6_PS9_PS4_.num_named_barrier, 0
	.set _ZN9rocsparseL42csr2bsr_wavefront_per_row_multipass_kernelILj256ELj64ELj8E21rocsparse_complex_numIdEilEEv20rocsparse_direction_T4_S4_S4_S4_S4_21rocsparse_index_base_PKT2_PKT3_PKS4_S5_PS6_PS9_PS4_.private_seg_size, 0
	.set _ZN9rocsparseL42csr2bsr_wavefront_per_row_multipass_kernelILj256ELj64ELj8E21rocsparse_complex_numIdEilEEv20rocsparse_direction_T4_S4_S4_S4_S4_21rocsparse_index_base_PKT2_PKT3_PKS4_S5_PS6_PS9_PS4_.uses_vcc, 1
	.set _ZN9rocsparseL42csr2bsr_wavefront_per_row_multipass_kernelILj256ELj64ELj8E21rocsparse_complex_numIdEilEEv20rocsparse_direction_T4_S4_S4_S4_S4_21rocsparse_index_base_PKT2_PKT3_PKS4_S5_PS6_PS9_PS4_.uses_flat_scratch, 0
	.set _ZN9rocsparseL42csr2bsr_wavefront_per_row_multipass_kernelILj256ELj64ELj8E21rocsparse_complex_numIdEilEEv20rocsparse_direction_T4_S4_S4_S4_S4_21rocsparse_index_base_PKT2_PKT3_PKS4_S5_PS6_PS9_PS4_.has_dyn_sized_stack, 0
	.set _ZN9rocsparseL42csr2bsr_wavefront_per_row_multipass_kernelILj256ELj64ELj8E21rocsparse_complex_numIdEilEEv20rocsparse_direction_T4_S4_S4_S4_S4_21rocsparse_index_base_PKT2_PKT3_PKS4_S5_PS6_PS9_PS4_.has_recursion, 0
	.set _ZN9rocsparseL42csr2bsr_wavefront_per_row_multipass_kernelILj256ELj64ELj8E21rocsparse_complex_numIdEilEEv20rocsparse_direction_T4_S4_S4_S4_S4_21rocsparse_index_base_PKT2_PKT3_PKS4_S5_PS6_PS9_PS4_.has_indirect_call, 0
	.section	.AMDGPU.csdata,"",@progbits
; Kernel info:
; codeLenInByte = 2196
; TotalNumSgprs: 42
; NumVgprs: 48
; ScratchSize: 0
; MemoryBound: 0
; FloatMode: 240
; IeeeMode: 1
; LDSByteSize: 4104 bytes/workgroup (compile time only)
; SGPRBlocks: 0
; VGPRBlocks: 2
; NumSGPRsForWavesPerEU: 42
; NumVGPRsForWavesPerEU: 48
; NamedBarCnt: 0
; Occupancy: 16
; WaveLimiterHint : 0
; COMPUTE_PGM_RSRC2:SCRATCH_EN: 0
; COMPUTE_PGM_RSRC2:USER_SGPR: 2
; COMPUTE_PGM_RSRC2:TRAP_HANDLER: 0
; COMPUTE_PGM_RSRC2:TGID_X_EN: 1
; COMPUTE_PGM_RSRC2:TGID_Y_EN: 0
; COMPUTE_PGM_RSRC2:TGID_Z_EN: 0
; COMPUTE_PGM_RSRC2:TIDIG_COMP_CNT: 0
	.section	.text._ZN9rocsparseL42csr2bsr_wavefront_per_row_multipass_kernelILj256ELj32ELj8E21rocsparse_complex_numIdEilEEv20rocsparse_direction_T4_S4_S4_S4_S4_21rocsparse_index_base_PKT2_PKT3_PKS4_S5_PS6_PS9_PS4_,"axG",@progbits,_ZN9rocsparseL42csr2bsr_wavefront_per_row_multipass_kernelILj256ELj32ELj8E21rocsparse_complex_numIdEilEEv20rocsparse_direction_T4_S4_S4_S4_S4_21rocsparse_index_base_PKT2_PKT3_PKS4_S5_PS6_PS9_PS4_,comdat
	.globl	_ZN9rocsparseL42csr2bsr_wavefront_per_row_multipass_kernelILj256ELj32ELj8E21rocsparse_complex_numIdEilEEv20rocsparse_direction_T4_S4_S4_S4_S4_21rocsparse_index_base_PKT2_PKT3_PKS4_S5_PS6_PS9_PS4_ ; -- Begin function _ZN9rocsparseL42csr2bsr_wavefront_per_row_multipass_kernelILj256ELj32ELj8E21rocsparse_complex_numIdEilEEv20rocsparse_direction_T4_S4_S4_S4_S4_21rocsparse_index_base_PKT2_PKT3_PKS4_S5_PS6_PS9_PS4_
	.p2align	8
	.type	_ZN9rocsparseL42csr2bsr_wavefront_per_row_multipass_kernelILj256ELj32ELj8E21rocsparse_complex_numIdEilEEv20rocsparse_direction_T4_S4_S4_S4_S4_21rocsparse_index_base_PKT2_PKT3_PKS4_S5_PS6_PS9_PS4_,@function
_ZN9rocsparseL42csr2bsr_wavefront_per_row_multipass_kernelILj256ELj32ELj8E21rocsparse_complex_numIdEilEEv20rocsparse_direction_T4_S4_S4_S4_S4_21rocsparse_index_base_PKT2_PKT3_PKS4_S5_PS6_PS9_PS4_: ; @_ZN9rocsparseL42csr2bsr_wavefront_per_row_multipass_kernelILj256ELj32ELj8E21rocsparse_complex_numIdEilEEv20rocsparse_direction_T4_S4_S4_S4_S4_21rocsparse_index_base_PKT2_PKT3_PKS4_S5_PS6_PS9_PS4_
; %bb.0:
	s_bfe_u32 s2, ttmp6, 0x4000c
	s_clause 0x1
	s_load_b96 s[12:14], s[0:1], 0x28
	s_load_b64 s[10:11], s[0:1], 0x40
	s_add_co_i32 s2, s2, 1
	s_and_b32 s3, ttmp6, 15
	s_mul_i32 s2, ttmp9, s2
	s_getreg_b32 s4, hwreg(HW_REG_IB_STS2, 6, 4)
	s_add_co_i32 s3, s3, s2
	s_cmp_eq_u32 s4, 0
	v_dual_mov_b32 v31, 0 :: v_dual_lshrrev_b32 v30, 5, v0
	s_cselect_b32 s8, ttmp9, s3
	v_bfe_u32 v2, v0, 2, 3
	s_ashr_i32 s9, s8, 31
	v_mov_b32_e32 v24, 0
	s_lshl_b64 s[2:3], s[8:9], 3
	s_delay_alu instid0(SALU_CYCLE_1) | instskip(SKIP_2) | instid1(VALU_DEP_1)
	v_dual_mov_b32 v3, v31 :: v_dual_bitop2_b32 v1, s2, v30 bitop3:0x54
	s_load_b128 s[4:7], s[0:1], 0x18
	s_wait_kmcnt 0x0
	v_mad_nc_u64_u32 v[4:5], v1, s12, v[2:3]
	s_delay_alu instid0(VALU_DEP_1) | instskip(SKIP_1) | instid1(VALU_DEP_1)
	v_mad_u32 v5, s3, s12, v5
	s_load_b64 s[2:3], s[0:1], 0x8
	v_mad_u32 v5, v1, s13, v5
	s_wait_kmcnt 0x0
	s_delay_alu instid0(VALU_DEP_1) | instskip(SKIP_2) | instid1(SALU_CYCLE_1)
	v_cmp_gt_i64_e32 vcc_lo, s[2:3], v[4:5]
	v_cmp_gt_i64_e64 s2, s[12:13], v[2:3]
	s_and_b32 s3, s2, vcc_lo
	s_and_saveexec_b32 s9, s3
	s_cbranch_execz .LBB163_2
; %bb.1:
	v_lshl_add_u64 v[6:7], v[4:5], 2, s[10:11]
	global_load_b32 v1, v[6:7], off
	s_wait_loadcnt 0x0
	v_subrev_nc_u32_e32 v24, s14, v1
.LBB163_2:
	s_or_b32 exec_lo, exec_lo, s9
	s_and_saveexec_b32 s9, s3
	s_cbranch_execz .LBB163_4
; %bb.3:
	v_lshl_add_u64 v[4:5], v[4:5], 2, s[10:11]
	global_load_b32 v1, v[4:5], off offset:4
	s_wait_loadcnt 0x0
	v_subrev_nc_u32_e32 v31, s14, v1
.LBB163_4:
	s_or_b32 exec_lo, exec_lo, s9
	s_load_b32 s24, s[0:1], 0x50
	v_mov_b32_e32 v7, 0
	v_lshl_or_b32 v6, s8, 3, v30
	s_mov_b32 s3, exec_lo
	s_delay_alu instid0(VALU_DEP_2) | instskip(NEXT) | instid1(VALU_DEP_2)
	v_mov_b32_e32 v4, v7
	v_cmpx_gt_i64_e64 s[4:5], v[6:7]
	s_cbranch_execz .LBB163_6
; %bb.5:
	s_load_b64 s[4:5], s[0:1], 0x60
	s_wait_kmcnt 0x0
	v_lshl_add_u64 v[4:5], v[6:7], 2, s[4:5]
	global_load_b32 v1, v[4:5], off
	s_wait_loadcnt 0x0
	v_subrev_nc_u32_e32 v4, s24, v1
.LBB163_6:
	s_or_b32 exec_lo, exec_lo, s3
	v_cmp_lt_i64_e64 s3, s[6:7], 1
	s_and_b32 vcc_lo, exec_lo, s3
	s_cbranch_vccnz .LBB163_30
; %bb.7:
	v_dual_mov_b32 v6, 0 :: v_dual_bitop2_b32 v8, 3, v0 bitop3:0x40
	v_mbcnt_lo_u32_b32 v5, -1, 0
	v_dual_lshlrev_b32 v10, 4, v2 :: v_dual_lshlrev_b32 v1, 7, v2
	s_delay_alu instid0(VALU_DEP_3)
	v_mov_b32_e32 v11, v6
	s_clause 0x1
	s_load_b64 s[10:11], s[0:1], 0x58
	s_load_b64 s[4:5], s[0:1], 0x68
	v_xor_b32_e32 v7, 2, v5
	s_clause 0x2
	s_load_b64 s[18:19], s[0:1], 0x48
	s_load_b64 s[20:21], s[0:1], 0x38
	s_load_b32 s3, s[0:1], 0x0
	v_lshl_or_b32 v32, v30, 10, v1
	v_mul_u64_e32 v[0:1], s[12:13], v[2:3]
	v_mov_b32_e32 v9, v6
	v_cmp_gt_i32_e32 vcc_lo, 32, v7
	v_xor_b32_e32 v2, 1, v5
	v_lshl_or_b32 v36, v5, 2, 12
	s_mov_b32 s9, 0
	v_lshl_or_b32 v33, v8, 4, v32
	v_cndmask_b32_e32 v3, v5, v7, vcc_lo
	v_cmp_gt_i32_e32 vcc_lo, 32, v2
	v_cvt_f32_u32_e32 v7, s12
	s_mov_b32 s8, s9
	v_dual_mov_b32 v41, 1 :: v_dual_bitop2_b32 v40, 64, v33 bitop3:0x54
	v_dual_cndmask_b32 v2, v5, v2, vcc_lo :: v_dual_lshlrev_b32 v34, 2, v3
	s_delay_alu instid0(VALU_DEP_3)
	v_rcp_iflag_f32_e32 v3, v7
	v_nop
	v_xor_b32_e32 v7, 16, v5
	s_wait_kmcnt 0x0
	v_add_nc_u64_e32 v[10:11], s[10:11], v[10:11]
	v_dual_lshlrev_b32 v35, 2, v2 :: v_dual_bitop2_b32 v2, 4, v8 bitop3:0x54
	s_cmp_eq_u32 s3, 0
	v_cmp_gt_i32_e32 vcc_lo, 32, v7
	v_dual_mul_f32 v14, 0x4f7ffffe, v3 :: v_dual_mov_b32 v3, v6
	v_xor_b32_e32 v16, 8, v5
	v_mul_u64_e32 v[12:13], s[12:13], v[8:9]
	s_cselect_b32 s0, -1, 0
	s_delay_alu instid0(VALU_DEP_3)
	v_cvt_u32_f32_e32 v18, v14
	v_mul_u64_e32 v[14:15], s[12:13], v[2:3]
	s_cmp_lg_u32 s3, 0
	v_cndmask_b32_e32 v7, v5, v7, vcc_lo
	v_cmp_gt_i32_e32 vcc_lo, 32, v16
	v_xor_b32_e32 v17, 4, v5
	s_cselect_b32 s25, -1, 0
	s_sub_co_i32 s1, 0, s12
	v_lshlrev_b32_e32 v37, 2, v7
	v_mul_lo_u32 v19, s1, v18
	v_cndmask_b32_e32 v20, v5, v16, vcc_lo
	v_cmp_gt_i32_e32 vcc_lo, 32, v17
	v_cmp_gt_u64_e64 s1, s[12:13], v[2:3]
	v_mov_b32_e32 v43, 0
	s_mul_u64 s[16:17], s[12:13], s[12:13]
	s_mov_b32 s15, s9
	v_cndmask_b32_e32 v5, v5, v17, vcc_lo
	v_cmp_gt_u64_e32 vcc_lo, s[12:13], v[8:9]
	v_lshlrev_b32_e32 v9, 2, v20
	v_lshl_add_u64 v[16:17], v[0:1], 4, s[10:11]
	s_mov_b32 s10, s9
	v_lshlrev_b32_e32 v38, 2, v5
	v_mul_hi_u32 v5, v18, v19
	s_mov_b32 s11, s9
	v_mov_b64_e32 v[0:1], s[8:9]
	v_mov_b64_e32 v[20:21], 0
	;; [unrolled: 1-line block ×3, first 2 shown]
	v_mov_b32_e32 v39, 0x7c
	s_and_b32 s26, s2, vcc_lo
	s_mov_b64 s[10:11], 0xffffffff
	s_and_b32 s27, s2, s1
	s_ashr_i32 s2, s13, 31
	s_mov_b32 s28, 0
	v_add_nc_u32_e32 v42, v18, v5
	s_branch .LBB163_10
.LBB163_8:                              ;   in Loop: Header=BB163_10 Depth=1
	s_wait_xcnt 0x0
	s_or_b32 exec_lo, exec_lo, s3
	v_mov_b32_e32 v5, 1
.LBB163_9:                              ;   in Loop: Header=BB163_10 Depth=1
	s_or_b32 exec_lo, exec_lo, s1
	ds_bpermute_b32 v20, v37, v18
	ds_bpermute_b32 v21, v37, v19
	v_add_nc_u32_e32 v4, v5, v4
	s_wait_storecnt_dscnt 0x0
	v_min_i64 v[18:19], v[20:21], v[18:19]
	ds_bpermute_b32 v20, v9, v18
	ds_bpermute_b32 v21, v9, v19
	s_wait_dscnt 0x0
	v_min_i64 v[18:19], v[20:21], v[18:19]
	ds_bpermute_b32 v20, v38, v18
	ds_bpermute_b32 v21, v38, v19
	s_wait_dscnt 0x0
	;; [unrolled: 4-line block ×4, first 2 shown]
	v_min_i64 v[18:19], v[20:21], v[18:19]
	ds_bpermute_b32 v20, v39, v18
	s_wait_dscnt 0x0
	v_dual_ashrrev_i32 v21, 31, v20 :: v_dual_mov_b32 v43, v20
	s_delay_alu instid0(VALU_DEP_1) | instskip(SKIP_1) | instid1(SALU_CYCLE_1)
	v_cmp_le_i64_e32 vcc_lo, s[6:7], v[20:21]
	s_or_b32 s28, vcc_lo, s28
	s_and_not1_b32 exec_lo, exec_lo, s28
	s_cbranch_execz .LBB163_30
.LBB163_10:                             ; =>This Loop Header: Depth=1
                                        ;     Child Loop BB163_13 Depth 2
	v_mov_b64_e32 v[18:19], s[6:7]
	v_dual_mov_b32 v7, v31 :: v_dual_add_nc_u32 v22, v24, v8
	s_mov_b32 s29, exec_lo
	ds_store_b8 v30, v6 offset:8192
	ds_store_b128 v33, v[0:3]
	ds_store_b128 v33, v[0:3] offset:64
	s_wait_dscnt 0x0
	v_cmpx_lt_i32_e64 v22, v31
	s_cbranch_execz .LBB163_22
; %bb.11:                               ;   in Loop: Header=BB163_10 Depth=1
	v_mul_u64_e32 v[24:25], s[12:13], v[20:21]
	v_mov_b64_e32 v[18:19], s[6:7]
	v_mov_b32_e32 v5, v31
	s_mov_b32 s30, 0
	s_branch .LBB163_13
.LBB163_12:                             ;   in Loop: Header=BB163_13 Depth=2
	s_wait_xcnt 0x0
	s_or_b32 exec_lo, exec_lo, s1
	v_dual_mov_b32 v5, v7 :: v_dual_add_nc_u32 v22, 4, v22
	s_xor_b32 s3, vcc_lo, -1
	s_delay_alu instid0(VALU_DEP_1) | instskip(SKIP_1) | instid1(SALU_CYCLE_1)
	v_cmp_ge_i32_e64 s1, v22, v31
	s_or_b32 s1, s3, s1
	s_and_b32 s1, exec_lo, s1
	s_delay_alu instid0(SALU_CYCLE_1) | instskip(NEXT) | instid1(SALU_CYCLE_1)
	s_or_b32 s30, s1, s30
	s_and_not1_b32 exec_lo, exec_lo, s30
	s_cbranch_execz .LBB163_21
.LBB163_13:                             ;   Parent Loop BB163_10 Depth=1
                                        ; =>  This Inner Loop Header: Depth=2
	global_load_b64 v[26:27], v22, s[18:19] scale_offset
                                        ; implicit-def: $vgpr28_vgpr29
	s_mov_b32 s1, exec_lo
	s_wait_loadcnt 0x0
	v_sub_nc_u64_e64 v[26:27], v[26:27], s[14:15]
	s_delay_alu instid0(VALU_DEP_1) | instskip(SKIP_1) | instid1(VALU_DEP_1)
	v_or_b32_e32 v7, s13, v27
	s_wait_xcnt 0x0
	v_cmpx_ne_u64_e32 0, v[6:7]
	s_xor_b32 s31, exec_lo, s1
	s_cbranch_execz .LBB163_15
; %bb.14:                               ;   in Loop: Header=BB163_13 Depth=2
	s_mov_b32 s3, s2
	v_dual_mov_b32 v47, v6 :: v_dual_ashrrev_i32 v28, 31, v27
	s_add_nc_u64 s[22:23], s[12:13], s[2:3]
	v_mov_b32_e32 v51, v6
	s_xor_b64 s[22:23], s[22:23], s[2:3]
	s_delay_alu instid0(VALU_DEP_2)
	v_mov_b32_e32 v29, v28
	s_cvt_f32_u32 s1, s22
	s_cvt_f32_u32 s3, s23
	s_sub_nc_u64 s[36:37], 0, s[22:23]
	v_mov_b32_e32 v55, v6
	v_add_nc_u64_e32 v[44:45], v[26:27], v[28:29]
	s_fmamk_f32 s1, s3, 0x4f800000, s1
	s_delay_alu instid0(SALU_CYCLE_3) | instskip(NEXT) | instid1(VALU_DEP_1)
	v_s_rcp_f32 s1, s1
	v_xor_b32_e32 v46, v44, v28
	s_delay_alu instid0(VALU_DEP_2) | instskip(SKIP_1) | instid1(TRANS32_DEP_1)
	v_xor_b32_e32 v50, v45, v28
	v_xor_b32_e32 v28, s2, v28
	s_mul_f32 s1, s1, 0x5f7ffffc
	s_delay_alu instid0(SALU_CYCLE_3) | instskip(NEXT) | instid1(SALU_CYCLE_3)
	s_mul_f32 s3, s1, 0x2f800000
	s_trunc_f32 s3, s3
	s_delay_alu instid0(SALU_CYCLE_3) | instskip(SKIP_1) | instid1(SALU_CYCLE_2)
	s_fmamk_f32 s1, s3, 0xcf800000, s1
	s_cvt_u32_f32 s35, s3
	s_cvt_u32_f32 s34, s1
	s_delay_alu instid0(SALU_CYCLE_3) | instskip(NEXT) | instid1(SALU_CYCLE_1)
	s_mul_u64 s[38:39], s[36:37], s[34:35]
	s_mul_hi_u32 s41, s34, s39
	s_mul_i32 s40, s34, s39
	s_mul_hi_u32 s8, s34, s38
	s_mul_i32 s3, s35, s38
	s_add_nc_u64 s[40:41], s[8:9], s[40:41]
	s_mul_hi_u32 s1, s35, s38
	s_mul_hi_u32 s33, s35, s39
	s_add_co_u32 s3, s40, s3
	s_add_co_ci_u32 s8, s41, s1
	s_mul_i32 s38, s35, s39
	s_add_co_ci_u32 s39, s33, 0
	s_delay_alu instid0(SALU_CYCLE_1) | instskip(NEXT) | instid1(SALU_CYCLE_1)
	s_add_nc_u64 s[38:39], s[8:9], s[38:39]
	s_add_co_u32 s34, s34, s38
	s_cselect_b32 s1, -1, 0
	s_delay_alu instid0(SALU_CYCLE_1) | instskip(SKIP_1) | instid1(SALU_CYCLE_1)
	s_cmp_lg_u32 s1, 0
	s_add_co_ci_u32 s35, s35, s39
	s_mul_u64 s[36:37], s[36:37], s[34:35]
	s_delay_alu instid0(SALU_CYCLE_1)
	s_mul_hi_u32 s39, s34, s37
	s_mul_i32 s38, s34, s37
	s_mul_hi_u32 s8, s34, s36
	s_mul_i32 s3, s35, s36
	s_add_nc_u64 s[38:39], s[8:9], s[38:39]
	s_mul_hi_u32 s1, s35, s36
	s_mul_hi_u32 s33, s35, s37
	s_add_co_u32 s3, s38, s3
	s_add_co_ci_u32 s8, s39, s1
	s_mul_i32 s36, s35, s37
	s_add_co_ci_u32 s37, s33, 0
	s_delay_alu instid0(SALU_CYCLE_1) | instskip(NEXT) | instid1(SALU_CYCLE_1)
	s_add_nc_u64 s[36:37], s[8:9], s[36:37]
	s_add_co_u32 s34, s34, s36
	s_cselect_b32 s1, -1, 0
	v_mul_hi_u32 v54, v46, s34
	s_cmp_lg_u32 s1, 0
	s_add_co_ci_u32 s8, s35, s37
	s_and_b64 s[36:37], s[34:35], s[10:11]
	v_mul_u64_e32 v[48:49], s[8:9], v[46:47]
	v_mul_u64_e32 v[44:45], s[36:37], v[50:51]
	;; [unrolled: 1-line block ×3, first 2 shown]
	s_delay_alu instid0(VALU_DEP_3) | instskip(NEXT) | instid1(VALU_DEP_1)
	v_add_nc_u64_e32 v[48:49], v[54:55], v[48:49]
	v_add_co_u32 v7, vcc_lo, v48, v44
	s_delay_alu instid0(VALU_DEP_2) | instskip(NEXT) | instid1(VALU_DEP_4)
	v_add_co_ci_u32_e32 v54, vcc_lo, v49, v45, vcc_lo
	v_add_co_ci_u32_e32 v53, vcc_lo, 0, v53, vcc_lo
	s_delay_alu instid0(VALU_DEP_1) | instskip(NEXT) | instid1(VALU_DEP_1)
	v_add_nc_u64_e32 v[44:45], v[54:55], v[52:53]
	v_mul_u64_e32 v[48:49], s[22:23], v[44:45]
	s_delay_alu instid0(VALU_DEP_1) | instskip(NEXT) | instid1(VALU_DEP_2)
	v_sub_nc_u32_e32 v7, v50, v49
	v_sub_co_u32 v23, vcc_lo, v46, v48
	s_delay_alu instid0(VALU_DEP_1) | instskip(NEXT) | instid1(VALU_DEP_3)
	v_sub_co_ci_u32_e64 v27, null, v50, v49, vcc_lo
	v_subrev_co_ci_u32_e64 v7, null, s23, v7, vcc_lo
	s_delay_alu instid0(VALU_DEP_3) | instskip(SKIP_1) | instid1(VALU_DEP_3)
	v_sub_co_u32 v25, s1, v23, s22
	v_add_nc_u64_e32 v[46:47], 2, v[44:45]
	v_subrev_co_ci_u32_e64 v7, null, 0, v7, s1
	s_delay_alu instid0(VALU_DEP_3) | instskip(SKIP_2) | instid1(VALU_DEP_4)
	v_cmp_le_u32_e32 vcc_lo, s22, v25
	v_add_nc_u64_e32 v[48:49], 1, v[44:45]
	v_cndmask_b32_e64 v25, 0, -1, vcc_lo
	v_cmp_le_u32_e32 vcc_lo, s23, v7
	v_cndmask_b32_e64 v29, 0, -1, vcc_lo
	v_cmp_le_u32_e32 vcc_lo, s22, v23
	;; [unrolled: 2-line block ×3, first 2 shown]
	v_cndmask_b32_e64 v50, 0, -1, vcc_lo
	v_cmp_eq_u32_e32 vcc_lo, s23, v7
	v_cndmask_b32_e32 v7, v29, v25, vcc_lo
	v_cmp_eq_u32_e32 vcc_lo, s23, v27
	s_delay_alu instid0(VALU_DEP_4) | instskip(NEXT) | instid1(VALU_DEP_3)
	v_dual_mov_b32 v29, v28 :: v_dual_cndmask_b32 v23, v50, v23, vcc_lo
	v_cmp_ne_u32_e32 vcc_lo, 0, v7
	s_delay_alu instid0(VALU_DEP_2) | instskip(SKIP_1) | instid1(VALU_DEP_1)
	v_cmp_ne_u32_e64 s1, 0, v23
	v_dual_cndmask_b32 v7, v49, v47, vcc_lo :: v_dual_cndmask_b32 v23, v48, v46, vcc_lo
	v_cndmask_b32_e64 v23, v44, v23, s1
	s_delay_alu instid0(VALU_DEP_1) | instskip(NEXT) | instid1(VALU_DEP_1)
	v_dual_cndmask_b32 v7, v45, v7, s1 :: v_dual_bitop2_b32 v44, v23, v28 bitop3:0x14
	v_xor_b32_e32 v45, v7, v28
	s_delay_alu instid0(VALU_DEP_1)
	v_sub_nc_u64_e32 v[28:29], v[44:45], v[28:29]
.LBB163_15:                             ;   in Loop: Header=BB163_13 Depth=2
	s_and_not1_saveexec_b32 s1, s31
	s_cbranch_execz .LBB163_17
; %bb.16:                               ;   in Loop: Header=BB163_13 Depth=2
	v_mul_hi_u32 v7, v26, v42
	s_delay_alu instid0(VALU_DEP_1) | instskip(SKIP_1) | instid1(VALU_DEP_1)
	v_dual_mov_b32 v29, v6 :: v_dual_add_nc_u32 v25, 1, v7
	v_mul_lo_u32 v23, v7, s12
	v_sub_nc_u32_e32 v23, v26, v23
	s_delay_alu instid0(VALU_DEP_1) | instskip(NEXT) | instid1(VALU_DEP_4)
	v_cmp_le_u32_e32 vcc_lo, s12, v23
	v_cndmask_b32_e32 v7, v7, v25, vcc_lo
	v_subrev_nc_u32_e32 v27, s12, v23
	s_delay_alu instid0(VALU_DEP_2) | instskip(NEXT) | instid1(VALU_DEP_2)
	v_add_nc_u32_e32 v25, 1, v7
	v_cndmask_b32_e32 v23, v23, v27, vcc_lo
	s_delay_alu instid0(VALU_DEP_1) | instskip(NEXT) | instid1(VALU_DEP_3)
	v_cmp_le_u32_e32 vcc_lo, s12, v23
	v_cndmask_b32_e32 v28, v7, v25, vcc_lo
.LBB163_17:                             ;   in Loop: Header=BB163_13 Depth=2
	s_or_b32 exec_lo, exec_lo, s1
	s_delay_alu instid0(VALU_DEP_1) | instskip(SKIP_2) | instid1(SALU_CYCLE_1)
	v_cmp_ne_u64_e64 s1, v[28:29], v[20:21]
	v_cmp_eq_u64_e32 vcc_lo, v[28:29], v[20:21]
	s_and_saveexec_b32 s3, s1
	s_xor_b32 s1, exec_lo, s3
; %bb.18:                               ;   in Loop: Header=BB163_13 Depth=2
	v_min_i64 v[18:19], v[28:29], v[18:19]
                                        ; implicit-def: $vgpr26_vgpr27
                                        ; implicit-def: $vgpr5
; %bb.19:                               ;   in Loop: Header=BB163_13 Depth=2
	s_or_saveexec_b32 s1, s1
	v_mov_b32_e32 v7, v22
	s_xor_b32 exec_lo, exec_lo, s1
	s_cbranch_execz .LBB163_12
; %bb.20:                               ;   in Loop: Header=BB163_13 Depth=2
	v_dual_ashrrev_i32 v23, 31, v22 :: v_dual_sub_nc_u32 v7, v26, v24
	s_delay_alu instid0(VALU_DEP_1) | instskip(NEXT) | instid1(VALU_DEP_2)
	v_lshl_add_u64 v[28:29], v[22:23], 4, s[20:21]
	v_lshl_add_u32 v23, v7, 4, v32
	v_mov_b32_e32 v7, v5
	global_load_b128 v[44:47], v[28:29], off
	ds_store_b8 v30, v41 offset:8192
	s_wait_loadcnt 0x0
	ds_store_2addr_b64 v23, v[44:45], v[46:47] offset1:1
	s_branch .LBB163_12
.LBB163_21:                             ;   in Loop: Header=BB163_10 Depth=1
	s_or_b32 exec_lo, exec_lo, s30
.LBB163_22:                             ;   in Loop: Header=BB163_10 Depth=1
	s_delay_alu instid0(SALU_CYCLE_1)
	s_or_b32 exec_lo, exec_lo, s29
	ds_bpermute_b32 v5, v34, v7
	s_wait_dscnt 0x0
	ds_load_u8 v20, v30 offset:8192
	v_min_i32_e32 v5, v5, v7
	ds_bpermute_b32 v7, v35, v5
	s_wait_dscnt 0x0
	v_min_i32_e32 v5, v7, v5
	ds_bpermute_b32 v24, v36, v5
	v_and_b32_e32 v5, 1, v20
	s_delay_alu instid0(VALU_DEP_1)
	v_cmp_eq_u32_e32 vcc_lo, 1, v5
	v_mov_b32_e32 v5, 0
	s_and_saveexec_b32 s1, vcc_lo
	s_cbranch_execz .LBB163_9
; %bb.23:                               ;   in Loop: Header=BB163_10 Depth=1
	v_dual_ashrrev_i32 v5, 31, v4 :: v_dual_add_nc_u32 v26, s24, v43
	s_delay_alu instid0(VALU_DEP_1) | instskip(NEXT) | instid1(VALU_DEP_2)
	v_mul_u64_e32 v[20:21], s[16:17], v[4:5]
	v_ashrrev_i32_e32 v27, 31, v26
	global_store_b64 v4, v[26:27], s[4:5] scale_offset
	v_lshlrev_b64_e32 v[20:21], 4, v[20:21]
	s_delay_alu instid0(VALU_DEP_1)
	v_add_nc_u64_e32 v[22:23], v[10:11], v[20:21]
	v_add_nc_u64_e32 v[20:21], v[16:17], v[20:21]
	s_wait_xcnt 0x0
	s_and_saveexec_b32 s3, s26
	s_cbranch_execz .LBB163_25
; %bb.24:                               ;   in Loop: Header=BB163_10 Depth=1
	ds_load_2addr_b64 v[26:29], v33 offset1:1
	v_dual_mov_b32 v45, v6 :: v_dual_lshlrev_b32 v44, 4, v8
	v_lshl_add_u64 v[46:47], v[12:13], 4, v[22:23]
	s_delay_alu instid0(VALU_DEP_2) | instskip(NEXT) | instid1(VALU_DEP_1)
	v_add_nc_u64_e32 v[44:45], v[20:21], v[44:45]
	v_dual_cndmask_b32 v45, v47, v45, s0 :: v_dual_cndmask_b32 v44, v46, v44, s0
	s_wait_dscnt 0x0
	global_store_b128 v[44:45], v[26:29], off
.LBB163_25:                             ;   in Loop: Header=BB163_10 Depth=1
	s_wait_xcnt 0x0
	s_or_b32 exec_lo, exec_lo, s3
	s_and_saveexec_b32 s3, s27
	s_cbranch_execz .LBB163_8
; %bb.26:                               ;   in Loop: Header=BB163_10 Depth=1
	s_and_not1_b32 vcc_lo, exec_lo, s25
	s_mov_b32 s8, -1
	s_cbranch_vccnz .LBB163_28
; %bb.27:                               ;   in Loop: Header=BB163_10 Depth=1
	ds_load_2addr_b64 v[26:29], v40 offset1:1
	v_lshl_add_u64 v[22:23], v[14:15], 4, v[22:23]
	s_mov_b32 s8, 0
	s_wait_dscnt 0x0
	global_store_b128 v[22:23], v[26:29], off
.LBB163_28:                             ;   in Loop: Header=BB163_10 Depth=1
	s_and_not1_b32 vcc_lo, exec_lo, s8
	s_cbranch_vccnz .LBB163_8
; %bb.29:                               ;   in Loop: Header=BB163_10 Depth=1
	s_wait_xcnt 0x0
	ds_load_2addr_b64 v[26:29], v40 offset1:1
	v_dual_mov_b32 v23, v6 :: v_dual_lshlrev_b32 v22, 4, v8
	s_delay_alu instid0(VALU_DEP_1)
	v_add_nc_u64_e32 v[20:21], v[20:21], v[22:23]
	s_wait_dscnt 0x0
	global_store_b128 v[20:21], v[26:29], off offset:64
	s_branch .LBB163_8
.LBB163_30:
	s_endpgm
	.section	.rodata,"a",@progbits
	.p2align	6, 0x0
	.amdhsa_kernel _ZN9rocsparseL42csr2bsr_wavefront_per_row_multipass_kernelILj256ELj32ELj8E21rocsparse_complex_numIdEilEEv20rocsparse_direction_T4_S4_S4_S4_S4_21rocsparse_index_base_PKT2_PKT3_PKS4_S5_PS6_PS9_PS4_
		.amdhsa_group_segment_fixed_size 8200
		.amdhsa_private_segment_fixed_size 0
		.amdhsa_kernarg_size 112
		.amdhsa_user_sgpr_count 2
		.amdhsa_user_sgpr_dispatch_ptr 0
		.amdhsa_user_sgpr_queue_ptr 0
		.amdhsa_user_sgpr_kernarg_segment_ptr 1
		.amdhsa_user_sgpr_dispatch_id 0
		.amdhsa_user_sgpr_kernarg_preload_length 0
		.amdhsa_user_sgpr_kernarg_preload_offset 0
		.amdhsa_user_sgpr_private_segment_size 0
		.amdhsa_wavefront_size32 1
		.amdhsa_uses_dynamic_stack 0
		.amdhsa_enable_private_segment 0
		.amdhsa_system_sgpr_workgroup_id_x 1
		.amdhsa_system_sgpr_workgroup_id_y 0
		.amdhsa_system_sgpr_workgroup_id_z 0
		.amdhsa_system_sgpr_workgroup_info 0
		.amdhsa_system_vgpr_workitem_id 0
		.amdhsa_next_free_vgpr 56
		.amdhsa_next_free_sgpr 42
		.amdhsa_named_barrier_count 0
		.amdhsa_reserve_vcc 1
		.amdhsa_float_round_mode_32 0
		.amdhsa_float_round_mode_16_64 0
		.amdhsa_float_denorm_mode_32 3
		.amdhsa_float_denorm_mode_16_64 3
		.amdhsa_fp16_overflow 0
		.amdhsa_memory_ordered 1
		.amdhsa_forward_progress 1
		.amdhsa_inst_pref_size 18
		.amdhsa_round_robin_scheduling 0
		.amdhsa_exception_fp_ieee_invalid_op 0
		.amdhsa_exception_fp_denorm_src 0
		.amdhsa_exception_fp_ieee_div_zero 0
		.amdhsa_exception_fp_ieee_overflow 0
		.amdhsa_exception_fp_ieee_underflow 0
		.amdhsa_exception_fp_ieee_inexact 0
		.amdhsa_exception_int_div_zero 0
	.end_amdhsa_kernel
	.section	.text._ZN9rocsparseL42csr2bsr_wavefront_per_row_multipass_kernelILj256ELj32ELj8E21rocsparse_complex_numIdEilEEv20rocsparse_direction_T4_S4_S4_S4_S4_21rocsparse_index_base_PKT2_PKT3_PKS4_S5_PS6_PS9_PS4_,"axG",@progbits,_ZN9rocsparseL42csr2bsr_wavefront_per_row_multipass_kernelILj256ELj32ELj8E21rocsparse_complex_numIdEilEEv20rocsparse_direction_T4_S4_S4_S4_S4_21rocsparse_index_base_PKT2_PKT3_PKS4_S5_PS6_PS9_PS4_,comdat
.Lfunc_end163:
	.size	_ZN9rocsparseL42csr2bsr_wavefront_per_row_multipass_kernelILj256ELj32ELj8E21rocsparse_complex_numIdEilEEv20rocsparse_direction_T4_S4_S4_S4_S4_21rocsparse_index_base_PKT2_PKT3_PKS4_S5_PS6_PS9_PS4_, .Lfunc_end163-_ZN9rocsparseL42csr2bsr_wavefront_per_row_multipass_kernelILj256ELj32ELj8E21rocsparse_complex_numIdEilEEv20rocsparse_direction_T4_S4_S4_S4_S4_21rocsparse_index_base_PKT2_PKT3_PKS4_S5_PS6_PS9_PS4_
                                        ; -- End function
	.set _ZN9rocsparseL42csr2bsr_wavefront_per_row_multipass_kernelILj256ELj32ELj8E21rocsparse_complex_numIdEilEEv20rocsparse_direction_T4_S4_S4_S4_S4_21rocsparse_index_base_PKT2_PKT3_PKS4_S5_PS6_PS9_PS4_.num_vgpr, 56
	.set _ZN9rocsparseL42csr2bsr_wavefront_per_row_multipass_kernelILj256ELj32ELj8E21rocsparse_complex_numIdEilEEv20rocsparse_direction_T4_S4_S4_S4_S4_21rocsparse_index_base_PKT2_PKT3_PKS4_S5_PS6_PS9_PS4_.num_agpr, 0
	.set _ZN9rocsparseL42csr2bsr_wavefront_per_row_multipass_kernelILj256ELj32ELj8E21rocsparse_complex_numIdEilEEv20rocsparse_direction_T4_S4_S4_S4_S4_21rocsparse_index_base_PKT2_PKT3_PKS4_S5_PS6_PS9_PS4_.numbered_sgpr, 42
	.set _ZN9rocsparseL42csr2bsr_wavefront_per_row_multipass_kernelILj256ELj32ELj8E21rocsparse_complex_numIdEilEEv20rocsparse_direction_T4_S4_S4_S4_S4_21rocsparse_index_base_PKT2_PKT3_PKS4_S5_PS6_PS9_PS4_.num_named_barrier, 0
	.set _ZN9rocsparseL42csr2bsr_wavefront_per_row_multipass_kernelILj256ELj32ELj8E21rocsparse_complex_numIdEilEEv20rocsparse_direction_T4_S4_S4_S4_S4_21rocsparse_index_base_PKT2_PKT3_PKS4_S5_PS6_PS9_PS4_.private_seg_size, 0
	.set _ZN9rocsparseL42csr2bsr_wavefront_per_row_multipass_kernelILj256ELj32ELj8E21rocsparse_complex_numIdEilEEv20rocsparse_direction_T4_S4_S4_S4_S4_21rocsparse_index_base_PKT2_PKT3_PKS4_S5_PS6_PS9_PS4_.uses_vcc, 1
	.set _ZN9rocsparseL42csr2bsr_wavefront_per_row_multipass_kernelILj256ELj32ELj8E21rocsparse_complex_numIdEilEEv20rocsparse_direction_T4_S4_S4_S4_S4_21rocsparse_index_base_PKT2_PKT3_PKS4_S5_PS6_PS9_PS4_.uses_flat_scratch, 0
	.set _ZN9rocsparseL42csr2bsr_wavefront_per_row_multipass_kernelILj256ELj32ELj8E21rocsparse_complex_numIdEilEEv20rocsparse_direction_T4_S4_S4_S4_S4_21rocsparse_index_base_PKT2_PKT3_PKS4_S5_PS6_PS9_PS4_.has_dyn_sized_stack, 0
	.set _ZN9rocsparseL42csr2bsr_wavefront_per_row_multipass_kernelILj256ELj32ELj8E21rocsparse_complex_numIdEilEEv20rocsparse_direction_T4_S4_S4_S4_S4_21rocsparse_index_base_PKT2_PKT3_PKS4_S5_PS6_PS9_PS4_.has_recursion, 0
	.set _ZN9rocsparseL42csr2bsr_wavefront_per_row_multipass_kernelILj256ELj32ELj8E21rocsparse_complex_numIdEilEEv20rocsparse_direction_T4_S4_S4_S4_S4_21rocsparse_index_base_PKT2_PKT3_PKS4_S5_PS6_PS9_PS4_.has_indirect_call, 0
	.section	.AMDGPU.csdata,"",@progbits
; Kernel info:
; codeLenInByte = 2256
; TotalNumSgprs: 44
; NumVgprs: 56
; ScratchSize: 0
; MemoryBound: 0
; FloatMode: 240
; IeeeMode: 1
; LDSByteSize: 8200 bytes/workgroup (compile time only)
; SGPRBlocks: 0
; VGPRBlocks: 3
; NumSGPRsForWavesPerEU: 44
; NumVGPRsForWavesPerEU: 56
; NamedBarCnt: 0
; Occupancy: 16
; WaveLimiterHint : 0
; COMPUTE_PGM_RSRC2:SCRATCH_EN: 0
; COMPUTE_PGM_RSRC2:USER_SGPR: 2
; COMPUTE_PGM_RSRC2:TRAP_HANDLER: 0
; COMPUTE_PGM_RSRC2:TGID_X_EN: 1
; COMPUTE_PGM_RSRC2:TGID_Y_EN: 0
; COMPUTE_PGM_RSRC2:TGID_Z_EN: 0
; COMPUTE_PGM_RSRC2:TIDIG_COMP_CNT: 0
	.section	.text._ZN9rocsparseL42csr2bsr_wavefront_per_row_multipass_kernelILj256ELj64ELj16E21rocsparse_complex_numIdEilEEv20rocsparse_direction_T4_S4_S4_S4_S4_21rocsparse_index_base_PKT2_PKT3_PKS4_S5_PS6_PS9_PS4_,"axG",@progbits,_ZN9rocsparseL42csr2bsr_wavefront_per_row_multipass_kernelILj256ELj64ELj16E21rocsparse_complex_numIdEilEEv20rocsparse_direction_T4_S4_S4_S4_S4_21rocsparse_index_base_PKT2_PKT3_PKS4_S5_PS6_PS9_PS4_,comdat
	.globl	_ZN9rocsparseL42csr2bsr_wavefront_per_row_multipass_kernelILj256ELj64ELj16E21rocsparse_complex_numIdEilEEv20rocsparse_direction_T4_S4_S4_S4_S4_21rocsparse_index_base_PKT2_PKT3_PKS4_S5_PS6_PS9_PS4_ ; -- Begin function _ZN9rocsparseL42csr2bsr_wavefront_per_row_multipass_kernelILj256ELj64ELj16E21rocsparse_complex_numIdEilEEv20rocsparse_direction_T4_S4_S4_S4_S4_21rocsparse_index_base_PKT2_PKT3_PKS4_S5_PS6_PS9_PS4_
	.p2align	8
	.type	_ZN9rocsparseL42csr2bsr_wavefront_per_row_multipass_kernelILj256ELj64ELj16E21rocsparse_complex_numIdEilEEv20rocsparse_direction_T4_S4_S4_S4_S4_21rocsparse_index_base_PKT2_PKT3_PKS4_S5_PS6_PS9_PS4_,@function
_ZN9rocsparseL42csr2bsr_wavefront_per_row_multipass_kernelILj256ELj64ELj16E21rocsparse_complex_numIdEilEEv20rocsparse_direction_T4_S4_S4_S4_S4_21rocsparse_index_base_PKT2_PKT3_PKS4_S5_PS6_PS9_PS4_: ; @_ZN9rocsparseL42csr2bsr_wavefront_per_row_multipass_kernelILj256ELj64ELj16E21rocsparse_complex_numIdEilEEv20rocsparse_direction_T4_S4_S4_S4_S4_21rocsparse_index_base_PKT2_PKT3_PKS4_S5_PS6_PS9_PS4_
; %bb.0:
	s_bfe_u32 s2, ttmp6, 0x4000c
	s_clause 0x1
	s_load_b96 s[12:14], s[0:1], 0x28
	s_load_b64 s[10:11], s[0:1], 0x40
	s_add_co_i32 s2, s2, 1
	s_and_b32 s3, ttmp6, 15
	s_mul_i32 s2, ttmp9, s2
	s_getreg_b32 s4, hwreg(HW_REG_IB_STS2, 6, 4)
	s_add_co_i32 s3, s3, s2
	s_cmp_eq_u32 s4, 0
	v_dual_mov_b32 v37, 0 :: v_dual_lshrrev_b32 v36, 6, v0
	s_cselect_b32 s8, ttmp9, s3
	v_bfe_u32 v2, v0, 2, 4
	s_ashr_i32 s9, s8, 31
	v_mov_b32_e32 v30, 0
	s_lshl_b64 s[2:3], s[8:9], 2
	s_delay_alu instid0(SALU_CYCLE_1) | instskip(SKIP_2) | instid1(VALU_DEP_1)
	v_dual_mov_b32 v3, v37 :: v_dual_bitop2_b32 v1, s2, v36 bitop3:0x54
	s_load_b128 s[4:7], s[0:1], 0x18
	s_wait_kmcnt 0x0
	v_mad_nc_u64_u32 v[4:5], v1, s12, v[2:3]
	s_delay_alu instid0(VALU_DEP_1) | instskip(SKIP_1) | instid1(VALU_DEP_1)
	v_mad_u32 v5, s3, s12, v5
	s_load_b64 s[2:3], s[0:1], 0x8
	v_mad_u32 v5, v1, s13, v5
	s_wait_kmcnt 0x0
	s_delay_alu instid0(VALU_DEP_1) | instskip(SKIP_2) | instid1(SALU_CYCLE_1)
	v_cmp_gt_i64_e32 vcc_lo, s[2:3], v[4:5]
	v_cmp_gt_i64_e64 s2, s[12:13], v[2:3]
	s_and_b32 s3, s2, vcc_lo
	s_and_saveexec_b32 s9, s3
	s_cbranch_execz .LBB164_2
; %bb.1:
	v_lshl_add_u64 v[6:7], v[4:5], 2, s[10:11]
	global_load_b32 v1, v[6:7], off
	s_wait_loadcnt 0x0
	v_subrev_nc_u32_e32 v30, s14, v1
.LBB164_2:
	s_or_b32 exec_lo, exec_lo, s9
	s_and_saveexec_b32 s9, s3
	s_cbranch_execz .LBB164_4
; %bb.3:
	v_lshl_add_u64 v[4:5], v[4:5], 2, s[10:11]
	global_load_b32 v1, v[4:5], off offset:4
	s_wait_loadcnt 0x0
	v_subrev_nc_u32_e32 v37, s14, v1
.LBB164_4:
	s_or_b32 exec_lo, exec_lo, s9
	s_load_b32 s24, s[0:1], 0x50
	v_mov_b32_e32 v7, 0
	v_lshl_or_b32 v6, s8, 2, v36
	s_mov_b32 s3, exec_lo
	s_delay_alu instid0(VALU_DEP_2) | instskip(NEXT) | instid1(VALU_DEP_2)
	v_mov_b32_e32 v4, v7
	v_cmpx_gt_i64_e64 s[4:5], v[6:7]
	s_cbranch_execz .LBB164_6
; %bb.5:
	s_load_b64 s[4:5], s[0:1], 0x60
	s_wait_kmcnt 0x0
	v_lshl_add_u64 v[4:5], v[6:7], 2, s[4:5]
	global_load_b32 v1, v[4:5], off
	s_wait_loadcnt 0x0
	v_subrev_nc_u32_e32 v4, s24, v1
.LBB164_6:
	s_or_b32 exec_lo, exec_lo, s3
	v_cmp_lt_i64_e64 s3, s[6:7], 1
	s_and_b32 vcc_lo, exec_lo, s3
	s_cbranch_vccnz .LBB164_40
; %bb.7:
	v_mbcnt_lo_u32_b32 v1, -1, 0
	v_mul_u64_e32 v[12:13], s[12:13], v[2:3]
	v_dual_lshlrev_b32 v10, 4, v2 :: v_dual_mov_b32 v6, 0
	s_delay_alu instid0(VALU_DEP_3)
	v_dual_lshlrev_b32 v2, 8, v2 :: v_dual_bitop2_b32 v3, 2, v1 bitop3:0x14
	v_and_b32_e32 v8, 3, v0
	s_clause 0x4
	s_load_b64 s[4:5], s[0:1], 0x58
	s_load_b64 s[16:17], s[0:1], 0x68
	;; [unrolled: 1-line block ×4, first 2 shown]
	s_load_b32 s3, s[0:1], 0x0
	v_lshl_or_b32 v38, v36, 12, v2
	v_cmp_gt_i32_e32 vcc_lo, 32, v3
	v_xor_b32_e32 v0, 1, v1
	v_cvt_f32_u32_e32 v5, s12
	v_mov_b32_e32 v11, v6
	v_lshl_or_b32 v39, v8, 4, v38
	v_cndmask_b32_e32 v2, v1, v3, vcc_lo
	v_cmp_gt_i32_e32 vcc_lo, 32, v0
	v_rcp_iflag_f32_e32 v5, v5
	v_lshl_or_b32 v42, v1, 2, 12
	s_delay_alu instid0(VALU_DEP_3)
	v_dual_mov_b32 v23, v6 :: v_dual_lshlrev_b32 v40, 2, v2
	v_cndmask_b32_e32 v0, v1, v0, vcc_lo
	s_mov_b32 s9, 0
	v_mov_b64_e32 v[26:27], 0
	s_mov_b32 s8, s9
	s_mov_b32 s10, s9
	v_dual_lshlrev_b32 v41, 2, v0 :: v_dual_bitop2_b32 v0, 32, v1 bitop3:0x54
	s_wait_kmcnt 0x0
	s_cmp_eq_u32 s3, 0
	v_add_nc_u64_e32 v[10:11], s[4:5], v[10:11]
	s_cselect_b32 s0, -1, 0
	s_cmp_lg_u32 s3, 0
	v_cmp_gt_i32_e32 vcc_lo, 32, v0
	v_xor_b32_e32 v2, 16, v1
	s_cselect_b32 s25, -1, 0
	s_sub_co_i32 s1, 0, s12
	v_lshl_add_u64 v[12:13], v[12:13], 4, s[4:5]
	v_cndmask_b32_e32 v0, v1, v0, vcc_lo
	v_cmp_gt_i32_e32 vcc_lo, 32, v2
	v_xor_b32_e32 v3, 8, v1
	s_mov_b32 s11, s9
	v_bfrev_b32_e32 v47, 0.5
	v_or_b32_e32 v48, 0x80, v39
	v_cndmask_b32_e32 v2, v1, v2, vcc_lo
	v_cmp_gt_i32_e32 vcc_lo, 32, v3
	v_dual_lshlrev_b32 v43, 2, v0 :: v_dual_bitop2_b32 v7, 4, v1 bitop3:0x14
	v_or_b32_e32 v49, 0xc0, v39
	s_delay_alu instid0(VALU_DEP_4) | instskip(NEXT) | instid1(VALU_DEP_3)
	v_dual_cndmask_b32 v3, v1, v3 :: v_dual_lshlrev_b32 v44, 2, v2
	v_cmp_gt_i32_e32 vcc_lo, 32, v7
	v_dual_mov_b32 v9, v6 :: v_dual_bitop2_b32 v22, 12, v8 bitop3:0x54
	s_mul_u64 s[18:19], s[12:13], s[12:13]
	s_delay_alu instid0(VALU_DEP_3) | instskip(SKIP_3) | instid1(VALU_DEP_3)
	v_lshlrev_b32_e32 v45, 2, v3
	v_dual_cndmask_b32 v7, v1, v7, vcc_lo :: v_dual_bitop2_b32 v0, 4, v8 bitop3:0x54
	v_dual_mov_b32 v1, v6 :: v_dual_bitop2_b32 v2, 8, v8 bitop3:0x54
	v_mov_b32_e32 v3, v6
	v_dual_mul_f32 v5, 0x4f7ffffe, v5 :: v_dual_lshlrev_b32 v46, 2, v7
	v_mul_u64_e32 v[14:15], s[12:13], v[8:9]
	s_delay_alu instid0(VALU_DEP_4) | instskip(NEXT) | instid1(VALU_DEP_4)
	v_mul_u64_e32 v[16:17], s[12:13], v[0:1]
	v_mul_u64_e32 v[18:19], s[12:13], v[2:3]
	s_delay_alu instid0(VALU_DEP_4)
	v_cvt_u32_f32_e32 v5, v5
	v_cmp_gt_u64_e32 vcc_lo, s[12:13], v[8:9]
	v_or_b32_e32 v9, 64, v39
	v_mul_u64_e32 v[20:21], s[12:13], v[22:23]
	v_cmp_gt_u64_e64 s3, s[12:13], v[2:3]
	v_mul_lo_u32 v7, s1, v5
	v_cmp_gt_u64_e64 s1, s[12:13], v[0:1]
	v_cmp_gt_u64_e64 s4, s[12:13], v[22:23]
	v_mov_b64_e32 v[0:1], s[8:9]
	v_mov_b64_e32 v[2:3], s[10:11]
	v_dual_mov_b32 v23, 0 :: v_dual_lshlrev_b32 v22, 4, v8
	s_mov_b32 s15, s9
	s_and_b32 s26, s2, vcc_lo
	s_and_b32 s27, s2, s1
	s_and_b32 s28, s2, s3
	v_mul_hi_u32 v7, v5, v7
	v_mov_b32_e32 v50, 1
	s_mov_b64 s[10:11], 0xffffffff
	s_and_b32 s29, s2, s4
	s_ashr_i32 s2, s13, 31
	s_mov_b32 s30, 0
	s_delay_alu instid0(VALU_DEP_2)
	v_add_nc_u32_e32 v51, v5, v7
	s_branch .LBB164_10
.LBB164_8:                              ;   in Loop: Header=BB164_10 Depth=1
	s_wait_xcnt 0x0
	s_or_b32 exec_lo, exec_lo, s3
	v_mov_b32_e32 v5, 1
.LBB164_9:                              ;   in Loop: Header=BB164_10 Depth=1
	s_or_b32 exec_lo, exec_lo, s1
	ds_bpermute_b32 v26, v43, v24
	ds_bpermute_b32 v27, v43, v25
	s_wait_storecnt_dscnt 0x0
	v_add_nc_u32_e32 v4, v5, v4
	v_min_i64 v[24:25], v[26:27], v[24:25]
	ds_bpermute_b32 v26, v44, v24
	ds_bpermute_b32 v27, v44, v25
	s_wait_dscnt 0x0
	v_min_i64 v[24:25], v[26:27], v[24:25]
	ds_bpermute_b32 v26, v45, v24
	ds_bpermute_b32 v27, v45, v25
	s_wait_dscnt 0x0
	;; [unrolled: 4-line block ×5, first 2 shown]
	v_min_i64 v[24:25], v[26:27], v[24:25]
	ds_bpermute_b32 v26, v47, v24
	s_wait_dscnt 0x0
	v_dual_ashrrev_i32 v27, 31, v26 :: v_dual_mov_b32 v23, v26
	s_delay_alu instid0(VALU_DEP_1) | instskip(SKIP_1) | instid1(SALU_CYCLE_1)
	v_cmp_le_i64_e32 vcc_lo, s[6:7], v[26:27]
	s_or_b32 s30, vcc_lo, s30
	s_and_not1_b32 exec_lo, exec_lo, s30
	s_cbranch_execz .LBB164_40
.LBB164_10:                             ; =>This Loop Header: Depth=1
                                        ;     Child Loop BB164_13 Depth 2
	v_mov_b64_e32 v[24:25], s[6:7]
	v_dual_mov_b32 v7, v37 :: v_dual_add_nc_u32 v28, v30, v8
	s_mov_b32 s31, exec_lo
	ds_store_b8 v36, v6 offset:16384
	ds_store_b128 v39, v[0:3]
	ds_store_b128 v39, v[0:3] offset:64
	ds_store_b128 v39, v[0:3] offset:128
	;; [unrolled: 1-line block ×3, first 2 shown]
	s_wait_dscnt 0x0
	v_cmpx_lt_i32_e64 v28, v37
	s_cbranch_execz .LBB164_22
; %bb.11:                               ;   in Loop: Header=BB164_10 Depth=1
	v_mul_u64_e32 v[30:31], s[12:13], v[26:27]
	v_mov_b64_e32 v[24:25], s[6:7]
	v_mov_b32_e32 v5, v37
	s_mov_b32 s33, 0
	s_branch .LBB164_13
.LBB164_12:                             ;   in Loop: Header=BB164_13 Depth=2
	s_wait_xcnt 0x0
	s_or_b32 exec_lo, exec_lo, s1
	v_dual_mov_b32 v5, v7 :: v_dual_add_nc_u32 v28, 4, v28
	s_xor_b32 s3, vcc_lo, -1
	s_delay_alu instid0(VALU_DEP_1) | instskip(SKIP_1) | instid1(SALU_CYCLE_1)
	v_cmp_ge_i32_e64 s1, v28, v37
	s_or_b32 s1, s3, s1
	s_and_b32 s1, exec_lo, s1
	s_delay_alu instid0(SALU_CYCLE_1) | instskip(NEXT) | instid1(SALU_CYCLE_1)
	s_or_b32 s33, s1, s33
	s_and_not1_b32 exec_lo, exec_lo, s33
	s_cbranch_execz .LBB164_21
.LBB164_13:                             ;   Parent Loop BB164_10 Depth=1
                                        ; =>  This Inner Loop Header: Depth=2
	global_load_b64 v[32:33], v28, s[20:21] scale_offset
                                        ; implicit-def: $vgpr34_vgpr35
	s_mov_b32 s1, exec_lo
	s_wait_loadcnt 0x0
	v_sub_nc_u64_e64 v[32:33], v[32:33], s[14:15]
	s_delay_alu instid0(VALU_DEP_1) | instskip(SKIP_1) | instid1(VALU_DEP_1)
	v_or_b32_e32 v7, s13, v33
	s_wait_xcnt 0x0
	v_cmpx_ne_u64_e32 0, v[6:7]
	s_xor_b32 s34, exec_lo, s1
	s_cbranch_execz .LBB164_15
; %bb.14:                               ;   in Loop: Header=BB164_13 Depth=2
	s_mov_b32 s3, s2
	v_dual_mov_b32 v55, v6 :: v_dual_ashrrev_i32 v34, 31, v33
	s_add_nc_u64 s[4:5], s[12:13], s[2:3]
	v_mov_b32_e32 v63, v6
	s_xor_b64 s[4:5], s[4:5], s[2:3]
	s_delay_alu instid0(VALU_DEP_2) | instskip(SKIP_3) | instid1(VALU_DEP_1)
	v_mov_b32_e32 v35, v34
	s_cvt_f32_u32 s1, s4
	s_cvt_f32_u32 s3, s5
	s_sub_nc_u64 s[38:39], 0, s[4:5]
	v_add_nc_u64_e32 v[52:53], v[32:33], v[34:35]
	s_delay_alu instid0(SALU_CYCLE_1) | instskip(SKIP_1) | instid1(SALU_CYCLE_2)
	s_fmamk_f32 s1, s3, 0x4f800000, s1
	v_mov_b32_e32 v59, v6
	v_s_rcp_f32 s1, s1
	s_delay_alu instid0(VALU_DEP_2) | instskip(NEXT) | instid1(VALU_DEP_3)
	v_xor_b32_e32 v54, v52, v34
	v_xor_b32_e32 v58, v53, v34
	s_delay_alu instid0(TRANS32_DEP_1) | instskip(NEXT) | instid1(SALU_CYCLE_3)
	s_mul_f32 s1, s1, 0x5f7ffffc
	s_mul_f32 s3, s1, 0x2f800000
	s_delay_alu instid0(SALU_CYCLE_3) | instskip(NEXT) | instid1(SALU_CYCLE_3)
	s_trunc_f32 s3, s3
	s_fmamk_f32 s1, s3, 0xcf800000, s1
	s_cvt_u32_f32 s37, s3
	s_delay_alu instid0(SALU_CYCLE_2) | instskip(NEXT) | instid1(SALU_CYCLE_3)
	s_cvt_u32_f32 s36, s1
	s_mul_u64 s[40:41], s[38:39], s[36:37]
	s_delay_alu instid0(SALU_CYCLE_1)
	s_mul_hi_u32 s43, s36, s41
	s_mul_i32 s42, s36, s41
	s_mul_hi_u32 s8, s36, s40
	s_mul_i32 s3, s37, s40
	s_add_nc_u64 s[42:43], s[8:9], s[42:43]
	s_mul_hi_u32 s1, s37, s40
	s_mul_hi_u32 s35, s37, s41
	s_add_co_u32 s3, s42, s3
	s_add_co_ci_u32 s8, s43, s1
	s_mul_i32 s40, s37, s41
	s_add_co_ci_u32 s41, s35, 0
	s_delay_alu instid0(SALU_CYCLE_1) | instskip(NEXT) | instid1(SALU_CYCLE_1)
	s_add_nc_u64 s[40:41], s[8:9], s[40:41]
	s_add_co_u32 s36, s36, s40
	s_cselect_b32 s1, -1, 0
	s_delay_alu instid0(SALU_CYCLE_1) | instskip(SKIP_1) | instid1(SALU_CYCLE_1)
	s_cmp_lg_u32 s1, 0
	s_add_co_ci_u32 s37, s37, s41
	s_mul_u64 s[38:39], s[38:39], s[36:37]
	s_delay_alu instid0(SALU_CYCLE_1)
	s_mul_hi_u32 s41, s36, s39
	s_mul_i32 s40, s36, s39
	s_mul_hi_u32 s8, s36, s38
	s_mul_i32 s3, s37, s38
	s_add_nc_u64 s[40:41], s[8:9], s[40:41]
	s_mul_hi_u32 s1, s37, s38
	s_mul_hi_u32 s35, s37, s39
	s_add_co_u32 s3, s40, s3
	s_add_co_ci_u32 s8, s41, s1
	s_mul_i32 s38, s37, s39
	s_add_co_ci_u32 s39, s35, 0
	s_delay_alu instid0(SALU_CYCLE_1) | instskip(NEXT) | instid1(SALU_CYCLE_1)
	s_add_nc_u64 s[38:39], s[8:9], s[38:39]
	s_add_co_u32 s36, s36, s38
	s_cselect_b32 s1, -1, 0
	v_mul_hi_u32 v62, v54, s36
	s_cmp_lg_u32 s1, 0
	s_add_co_ci_u32 s8, s37, s39
	s_and_b64 s[38:39], s[36:37], s[10:11]
	v_mul_u64_e32 v[56:57], s[8:9], v[54:55]
	v_mul_u64_e32 v[52:53], s[38:39], v[58:59]
	;; [unrolled: 1-line block ×3, first 2 shown]
	s_delay_alu instid0(VALU_DEP_3) | instskip(NEXT) | instid1(VALU_DEP_1)
	v_add_nc_u64_e32 v[56:57], v[62:63], v[56:57]
	v_add_co_u32 v7, vcc_lo, v56, v52
	s_delay_alu instid0(VALU_DEP_2) | instskip(NEXT) | instid1(VALU_DEP_4)
	v_add_co_ci_u32_e32 v62, vcc_lo, v57, v53, vcc_lo
	v_add_co_ci_u32_e32 v61, vcc_lo, 0, v61, vcc_lo
	s_delay_alu instid0(VALU_DEP_1) | instskip(NEXT) | instid1(VALU_DEP_1)
	v_add_nc_u64_e32 v[52:53], v[62:63], v[60:61]
	v_mul_u64_e32 v[56:57], s[4:5], v[52:53]
	s_delay_alu instid0(VALU_DEP_1) | instskip(SKIP_1) | instid1(VALU_DEP_3)
	v_sub_co_u32 v29, vcc_lo, v54, v56
	v_add_nc_u64_e32 v[54:55], 2, v[52:53]
	v_sub_nc_u32_e32 v7, v58, v57
	v_sub_co_ci_u32_e64 v33, null, v58, v57, vcc_lo
	s_delay_alu instid0(VALU_DEP_4) | instskip(NEXT) | instid1(VALU_DEP_3)
	v_sub_co_u32 v31, s1, v29, s4
	v_subrev_co_ci_u32_e64 v7, null, s5, v7, vcc_lo
	v_add_nc_u64_e32 v[56:57], 1, v[52:53]
	s_delay_alu instid0(VALU_DEP_3) | instskip(NEXT) | instid1(VALU_DEP_3)
	v_cmp_le_u32_e32 vcc_lo, s4, v31
	v_subrev_co_ci_u32_e64 v7, null, 0, v7, s1
	v_cndmask_b32_e64 v31, 0, -1, vcc_lo
	s_delay_alu instid0(VALU_DEP_2)
	v_cmp_le_u32_e32 vcc_lo, s5, v7
	v_cndmask_b32_e64 v35, 0, -1, vcc_lo
	v_cmp_le_u32_e32 vcc_lo, s4, v29
	v_cndmask_b32_e64 v29, 0, -1, vcc_lo
	;; [unrolled: 2-line block ×3, first 2 shown]
	v_cmp_eq_u32_e32 vcc_lo, s5, v7
	v_cndmask_b32_e32 v7, v35, v31, vcc_lo
	v_cmp_eq_u32_e32 vcc_lo, s5, v33
	s_delay_alu instid0(VALU_DEP_4) | instskip(NEXT) | instid1(VALU_DEP_3)
	v_cndmask_b32_e32 v29, v58, v29, vcc_lo
	v_cmp_ne_u32_e32 vcc_lo, 0, v7
	v_cndmask_b32_e32 v7, v57, v55, vcc_lo
	s_delay_alu instid0(VALU_DEP_3) | instskip(SKIP_1) | instid1(VALU_DEP_2)
	v_cmp_ne_u32_e64 s1, 0, v29
	v_cndmask_b32_e32 v29, v56, v54, vcc_lo
	v_dual_cndmask_b32 v7, v53, v7, s1 :: v_dual_bitop2_b32 v34, s2, v34 bitop3:0x14
	s_delay_alu instid0(VALU_DEP_1) | instskip(NEXT) | instid1(VALU_DEP_2)
	v_dual_cndmask_b32 v29, v52, v29, s1 :: v_dual_mov_b32 v35, v34
	v_xor_b32_e32 v53, v7, v34
	s_delay_alu instid0(VALU_DEP_2) | instskip(NEXT) | instid1(VALU_DEP_1)
	v_xor_b32_e32 v52, v29, v34
	v_sub_nc_u64_e32 v[34:35], v[52:53], v[34:35]
.LBB164_15:                             ;   in Loop: Header=BB164_13 Depth=2
	s_and_not1_saveexec_b32 s1, s34
	s_cbranch_execz .LBB164_17
; %bb.16:                               ;   in Loop: Header=BB164_13 Depth=2
	v_mul_hi_u32 v7, v32, v51
	v_mov_b32_e32 v35, v6
	s_delay_alu instid0(VALU_DEP_2) | instskip(NEXT) | instid1(VALU_DEP_1)
	v_mul_lo_u32 v29, v7, s12
	v_dual_add_nc_u32 v31, 1, v7 :: v_dual_sub_nc_u32 v29, v32, v29
	s_delay_alu instid0(VALU_DEP_1) | instskip(SKIP_1) | instid1(VALU_DEP_2)
	v_subrev_nc_u32_e32 v33, s12, v29
	v_cmp_le_u32_e32 vcc_lo, s12, v29
	v_dual_cndmask_b32 v29, v29, v33, vcc_lo :: v_dual_cndmask_b32 v7, v7, v31, vcc_lo
	s_delay_alu instid0(VALU_DEP_1) | instskip(NEXT) | instid1(VALU_DEP_2)
	v_cmp_le_u32_e32 vcc_lo, s12, v29
	v_add_nc_u32_e32 v31, 1, v7
	s_delay_alu instid0(VALU_DEP_1)
	v_cndmask_b32_e32 v34, v7, v31, vcc_lo
.LBB164_17:                             ;   in Loop: Header=BB164_13 Depth=2
	s_or_b32 exec_lo, exec_lo, s1
	s_delay_alu instid0(VALU_DEP_1) | instskip(SKIP_2) | instid1(SALU_CYCLE_1)
	v_cmp_ne_u64_e64 s1, v[34:35], v[26:27]
	v_cmp_eq_u64_e32 vcc_lo, v[34:35], v[26:27]
	s_and_saveexec_b32 s3, s1
	s_xor_b32 s1, exec_lo, s3
; %bb.18:                               ;   in Loop: Header=BB164_13 Depth=2
	v_min_i64 v[24:25], v[34:35], v[24:25]
                                        ; implicit-def: $vgpr32_vgpr33
                                        ; implicit-def: $vgpr5
; %bb.19:                               ;   in Loop: Header=BB164_13 Depth=2
	s_or_saveexec_b32 s1, s1
	v_mov_b32_e32 v7, v28
	s_xor_b32 exec_lo, exec_lo, s1
	s_cbranch_execz .LBB164_12
; %bb.20:                               ;   in Loop: Header=BB164_13 Depth=2
	v_dual_ashrrev_i32 v29, 31, v28 :: v_dual_sub_nc_u32 v7, v32, v30
	s_delay_alu instid0(VALU_DEP_1) | instskip(NEXT) | instid1(VALU_DEP_2)
	v_lshl_add_u64 v[34:35], v[28:29], 4, s[22:23]
	v_lshl_add_u32 v29, v7, 4, v38
	v_mov_b32_e32 v7, v5
	global_load_b128 v[52:55], v[34:35], off
	ds_store_b8 v36, v50 offset:16384
	s_wait_loadcnt 0x0
	ds_store_2addr_b64 v29, v[52:53], v[54:55] offset1:1
	s_branch .LBB164_12
.LBB164_21:                             ;   in Loop: Header=BB164_10 Depth=1
	s_or_b32 exec_lo, exec_lo, s33
.LBB164_22:                             ;   in Loop: Header=BB164_10 Depth=1
	s_delay_alu instid0(SALU_CYCLE_1)
	s_or_b32 exec_lo, exec_lo, s31
	ds_bpermute_b32 v5, v40, v7
	s_wait_dscnt 0x0
	ds_load_u8 v26, v36 offset:16384
	v_min_i32_e32 v5, v5, v7
	ds_bpermute_b32 v7, v41, v5
	s_wait_dscnt 0x0
	v_min_i32_e32 v5, v7, v5
	ds_bpermute_b32 v30, v42, v5
	v_and_b32_e32 v5, 1, v26
	s_delay_alu instid0(VALU_DEP_1)
	v_cmp_eq_u32_e32 vcc_lo, 1, v5
	v_mov_b32_e32 v5, 0
	s_and_saveexec_b32 s1, vcc_lo
	s_cbranch_execz .LBB164_9
; %bb.23:                               ;   in Loop: Header=BB164_10 Depth=1
	v_dual_ashrrev_i32 v5, 31, v4 :: v_dual_add_nc_u32 v32, s24, v23
	s_delay_alu instid0(VALU_DEP_1) | instskip(NEXT) | instid1(VALU_DEP_2)
	v_mul_u64_e32 v[26:27], s[18:19], v[4:5]
	v_ashrrev_i32_e32 v33, 31, v32
	global_store_b64 v4, v[32:33], s[16:17] scale_offset
	v_lshlrev_b64_e32 v[26:27], 4, v[26:27]
	s_delay_alu instid0(VALU_DEP_1)
	v_add_nc_u64_e32 v[28:29], v[10:11], v[26:27]
	v_add_nc_u64_e32 v[26:27], v[12:13], v[26:27]
	s_wait_xcnt 0x0
	s_and_saveexec_b32 s3, s26
	s_cbranch_execz .LBB164_25
; %bb.24:                               ;   in Loop: Header=BB164_10 Depth=1
	ds_load_2addr_b64 v[32:35], v39 offset1:1
	v_lshl_add_u64 v[54:55], v[14:15], 4, v[28:29]
	v_mov_b32_e32 v23, v6
	s_delay_alu instid0(VALU_DEP_1) | instskip(NEXT) | instid1(VALU_DEP_1)
	v_add_nc_u64_e32 v[52:53], v[26:27], v[22:23]
	v_dual_cndmask_b32 v53, v55, v53, s0 :: v_dual_cndmask_b32 v52, v54, v52, s0
	s_wait_dscnt 0x0
	global_store_b128 v[52:53], v[32:35], off
.LBB164_25:                             ;   in Loop: Header=BB164_10 Depth=1
	s_wait_xcnt 0x0
	s_or_b32 exec_lo, exec_lo, s3
	s_and_saveexec_b32 s3, s27
	s_cbranch_execz .LBB164_30
; %bb.26:                               ;   in Loop: Header=BB164_10 Depth=1
	s_and_not1_b32 vcc_lo, exec_lo, s25
	s_mov_b32 s4, -1
	s_cbranch_vccnz .LBB164_28
; %bb.27:                               ;   in Loop: Header=BB164_10 Depth=1
	ds_load_2addr_b64 v[32:35], v9 offset1:1
	v_lshl_add_u64 v[52:53], v[16:17], 4, v[28:29]
	s_mov_b32 s4, 0
	s_wait_dscnt 0x0
	global_store_b128 v[52:53], v[32:35], off
.LBB164_28:                             ;   in Loop: Header=BB164_10 Depth=1
	s_and_not1_b32 vcc_lo, exec_lo, s4
	s_cbranch_vccnz .LBB164_30
; %bb.29:                               ;   in Loop: Header=BB164_10 Depth=1
	s_wait_xcnt 0x0
	ds_load_2addr_b64 v[32:35], v9 offset1:1
	v_mov_b32_e32 v23, v6
	s_delay_alu instid0(VALU_DEP_1)
	v_add_nc_u64_e32 v[52:53], v[26:27], v[22:23]
	s_wait_dscnt 0x0
	global_store_b128 v[52:53], v[32:35], off offset:64
.LBB164_30:                             ;   in Loop: Header=BB164_10 Depth=1
	s_wait_xcnt 0x0
	s_or_b32 exec_lo, exec_lo, s3
	s_and_saveexec_b32 s3, s28
	s_cbranch_execz .LBB164_35
; %bb.31:                               ;   in Loop: Header=BB164_10 Depth=1
	s_and_not1_b32 vcc_lo, exec_lo, s25
	s_mov_b32 s4, -1
	s_cbranch_vccnz .LBB164_33
; %bb.32:                               ;   in Loop: Header=BB164_10 Depth=1
	ds_load_2addr_b64 v[32:35], v48 offset1:1
	v_lshl_add_u64 v[52:53], v[18:19], 4, v[28:29]
	s_mov_b32 s4, 0
	s_wait_dscnt 0x0
	global_store_b128 v[52:53], v[32:35], off
.LBB164_33:                             ;   in Loop: Header=BB164_10 Depth=1
	s_and_not1_b32 vcc_lo, exec_lo, s4
	s_cbranch_vccnz .LBB164_35
; %bb.34:                               ;   in Loop: Header=BB164_10 Depth=1
	s_wait_xcnt 0x0
	ds_load_2addr_b64 v[32:35], v48 offset1:1
	v_mov_b32_e32 v23, v6
	s_delay_alu instid0(VALU_DEP_1)
	v_add_nc_u64_e32 v[52:53], v[26:27], v[22:23]
	s_wait_dscnt 0x0
	global_store_b128 v[52:53], v[32:35], off offset:128
.LBB164_35:                             ;   in Loop: Header=BB164_10 Depth=1
	s_wait_xcnt 0x0
	s_or_b32 exec_lo, exec_lo, s3
	s_and_saveexec_b32 s3, s29
	s_cbranch_execz .LBB164_8
; %bb.36:                               ;   in Loop: Header=BB164_10 Depth=1
	s_and_not1_b32 vcc_lo, exec_lo, s25
	s_mov_b32 s4, -1
	s_cbranch_vccnz .LBB164_38
; %bb.37:                               ;   in Loop: Header=BB164_10 Depth=1
	ds_load_2addr_b64 v[32:35], v49 offset1:1
	v_lshl_add_u64 v[28:29], v[20:21], 4, v[28:29]
	s_mov_b32 s4, 0
	s_wait_dscnt 0x0
	global_store_b128 v[28:29], v[32:35], off
.LBB164_38:                             ;   in Loop: Header=BB164_10 Depth=1
	s_and_not1_b32 vcc_lo, exec_lo, s4
	s_cbranch_vccnz .LBB164_8
; %bb.39:                               ;   in Loop: Header=BB164_10 Depth=1
	s_wait_xcnt 0x0
	ds_load_2addr_b64 v[32:35], v49 offset1:1
	v_mov_b32_e32 v23, v6
	s_delay_alu instid0(VALU_DEP_1)
	v_add_nc_u64_e32 v[26:27], v[26:27], v[22:23]
	s_wait_dscnt 0x0
	global_store_b128 v[26:27], v[32:35], off offset:192
	s_branch .LBB164_8
.LBB164_40:
	s_endpgm
	.section	.rodata,"a",@progbits
	.p2align	6, 0x0
	.amdhsa_kernel _ZN9rocsparseL42csr2bsr_wavefront_per_row_multipass_kernelILj256ELj64ELj16E21rocsparse_complex_numIdEilEEv20rocsparse_direction_T4_S4_S4_S4_S4_21rocsparse_index_base_PKT2_PKT3_PKS4_S5_PS6_PS9_PS4_
		.amdhsa_group_segment_fixed_size 16392
		.amdhsa_private_segment_fixed_size 0
		.amdhsa_kernarg_size 112
		.amdhsa_user_sgpr_count 2
		.amdhsa_user_sgpr_dispatch_ptr 0
		.amdhsa_user_sgpr_queue_ptr 0
		.amdhsa_user_sgpr_kernarg_segment_ptr 1
		.amdhsa_user_sgpr_dispatch_id 0
		.amdhsa_user_sgpr_kernarg_preload_length 0
		.amdhsa_user_sgpr_kernarg_preload_offset 0
		.amdhsa_user_sgpr_private_segment_size 0
		.amdhsa_wavefront_size32 1
		.amdhsa_uses_dynamic_stack 0
		.amdhsa_enable_private_segment 0
		.amdhsa_system_sgpr_workgroup_id_x 1
		.amdhsa_system_sgpr_workgroup_id_y 0
		.amdhsa_system_sgpr_workgroup_id_z 0
		.amdhsa_system_sgpr_workgroup_info 0
		.amdhsa_system_vgpr_workitem_id 0
		.amdhsa_next_free_vgpr 64
		.amdhsa_next_free_sgpr 44
		.amdhsa_named_barrier_count 0
		.amdhsa_reserve_vcc 1
		.amdhsa_float_round_mode_32 0
		.amdhsa_float_round_mode_16_64 0
		.amdhsa_float_denorm_mode_32 3
		.amdhsa_float_denorm_mode_16_64 3
		.amdhsa_fp16_overflow 0
		.amdhsa_memory_ordered 1
		.amdhsa_forward_progress 1
		.amdhsa_inst_pref_size 21
		.amdhsa_round_robin_scheduling 0
		.amdhsa_exception_fp_ieee_invalid_op 0
		.amdhsa_exception_fp_denorm_src 0
		.amdhsa_exception_fp_ieee_div_zero 0
		.amdhsa_exception_fp_ieee_overflow 0
		.amdhsa_exception_fp_ieee_underflow 0
		.amdhsa_exception_fp_ieee_inexact 0
		.amdhsa_exception_int_div_zero 0
	.end_amdhsa_kernel
	.section	.text._ZN9rocsparseL42csr2bsr_wavefront_per_row_multipass_kernelILj256ELj64ELj16E21rocsparse_complex_numIdEilEEv20rocsparse_direction_T4_S4_S4_S4_S4_21rocsparse_index_base_PKT2_PKT3_PKS4_S5_PS6_PS9_PS4_,"axG",@progbits,_ZN9rocsparseL42csr2bsr_wavefront_per_row_multipass_kernelILj256ELj64ELj16E21rocsparse_complex_numIdEilEEv20rocsparse_direction_T4_S4_S4_S4_S4_21rocsparse_index_base_PKT2_PKT3_PKS4_S5_PS6_PS9_PS4_,comdat
.Lfunc_end164:
	.size	_ZN9rocsparseL42csr2bsr_wavefront_per_row_multipass_kernelILj256ELj64ELj16E21rocsparse_complex_numIdEilEEv20rocsparse_direction_T4_S4_S4_S4_S4_21rocsparse_index_base_PKT2_PKT3_PKS4_S5_PS6_PS9_PS4_, .Lfunc_end164-_ZN9rocsparseL42csr2bsr_wavefront_per_row_multipass_kernelILj256ELj64ELj16E21rocsparse_complex_numIdEilEEv20rocsparse_direction_T4_S4_S4_S4_S4_21rocsparse_index_base_PKT2_PKT3_PKS4_S5_PS6_PS9_PS4_
                                        ; -- End function
	.set _ZN9rocsparseL42csr2bsr_wavefront_per_row_multipass_kernelILj256ELj64ELj16E21rocsparse_complex_numIdEilEEv20rocsparse_direction_T4_S4_S4_S4_S4_21rocsparse_index_base_PKT2_PKT3_PKS4_S5_PS6_PS9_PS4_.num_vgpr, 64
	.set _ZN9rocsparseL42csr2bsr_wavefront_per_row_multipass_kernelILj256ELj64ELj16E21rocsparse_complex_numIdEilEEv20rocsparse_direction_T4_S4_S4_S4_S4_21rocsparse_index_base_PKT2_PKT3_PKS4_S5_PS6_PS9_PS4_.num_agpr, 0
	.set _ZN9rocsparseL42csr2bsr_wavefront_per_row_multipass_kernelILj256ELj64ELj16E21rocsparse_complex_numIdEilEEv20rocsparse_direction_T4_S4_S4_S4_S4_21rocsparse_index_base_PKT2_PKT3_PKS4_S5_PS6_PS9_PS4_.numbered_sgpr, 44
	.set _ZN9rocsparseL42csr2bsr_wavefront_per_row_multipass_kernelILj256ELj64ELj16E21rocsparse_complex_numIdEilEEv20rocsparse_direction_T4_S4_S4_S4_S4_21rocsparse_index_base_PKT2_PKT3_PKS4_S5_PS6_PS9_PS4_.num_named_barrier, 0
	.set _ZN9rocsparseL42csr2bsr_wavefront_per_row_multipass_kernelILj256ELj64ELj16E21rocsparse_complex_numIdEilEEv20rocsparse_direction_T4_S4_S4_S4_S4_21rocsparse_index_base_PKT2_PKT3_PKS4_S5_PS6_PS9_PS4_.private_seg_size, 0
	.set _ZN9rocsparseL42csr2bsr_wavefront_per_row_multipass_kernelILj256ELj64ELj16E21rocsparse_complex_numIdEilEEv20rocsparse_direction_T4_S4_S4_S4_S4_21rocsparse_index_base_PKT2_PKT3_PKS4_S5_PS6_PS9_PS4_.uses_vcc, 1
	.set _ZN9rocsparseL42csr2bsr_wavefront_per_row_multipass_kernelILj256ELj64ELj16E21rocsparse_complex_numIdEilEEv20rocsparse_direction_T4_S4_S4_S4_S4_21rocsparse_index_base_PKT2_PKT3_PKS4_S5_PS6_PS9_PS4_.uses_flat_scratch, 0
	.set _ZN9rocsparseL42csr2bsr_wavefront_per_row_multipass_kernelILj256ELj64ELj16E21rocsparse_complex_numIdEilEEv20rocsparse_direction_T4_S4_S4_S4_S4_21rocsparse_index_base_PKT2_PKT3_PKS4_S5_PS6_PS9_PS4_.has_dyn_sized_stack, 0
	.set _ZN9rocsparseL42csr2bsr_wavefront_per_row_multipass_kernelILj256ELj64ELj16E21rocsparse_complex_numIdEilEEv20rocsparse_direction_T4_S4_S4_S4_S4_21rocsparse_index_base_PKT2_PKT3_PKS4_S5_PS6_PS9_PS4_.has_recursion, 0
	.set _ZN9rocsparseL42csr2bsr_wavefront_per_row_multipass_kernelILj256ELj64ELj16E21rocsparse_complex_numIdEilEEv20rocsparse_direction_T4_S4_S4_S4_S4_21rocsparse_index_base_PKT2_PKT3_PKS4_S5_PS6_PS9_PS4_.has_indirect_call, 0
	.section	.AMDGPU.csdata,"",@progbits
; Kernel info:
; codeLenInByte = 2612
; TotalNumSgprs: 46
; NumVgprs: 64
; ScratchSize: 0
; MemoryBound: 0
; FloatMode: 240
; IeeeMode: 1
; LDSByteSize: 16392 bytes/workgroup (compile time only)
; SGPRBlocks: 0
; VGPRBlocks: 3
; NumSGPRsForWavesPerEU: 46
; NumVGPRsForWavesPerEU: 64
; NamedBarCnt: 0
; Occupancy: 16
; WaveLimiterHint : 0
; COMPUTE_PGM_RSRC2:SCRATCH_EN: 0
; COMPUTE_PGM_RSRC2:USER_SGPR: 2
; COMPUTE_PGM_RSRC2:TRAP_HANDLER: 0
; COMPUTE_PGM_RSRC2:TGID_X_EN: 1
; COMPUTE_PGM_RSRC2:TGID_Y_EN: 0
; COMPUTE_PGM_RSRC2:TGID_Z_EN: 0
; COMPUTE_PGM_RSRC2:TIDIG_COMP_CNT: 0
	.section	.text._ZN9rocsparseL42csr2bsr_wavefront_per_row_multipass_kernelILj256ELj32ELj16E21rocsparse_complex_numIdEilEEv20rocsparse_direction_T4_S4_S4_S4_S4_21rocsparse_index_base_PKT2_PKT3_PKS4_S5_PS6_PS9_PS4_,"axG",@progbits,_ZN9rocsparseL42csr2bsr_wavefront_per_row_multipass_kernelILj256ELj32ELj16E21rocsparse_complex_numIdEilEEv20rocsparse_direction_T4_S4_S4_S4_S4_21rocsparse_index_base_PKT2_PKT3_PKS4_S5_PS6_PS9_PS4_,comdat
	.globl	_ZN9rocsparseL42csr2bsr_wavefront_per_row_multipass_kernelILj256ELj32ELj16E21rocsparse_complex_numIdEilEEv20rocsparse_direction_T4_S4_S4_S4_S4_21rocsparse_index_base_PKT2_PKT3_PKS4_S5_PS6_PS9_PS4_ ; -- Begin function _ZN9rocsparseL42csr2bsr_wavefront_per_row_multipass_kernelILj256ELj32ELj16E21rocsparse_complex_numIdEilEEv20rocsparse_direction_T4_S4_S4_S4_S4_21rocsparse_index_base_PKT2_PKT3_PKS4_S5_PS6_PS9_PS4_
	.p2align	8
	.type	_ZN9rocsparseL42csr2bsr_wavefront_per_row_multipass_kernelILj256ELj32ELj16E21rocsparse_complex_numIdEilEEv20rocsparse_direction_T4_S4_S4_S4_S4_21rocsparse_index_base_PKT2_PKT3_PKS4_S5_PS6_PS9_PS4_,@function
_ZN9rocsparseL42csr2bsr_wavefront_per_row_multipass_kernelILj256ELj32ELj16E21rocsparse_complex_numIdEilEEv20rocsparse_direction_T4_S4_S4_S4_S4_21rocsparse_index_base_PKT2_PKT3_PKS4_S5_PS6_PS9_PS4_: ; @_ZN9rocsparseL42csr2bsr_wavefront_per_row_multipass_kernelILj256ELj32ELj16E21rocsparse_complex_numIdEilEEv20rocsparse_direction_T4_S4_S4_S4_S4_21rocsparse_index_base_PKT2_PKT3_PKS4_S5_PS6_PS9_PS4_
; %bb.0:
	s_bfe_u32 s2, ttmp6, 0x4000c
	s_clause 0x1
	s_load_b96 s[16:18], s[0:1], 0x28
	s_load_b64 s[6:7], s[0:1], 0x40
	s_add_co_i32 s2, s2, 1
	s_and_b32 s3, ttmp6, 15
	s_mul_i32 s2, ttmp9, s2
	s_getreg_b32 s4, hwreg(HW_REG_IB_STS2, 6, 4)
	s_add_co_i32 s3, s3, s2
	s_cmp_eq_u32 s4, 0
	v_dual_mov_b32 v45, 0 :: v_dual_lshrrev_b32 v44, 5, v0
	s_cselect_b32 s4, ttmp9, s3
	v_bfe_u32 v2, v0, 1, 4
	s_ashr_i32 s5, s4, 31
	v_mov_b32_e32 v38, 0
	s_lshl_b64 s[2:3], s[4:5], 3
	s_delay_alu instid0(SALU_CYCLE_1) | instskip(SKIP_2) | instid1(VALU_DEP_1)
	v_dual_mov_b32 v3, v45 :: v_dual_bitop2_b32 v1, s2, v44 bitop3:0x54
	s_load_b128 s[8:11], s[0:1], 0x18
	s_wait_kmcnt 0x0
	v_mad_nc_u64_u32 v[4:5], v1, s16, v[2:3]
	s_delay_alu instid0(VALU_DEP_1) | instskip(SKIP_1) | instid1(VALU_DEP_1)
	v_mad_u32 v5, s3, s16, v5
	s_load_b64 s[2:3], s[0:1], 0x8
	v_mad_u32 v5, v1, s17, v5
	s_wait_kmcnt 0x0
	s_delay_alu instid0(VALU_DEP_1) | instskip(SKIP_2) | instid1(SALU_CYCLE_1)
	v_cmp_gt_i64_e32 vcc_lo, s[2:3], v[4:5]
	v_cmp_gt_i64_e64 s2, s[16:17], v[2:3]
	s_and_b32 s3, s2, vcc_lo
	s_and_saveexec_b32 s5, s3
	s_cbranch_execz .LBB165_2
; %bb.1:
	v_lshl_add_u64 v[6:7], v[4:5], 2, s[6:7]
	global_load_b32 v1, v[6:7], off
	s_wait_loadcnt 0x0
	v_subrev_nc_u32_e32 v38, s18, v1
.LBB165_2:
	s_or_b32 exec_lo, exec_lo, s5
	s_and_saveexec_b32 s5, s3
	s_cbranch_execz .LBB165_4
; %bb.3:
	v_lshl_add_u64 v[4:5], v[4:5], 2, s[6:7]
	global_load_b32 v1, v[4:5], off offset:4
	s_wait_loadcnt 0x0
	v_subrev_nc_u32_e32 v45, s18, v1
.LBB165_4:
	s_or_b32 exec_lo, exec_lo, s5
	s_load_b32 s28, s[0:1], 0x50
	v_mov_b32_e32 v7, 0
	v_lshl_or_b32 v6, s4, 3, v44
	s_mov_b32 s3, exec_lo
	s_delay_alu instid0(VALU_DEP_2) | instskip(NEXT) | instid1(VALU_DEP_2)
	v_mov_b32_e32 v4, v7
	v_cmpx_gt_i64_e64 s[8:9], v[6:7]
	s_cbranch_execz .LBB165_6
; %bb.5:
	s_load_b64 s[4:5], s[0:1], 0x60
	s_wait_kmcnt 0x0
	v_lshl_add_u64 v[4:5], v[6:7], 2, s[4:5]
	global_load_b32 v1, v[4:5], off
	s_wait_loadcnt 0x0
	v_subrev_nc_u32_e32 v4, s28, v1
.LBB165_6:
	s_or_b32 exec_lo, exec_lo, s3
	v_cmp_lt_i64_e64 s3, s[10:11], 1
	s_and_b32 vcc_lo, exec_lo, s3
	s_cbranch_vccnz .LBB165_60
; %bb.7:
	v_mbcnt_lo_u32_b32 v1, -1, 0
	v_mul_u64_e32 v[12:13], s[16:17], v[2:3]
	v_dual_mov_b32 v6, 0 :: v_dual_lshlrev_b32 v10, 4, v2
	s_delay_alu instid0(VALU_DEP_3) | instskip(NEXT) | instid1(VALU_DEP_2)
	v_dual_lshlrev_b32 v2, 8, v2 :: v_dual_bitop2_b32 v3, 1, v1 bitop3:0x14
	v_dual_mov_b32 v11, v6 :: v_dual_bitop2_b32 v8, 1, v0 bitop3:0x40
	s_clause 0x4
	s_load_b64 s[4:5], s[0:1], 0x58
	s_load_b64 s[20:21], s[0:1], 0x48
	s_load_b32 s3, s[0:1], 0x0
	s_load_b64 s[22:23], s[0:1], 0x38
	s_load_b64 s[24:25], s[0:1], 0x68
	v_lshl_or_b32 v46, v44, 12, v2
	v_cmp_gt_i32_e32 vcc_lo, 32, v3
	v_lshl_or_b32 v49, v1, 2, 4
	v_dual_mov_b32 v54, 0x7c :: v_dual_mov_b32 v9, v6
	s_delay_alu instid0(VALU_DEP_4) | instskip(SKIP_2) | instid1(VALU_DEP_2)
	v_lshl_or_b32 v47, v8, 4, v46
	v_dual_cndmask_b32 v0, v1, v3, vcc_lo :: v_dual_bitop2_b32 v2, 8, v1 bitop3:0x14
	v_dual_mov_b32 v35, v6 :: v_dual_bitop2_b32 v30, 6, v8 bitop3:0x54
	v_dual_lshlrev_b32 v48, 2, v0 :: v_dual_bitop2_b32 v55, 32, v47 bitop3:0x54
	v_xor_b32_e32 v0, 16, v1
	v_or_b32_e32 v56, 64, v47
	v_or_b32_e32 v32, 12, v8
	s_wait_kmcnt 0x0
	v_add_nc_u64_e32 v[10:11], s[4:5], v[10:11]
	v_or_b32_e32 v34, 14, v8
	v_cmp_gt_i32_e32 vcc_lo, 32, v0
	v_xor_b32_e32 v3, 4, v1
	s_cmp_eq_u32 s3, 0
	v_mul_u64_e32 v[14:15], s[16:17], v[8:9]
	s_cselect_b32 s0, -1, 0
	v_cndmask_b32_e32 v0, v1, v0, vcc_lo
	v_cmp_gt_i32_e32 vcc_lo, 32, v2
	v_xor_b32_e32 v5, 2, v1
	s_cmp_lg_u32 s3, 0
	v_lshl_add_u64 v[12:13], v[12:13], 4, s[4:5]
	s_cselect_b32 s9, -1, 0
	v_cndmask_b32_e32 v2, v1, v2, vcc_lo
	v_cmp_gt_i32_e32 vcc_lo, 32, v3
	s_sub_co_i32 s5, 0, s16
	v_lshlrev_b32_e32 v50, 2, v0
	v_dual_mov_b32 v31, v6 :: v_dual_bitop2_b32 v0, 2, v8 bitop3:0x54
	v_cndmask_b32_e32 v3, v1, v3, vcc_lo
	v_cmp_gt_i32_e32 vcc_lo, 32, v5
	v_dual_lshlrev_b32 v51, 2, v2 :: v_dual_bitop2_b32 v2, 4, v8 bitop3:0x54
	v_mov_b32_e32 v33, v6
	v_mul_u64_e32 v[20:21], s[16:17], v[30:31]
	v_cndmask_b32_e32 v1, v1, v5, vcc_lo
	v_cvt_f32_u32_e32 v5, s16
	v_dual_mov_b32 v3, v6 :: v_dual_lshlrev_b32 v52, 2, v3
	v_cmp_gt_u64_e32 vcc_lo, s[16:17], v[8:9]
	s_delay_alu instid0(VALU_DEP_4) | instskip(NEXT) | instid1(VALU_DEP_4)
	v_lshlrev_b32_e32 v53, 2, v1
	v_rcp_iflag_f32_e32 v5, v5
	v_mov_b32_e32 v1, v6
	v_cmp_gt_u64_e64 s3, s[16:17], v[2:3]
	v_mul_u64_e32 v[18:19], s[16:17], v[2:3]
	v_cmp_gt_u64_e64 s4, s[16:17], v[30:31]
	v_mov_b32_e32 v9, 1
	v_cmp_gt_u64_e64 s1, s[16:17], v[0:1]
	v_mul_f32_e32 v5, 0x4f7ffffe, v5
	v_mul_u64_e32 v[16:17], s[16:17], v[0:1]
	v_dual_lshlrev_b32 v30, 4, v8 :: v_dual_bitop2_b32 v0, 8, v8 bitop3:0x54
	v_mul_u64_e32 v[26:27], s[16:17], v[32:33]
	s_delay_alu instid0(VALU_DEP_4) | instskip(SKIP_1) | instid1(VALU_DEP_4)
	v_cvt_u32_f32_e32 v5, v5
	v_mov_b32_e32 v31, 0
	v_mul_u64_e32 v[22:23], s[16:17], v[0:1]
	v_mul_u64_e32 v[28:29], s[16:17], v[34:35]
	s_mov_b32 s13, 0
	v_mul_lo_u32 v7, s5, v5
	s_mov_b32 s12, s13
	v_cmp_gt_u64_e64 s5, s[16:17], v[0:1]
	v_cmp_gt_u64_e64 s7, s[16:17], v[32:33]
	;; [unrolled: 1-line block ×3, first 2 shown]
	s_mov_b32 s14, s13
	s_mov_b32 s15, s13
	v_mov_b64_e32 v[34:35], 0
	v_or_b32_e32 v57, 0x60, v47
	v_or_b32_e32 v58, 0x80, v47
	;; [unrolled: 1-line block ×3, first 2 shown]
	v_mul_hi_u32 v7, v5, v7
	v_or_b32_e32 v2, 10, v8
	v_or_b32_e32 v60, 0xc0, v47
	;; [unrolled: 1-line block ×3, first 2 shown]
	s_mul_u64 s[26:27], s[16:17], s[16:17]
	s_mov_b32 s19, s13
	s_and_b32 s29, s2, vcc_lo
	s_and_b32 s30, s2, s1
	s_and_b32 s31, s2, s3
	;; [unrolled: 1-line block ×4, first 2 shown]
	v_add_nc_u32_e32 v62, v5, v7
	v_mul_u64_e32 v[24:25], s[16:17], v[2:3]
	v_cmp_gt_u64_e64 s6, s[16:17], v[2:3]
	v_mov_b64_e32 v[0:1], s[12:13]
	v_mov_b64_e32 v[2:3], s[14:15]
	s_and_b32 s36, s2, s7
	s_mov_b64 s[4:5], 0xffffffff
	s_and_b32 s8, s2, s8
	s_mov_b32 s14, 0
	s_and_b32 s35, s2, s6
	s_ashr_i32 s2, s17, 31
	s_branch .LBB165_10
.LBB165_8:                              ;   in Loop: Header=BB165_10 Depth=1
	s_wait_xcnt 0x0
	s_or_b32 exec_lo, exec_lo, s3
	v_mov_b32_e32 v5, 1
.LBB165_9:                              ;   in Loop: Header=BB165_10 Depth=1
	s_or_b32 exec_lo, exec_lo, s1
	ds_bpermute_b32 v34, v50, v32
	ds_bpermute_b32 v35, v50, v33
	s_wait_storecnt_dscnt 0x0
	v_add_nc_u32_e32 v4, v5, v4
	v_min_i64 v[32:33], v[34:35], v[32:33]
	ds_bpermute_b32 v34, v51, v32
	ds_bpermute_b32 v35, v51, v33
	s_wait_dscnt 0x0
	v_min_i64 v[32:33], v[34:35], v[32:33]
	ds_bpermute_b32 v34, v52, v32
	ds_bpermute_b32 v35, v52, v33
	s_wait_dscnt 0x0
	;; [unrolled: 4-line block ×4, first 2 shown]
	v_min_i64 v[32:33], v[34:35], v[32:33]
	ds_bpermute_b32 v34, v54, v32
	s_wait_dscnt 0x0
	v_dual_ashrrev_i32 v35, 31, v34 :: v_dual_mov_b32 v31, v34
	s_delay_alu instid0(VALU_DEP_1) | instskip(SKIP_1) | instid1(SALU_CYCLE_1)
	v_cmp_le_i64_e32 vcc_lo, s[10:11], v[34:35]
	s_or_b32 s14, vcc_lo, s14
	s_and_not1_b32 exec_lo, exec_lo, s14
	s_cbranch_execz .LBB165_60
.LBB165_10:                             ; =>This Loop Header: Depth=1
                                        ;     Child Loop BB165_13 Depth 2
	v_mov_b64_e32 v[32:33], s[10:11]
	v_dual_mov_b32 v7, v45 :: v_dual_add_nc_u32 v36, v38, v8
	s_mov_b32 s15, exec_lo
	ds_store_b8 v44, v6 offset:32768
	ds_store_b128 v47, v[0:3]
	ds_store_b128 v47, v[0:3] offset:32
	ds_store_b128 v47, v[0:3] offset:64
	;; [unrolled: 1-line block ×7, first 2 shown]
	s_wait_dscnt 0x0
	v_cmpx_lt_i32_e64 v36, v45
	s_cbranch_execz .LBB165_22
; %bb.11:                               ;   in Loop: Header=BB165_10 Depth=1
	v_mul_u64_e32 v[38:39], s[16:17], v[34:35]
	v_mov_b64_e32 v[32:33], s[10:11]
	v_mov_b32_e32 v5, v45
	s_mov_b32 s37, 0
	s_branch .LBB165_13
.LBB165_12:                             ;   in Loop: Header=BB165_13 Depth=2
	s_wait_xcnt 0x0
	s_or_b32 exec_lo, exec_lo, s1
	v_dual_mov_b32 v5, v7 :: v_dual_add_nc_u32 v36, 2, v36
	s_xor_b32 s3, vcc_lo, -1
	s_delay_alu instid0(VALU_DEP_1) | instskip(SKIP_1) | instid1(SALU_CYCLE_1)
	v_cmp_ge_i32_e64 s1, v36, v45
	s_or_b32 s1, s3, s1
	s_and_b32 s1, exec_lo, s1
	s_delay_alu instid0(SALU_CYCLE_1) | instskip(NEXT) | instid1(SALU_CYCLE_1)
	s_or_b32 s37, s1, s37
	s_and_not1_b32 exec_lo, exec_lo, s37
	s_cbranch_execz .LBB165_21
.LBB165_13:                             ;   Parent Loop BB165_10 Depth=1
                                        ; =>  This Inner Loop Header: Depth=2
	global_load_b64 v[40:41], v36, s[20:21] scale_offset
                                        ; implicit-def: $vgpr42_vgpr43
	s_mov_b32 s1, exec_lo
	s_wait_loadcnt 0x0
	v_sub_nc_u64_e64 v[40:41], v[40:41], s[18:19]
	s_delay_alu instid0(VALU_DEP_1) | instskip(SKIP_1) | instid1(VALU_DEP_1)
	v_or_b32_e32 v7, s17, v41
	s_wait_xcnt 0x0
	v_cmpx_ne_u64_e32 0, v[6:7]
	s_xor_b32 s38, exec_lo, s1
	s_cbranch_execz .LBB165_15
; %bb.14:                               ;   in Loop: Header=BB165_13 Depth=2
	s_mov_b32 s3, s2
	v_dual_mov_b32 v67, v6 :: v_dual_ashrrev_i32 v42, 31, v41
	s_add_nc_u64 s[6:7], s[16:17], s[2:3]
	v_mov_b32_e32 v75, v6
	s_xor_b64 s[6:7], s[6:7], s[2:3]
	s_delay_alu instid0(VALU_DEP_2) | instskip(SKIP_3) | instid1(VALU_DEP_1)
	v_mov_b32_e32 v43, v42
	s_cvt_f32_u32 s1, s6
	s_cvt_f32_u32 s3, s7
	s_sub_nc_u64 s[42:43], 0, s[6:7]
	v_add_nc_u64_e32 v[64:65], v[40:41], v[42:43]
	s_delay_alu instid0(SALU_CYCLE_1) | instskip(SKIP_1) | instid1(SALU_CYCLE_2)
	s_fmamk_f32 s1, s3, 0x4f800000, s1
	v_mov_b32_e32 v71, v6
	v_s_rcp_f32 s1, s1
	s_delay_alu instid0(VALU_DEP_2) | instskip(NEXT) | instid1(VALU_DEP_3)
	v_xor_b32_e32 v66, v64, v42
	v_xor_b32_e32 v70, v65, v42
	s_delay_alu instid0(TRANS32_DEP_1) | instskip(NEXT) | instid1(SALU_CYCLE_3)
	s_mul_f32 s1, s1, 0x5f7ffffc
	s_mul_f32 s3, s1, 0x2f800000
	s_delay_alu instid0(SALU_CYCLE_3) | instskip(NEXT) | instid1(SALU_CYCLE_3)
	s_trunc_f32 s3, s3
	s_fmamk_f32 s1, s3, 0xcf800000, s1
	s_cvt_u32_f32 s41, s3
	s_delay_alu instid0(SALU_CYCLE_2) | instskip(NEXT) | instid1(SALU_CYCLE_3)
	s_cvt_u32_f32 s40, s1
	s_mul_u64 s[44:45], s[42:43], s[40:41]
	s_delay_alu instid0(SALU_CYCLE_1)
	s_mul_hi_u32 s47, s40, s45
	s_mul_i32 s46, s40, s45
	s_mul_hi_u32 s12, s40, s44
	s_mul_i32 s3, s41, s44
	s_add_nc_u64 s[46:47], s[12:13], s[46:47]
	s_mul_hi_u32 s1, s41, s44
	s_mul_hi_u32 s39, s41, s45
	s_add_co_u32 s3, s46, s3
	s_add_co_ci_u32 s12, s47, s1
	s_mul_i32 s44, s41, s45
	s_add_co_ci_u32 s45, s39, 0
	s_delay_alu instid0(SALU_CYCLE_1) | instskip(NEXT) | instid1(SALU_CYCLE_1)
	s_add_nc_u64 s[44:45], s[12:13], s[44:45]
	s_add_co_u32 s40, s40, s44
	s_cselect_b32 s1, -1, 0
	s_delay_alu instid0(SALU_CYCLE_1) | instskip(SKIP_1) | instid1(SALU_CYCLE_1)
	s_cmp_lg_u32 s1, 0
	s_add_co_ci_u32 s41, s41, s45
	s_mul_u64 s[42:43], s[42:43], s[40:41]
	s_delay_alu instid0(SALU_CYCLE_1)
	s_mul_hi_u32 s45, s40, s43
	s_mul_i32 s44, s40, s43
	s_mul_hi_u32 s12, s40, s42
	s_mul_i32 s3, s41, s42
	s_add_nc_u64 s[44:45], s[12:13], s[44:45]
	s_mul_hi_u32 s1, s41, s42
	s_mul_hi_u32 s39, s41, s43
	s_add_co_u32 s3, s44, s3
	s_add_co_ci_u32 s12, s45, s1
	s_mul_i32 s42, s41, s43
	s_add_co_ci_u32 s43, s39, 0
	s_delay_alu instid0(SALU_CYCLE_1) | instskip(NEXT) | instid1(SALU_CYCLE_1)
	s_add_nc_u64 s[42:43], s[12:13], s[42:43]
	s_add_co_u32 s40, s40, s42
	s_cselect_b32 s1, -1, 0
	v_mul_hi_u32 v74, v66, s40
	s_cmp_lg_u32 s1, 0
	s_add_co_ci_u32 s12, s41, s43
	s_and_b64 s[42:43], s[40:41], s[4:5]
	v_mul_u64_e32 v[68:69], s[12:13], v[66:67]
	v_mul_u64_e32 v[64:65], s[42:43], v[70:71]
	;; [unrolled: 1-line block ×3, first 2 shown]
	s_delay_alu instid0(VALU_DEP_3) | instskip(NEXT) | instid1(VALU_DEP_1)
	v_add_nc_u64_e32 v[68:69], v[74:75], v[68:69]
	v_add_co_u32 v7, vcc_lo, v68, v64
	s_delay_alu instid0(VALU_DEP_2) | instskip(NEXT) | instid1(VALU_DEP_4)
	v_add_co_ci_u32_e32 v74, vcc_lo, v69, v65, vcc_lo
	v_add_co_ci_u32_e32 v73, vcc_lo, 0, v73, vcc_lo
	s_delay_alu instid0(VALU_DEP_1) | instskip(NEXT) | instid1(VALU_DEP_1)
	v_add_nc_u64_e32 v[64:65], v[74:75], v[72:73]
	v_mul_u64_e32 v[68:69], s[6:7], v[64:65]
	s_delay_alu instid0(VALU_DEP_1) | instskip(SKIP_1) | instid1(VALU_DEP_3)
	v_sub_co_u32 v37, vcc_lo, v66, v68
	v_add_nc_u64_e32 v[66:67], 2, v[64:65]
	v_sub_nc_u32_e32 v7, v70, v69
	v_sub_co_ci_u32_e64 v41, null, v70, v69, vcc_lo
	s_delay_alu instid0(VALU_DEP_4) | instskip(NEXT) | instid1(VALU_DEP_3)
	v_sub_co_u32 v39, s1, v37, s6
	v_subrev_co_ci_u32_e64 v7, null, s7, v7, vcc_lo
	v_add_nc_u64_e32 v[68:69], 1, v[64:65]
	s_delay_alu instid0(VALU_DEP_3) | instskip(NEXT) | instid1(VALU_DEP_3)
	v_cmp_le_u32_e32 vcc_lo, s6, v39
	v_subrev_co_ci_u32_e64 v7, null, 0, v7, s1
	v_cndmask_b32_e64 v39, 0, -1, vcc_lo
	s_delay_alu instid0(VALU_DEP_2)
	v_cmp_le_u32_e32 vcc_lo, s7, v7
	v_cndmask_b32_e64 v43, 0, -1, vcc_lo
	v_cmp_le_u32_e32 vcc_lo, s6, v37
	v_cndmask_b32_e64 v37, 0, -1, vcc_lo
	;; [unrolled: 2-line block ×3, first 2 shown]
	v_cmp_eq_u32_e32 vcc_lo, s7, v7
	v_cndmask_b32_e32 v7, v43, v39, vcc_lo
	v_cmp_eq_u32_e32 vcc_lo, s7, v41
	s_delay_alu instid0(VALU_DEP_4) | instskip(NEXT) | instid1(VALU_DEP_3)
	v_cndmask_b32_e32 v37, v63, v37, vcc_lo
	v_cmp_ne_u32_e32 vcc_lo, 0, v7
	v_cndmask_b32_e32 v7, v69, v67, vcc_lo
	s_delay_alu instid0(VALU_DEP_3) | instskip(SKIP_1) | instid1(VALU_DEP_2)
	v_cmp_ne_u32_e64 s1, 0, v37
	v_cndmask_b32_e32 v37, v68, v66, vcc_lo
	v_dual_cndmask_b32 v7, v65, v7, s1 :: v_dual_bitop2_b32 v42, s2, v42 bitop3:0x14
	s_delay_alu instid0(VALU_DEP_1) | instskip(NEXT) | instid1(VALU_DEP_2)
	v_dual_cndmask_b32 v37, v64, v37, s1 :: v_dual_mov_b32 v43, v42
	v_xor_b32_e32 v65, v7, v42
	s_delay_alu instid0(VALU_DEP_2) | instskip(NEXT) | instid1(VALU_DEP_1)
	v_xor_b32_e32 v64, v37, v42
	v_sub_nc_u64_e32 v[42:43], v[64:65], v[42:43]
.LBB165_15:                             ;   in Loop: Header=BB165_13 Depth=2
	s_and_not1_saveexec_b32 s1, s38
	s_cbranch_execz .LBB165_17
; %bb.16:                               ;   in Loop: Header=BB165_13 Depth=2
	v_mul_hi_u32 v7, v40, v62
	v_mov_b32_e32 v43, v6
	s_delay_alu instid0(VALU_DEP_2) | instskip(NEXT) | instid1(VALU_DEP_1)
	v_mul_lo_u32 v37, v7, s16
	v_dual_add_nc_u32 v39, 1, v7 :: v_dual_sub_nc_u32 v37, v40, v37
	s_delay_alu instid0(VALU_DEP_1) | instskip(SKIP_1) | instid1(VALU_DEP_2)
	v_subrev_nc_u32_e32 v41, s16, v37
	v_cmp_le_u32_e32 vcc_lo, s16, v37
	v_dual_cndmask_b32 v37, v37, v41, vcc_lo :: v_dual_cndmask_b32 v7, v7, v39, vcc_lo
	s_delay_alu instid0(VALU_DEP_1) | instskip(NEXT) | instid1(VALU_DEP_2)
	v_cmp_le_u32_e32 vcc_lo, s16, v37
	v_add_nc_u32_e32 v39, 1, v7
	s_delay_alu instid0(VALU_DEP_1)
	v_cndmask_b32_e32 v42, v7, v39, vcc_lo
.LBB165_17:                             ;   in Loop: Header=BB165_13 Depth=2
	s_or_b32 exec_lo, exec_lo, s1
	s_delay_alu instid0(VALU_DEP_1) | instskip(SKIP_2) | instid1(SALU_CYCLE_1)
	v_cmp_ne_u64_e64 s1, v[42:43], v[34:35]
	v_cmp_eq_u64_e32 vcc_lo, v[42:43], v[34:35]
	s_and_saveexec_b32 s3, s1
	s_xor_b32 s1, exec_lo, s3
; %bb.18:                               ;   in Loop: Header=BB165_13 Depth=2
	v_min_i64 v[32:33], v[42:43], v[32:33]
                                        ; implicit-def: $vgpr40_vgpr41
                                        ; implicit-def: $vgpr5
; %bb.19:                               ;   in Loop: Header=BB165_13 Depth=2
	s_or_saveexec_b32 s1, s1
	v_mov_b32_e32 v7, v36
	s_xor_b32 exec_lo, exec_lo, s1
	s_cbranch_execz .LBB165_12
; %bb.20:                               ;   in Loop: Header=BB165_13 Depth=2
	v_dual_ashrrev_i32 v37, 31, v36 :: v_dual_sub_nc_u32 v7, v40, v38
	s_delay_alu instid0(VALU_DEP_1) | instskip(NEXT) | instid1(VALU_DEP_2)
	v_lshl_add_u64 v[42:43], v[36:37], 4, s[22:23]
	v_lshl_add_u32 v37, v7, 4, v46
	v_mov_b32_e32 v7, v5
	global_load_b128 v[64:67], v[42:43], off
	ds_store_b8 v44, v9 offset:32768
	s_wait_loadcnt 0x0
	ds_store_2addr_b64 v37, v[64:65], v[66:67] offset1:1
	s_branch .LBB165_12
.LBB165_21:                             ;   in Loop: Header=BB165_10 Depth=1
	s_or_b32 exec_lo, exec_lo, s37
.LBB165_22:                             ;   in Loop: Header=BB165_10 Depth=1
	s_delay_alu instid0(SALU_CYCLE_1)
	s_or_b32 exec_lo, exec_lo, s15
	ds_bpermute_b32 v5, v48, v7
	s_wait_dscnt 0x0
	ds_load_u8 v34, v44 offset:32768
	v_min_i32_e32 v5, v5, v7
	ds_bpermute_b32 v38, v49, v5
	s_wait_dscnt 0x1
	v_and_b32_e32 v5, 1, v34
	s_delay_alu instid0(VALU_DEP_1)
	v_cmp_eq_u32_e32 vcc_lo, 1, v5
	v_mov_b32_e32 v5, 0
	s_and_saveexec_b32 s1, vcc_lo
	s_cbranch_execz .LBB165_9
; %bb.23:                               ;   in Loop: Header=BB165_10 Depth=1
	v_dual_ashrrev_i32 v5, 31, v4 :: v_dual_add_nc_u32 v40, s28, v31
	s_delay_alu instid0(VALU_DEP_1) | instskip(NEXT) | instid1(VALU_DEP_2)
	v_mul_u64_e32 v[34:35], s[26:27], v[4:5]
	v_ashrrev_i32_e32 v41, 31, v40
	global_store_b64 v4, v[40:41], s[24:25] scale_offset
	v_lshlrev_b64_e32 v[34:35], 4, v[34:35]
	s_delay_alu instid0(VALU_DEP_1)
	v_add_nc_u64_e32 v[36:37], v[10:11], v[34:35]
	v_add_nc_u64_e32 v[34:35], v[12:13], v[34:35]
	s_wait_xcnt 0x0
	s_and_saveexec_b32 s3, s29
	s_cbranch_execz .LBB165_25
; %bb.24:                               ;   in Loop: Header=BB165_10 Depth=1
	ds_load_2addr_b64 v[40:43], v47 offset1:1
	v_lshl_add_u64 v[66:67], v[14:15], 4, v[36:37]
	v_mov_b32_e32 v31, v6
	s_delay_alu instid0(VALU_DEP_1) | instskip(NEXT) | instid1(VALU_DEP_1)
	v_add_nc_u64_e32 v[64:65], v[34:35], v[30:31]
	v_dual_cndmask_b32 v65, v67, v65, s0 :: v_dual_cndmask_b32 v64, v66, v64, s0
	s_wait_dscnt 0x0
	global_store_b128 v[64:65], v[40:43], off
.LBB165_25:                             ;   in Loop: Header=BB165_10 Depth=1
	s_wait_xcnt 0x0
	s_or_b32 exec_lo, exec_lo, s3
	s_and_saveexec_b32 s3, s30
	s_cbranch_execz .LBB165_30
; %bb.26:                               ;   in Loop: Header=BB165_10 Depth=1
	s_and_not1_b32 vcc_lo, exec_lo, s9
	s_mov_b32 s6, -1
	s_cbranch_vccnz .LBB165_28
; %bb.27:                               ;   in Loop: Header=BB165_10 Depth=1
	ds_load_2addr_b64 v[40:43], v55 offset1:1
	v_lshl_add_u64 v[64:65], v[16:17], 4, v[36:37]
	s_mov_b32 s6, 0
	s_wait_dscnt 0x0
	global_store_b128 v[64:65], v[40:43], off
.LBB165_28:                             ;   in Loop: Header=BB165_10 Depth=1
	s_and_not1_b32 vcc_lo, exec_lo, s6
	s_cbranch_vccnz .LBB165_30
; %bb.29:                               ;   in Loop: Header=BB165_10 Depth=1
	s_wait_xcnt 0x0
	ds_load_2addr_b64 v[40:43], v55 offset1:1
	v_mov_b32_e32 v31, v6
	s_delay_alu instid0(VALU_DEP_1)
	v_add_nc_u64_e32 v[64:65], v[34:35], v[30:31]
	s_wait_dscnt 0x0
	global_store_b128 v[64:65], v[40:43], off offset:32
.LBB165_30:                             ;   in Loop: Header=BB165_10 Depth=1
	s_wait_xcnt 0x0
	s_or_b32 exec_lo, exec_lo, s3
	s_and_saveexec_b32 s3, s31
	s_cbranch_execz .LBB165_35
; %bb.31:                               ;   in Loop: Header=BB165_10 Depth=1
	s_and_not1_b32 vcc_lo, exec_lo, s9
	s_mov_b32 s6, -1
	s_cbranch_vccnz .LBB165_33
; %bb.32:                               ;   in Loop: Header=BB165_10 Depth=1
	ds_load_2addr_b64 v[40:43], v56 offset1:1
	v_lshl_add_u64 v[64:65], v[18:19], 4, v[36:37]
	s_mov_b32 s6, 0
	s_wait_dscnt 0x0
	global_store_b128 v[64:65], v[40:43], off
.LBB165_33:                             ;   in Loop: Header=BB165_10 Depth=1
	s_and_not1_b32 vcc_lo, exec_lo, s6
	s_cbranch_vccnz .LBB165_35
; %bb.34:                               ;   in Loop: Header=BB165_10 Depth=1
	s_wait_xcnt 0x0
	ds_load_2addr_b64 v[40:43], v56 offset1:1
	v_mov_b32_e32 v31, v6
	s_delay_alu instid0(VALU_DEP_1)
	v_add_nc_u64_e32 v[64:65], v[34:35], v[30:31]
	s_wait_dscnt 0x0
	global_store_b128 v[64:65], v[40:43], off offset:64
.LBB165_35:                             ;   in Loop: Header=BB165_10 Depth=1
	;; [unrolled: 26-line block ×6, first 2 shown]
	s_wait_xcnt 0x0
	s_or_b32 exec_lo, exec_lo, s3
	s_and_saveexec_b32 s3, s8
	s_cbranch_execz .LBB165_8
; %bb.56:                               ;   in Loop: Header=BB165_10 Depth=1
	s_and_not1_b32 vcc_lo, exec_lo, s9
	s_mov_b32 s6, -1
	s_cbranch_vccnz .LBB165_58
; %bb.57:                               ;   in Loop: Header=BB165_10 Depth=1
	ds_load_2addr_b64 v[40:43], v61 offset1:1
	v_lshl_add_u64 v[36:37], v[28:29], 4, v[36:37]
	s_mov_b32 s6, 0
	s_wait_dscnt 0x0
	global_store_b128 v[36:37], v[40:43], off
.LBB165_58:                             ;   in Loop: Header=BB165_10 Depth=1
	s_and_not1_b32 vcc_lo, exec_lo, s6
	s_cbranch_vccnz .LBB165_8
; %bb.59:                               ;   in Loop: Header=BB165_10 Depth=1
	s_wait_xcnt 0x0
	ds_load_2addr_b64 v[40:43], v61 offset1:1
	v_mov_b32_e32 v31, v6
	s_delay_alu instid0(VALU_DEP_1)
	v_add_nc_u64_e32 v[34:35], v[34:35], v[30:31]
	s_wait_dscnt 0x0
	global_store_b128 v[34:35], v[40:43], off offset:224
	s_branch .LBB165_8
.LBB165_60:
	s_endpgm
	.section	.rodata,"a",@progbits
	.p2align	6, 0x0
	.amdhsa_kernel _ZN9rocsparseL42csr2bsr_wavefront_per_row_multipass_kernelILj256ELj32ELj16E21rocsparse_complex_numIdEilEEv20rocsparse_direction_T4_S4_S4_S4_S4_21rocsparse_index_base_PKT2_PKT3_PKS4_S5_PS6_PS9_PS4_
		.amdhsa_group_segment_fixed_size 32776
		.amdhsa_private_segment_fixed_size 0
		.amdhsa_kernarg_size 112
		.amdhsa_user_sgpr_count 2
		.amdhsa_user_sgpr_dispatch_ptr 0
		.amdhsa_user_sgpr_queue_ptr 0
		.amdhsa_user_sgpr_kernarg_segment_ptr 1
		.amdhsa_user_sgpr_dispatch_id 0
		.amdhsa_user_sgpr_kernarg_preload_length 0
		.amdhsa_user_sgpr_kernarg_preload_offset 0
		.amdhsa_user_sgpr_private_segment_size 0
		.amdhsa_wavefront_size32 1
		.amdhsa_uses_dynamic_stack 0
		.amdhsa_enable_private_segment 0
		.amdhsa_system_sgpr_workgroup_id_x 1
		.amdhsa_system_sgpr_workgroup_id_y 0
		.amdhsa_system_sgpr_workgroup_id_z 0
		.amdhsa_system_sgpr_workgroup_info 0
		.amdhsa_system_vgpr_workitem_id 0
		.amdhsa_next_free_vgpr 76
		.amdhsa_next_free_sgpr 48
		.amdhsa_named_barrier_count 0
		.amdhsa_reserve_vcc 1
		.amdhsa_float_round_mode_32 0
		.amdhsa_float_round_mode_16_64 0
		.amdhsa_float_denorm_mode_32 3
		.amdhsa_float_denorm_mode_16_64 3
		.amdhsa_fp16_overflow 0
		.amdhsa_memory_ordered 1
		.amdhsa_forward_progress 1
		.amdhsa_inst_pref_size 25
		.amdhsa_round_robin_scheduling 0
		.amdhsa_exception_fp_ieee_invalid_op 0
		.amdhsa_exception_fp_denorm_src 0
		.amdhsa_exception_fp_ieee_div_zero 0
		.amdhsa_exception_fp_ieee_overflow 0
		.amdhsa_exception_fp_ieee_underflow 0
		.amdhsa_exception_fp_ieee_inexact 0
		.amdhsa_exception_int_div_zero 0
	.end_amdhsa_kernel
	.section	.text._ZN9rocsparseL42csr2bsr_wavefront_per_row_multipass_kernelILj256ELj32ELj16E21rocsparse_complex_numIdEilEEv20rocsparse_direction_T4_S4_S4_S4_S4_21rocsparse_index_base_PKT2_PKT3_PKS4_S5_PS6_PS9_PS4_,"axG",@progbits,_ZN9rocsparseL42csr2bsr_wavefront_per_row_multipass_kernelILj256ELj32ELj16E21rocsparse_complex_numIdEilEEv20rocsparse_direction_T4_S4_S4_S4_S4_21rocsparse_index_base_PKT2_PKT3_PKS4_S5_PS6_PS9_PS4_,comdat
.Lfunc_end165:
	.size	_ZN9rocsparseL42csr2bsr_wavefront_per_row_multipass_kernelILj256ELj32ELj16E21rocsparse_complex_numIdEilEEv20rocsparse_direction_T4_S4_S4_S4_S4_21rocsparse_index_base_PKT2_PKT3_PKS4_S5_PS6_PS9_PS4_, .Lfunc_end165-_ZN9rocsparseL42csr2bsr_wavefront_per_row_multipass_kernelILj256ELj32ELj16E21rocsparse_complex_numIdEilEEv20rocsparse_direction_T4_S4_S4_S4_S4_21rocsparse_index_base_PKT2_PKT3_PKS4_S5_PS6_PS9_PS4_
                                        ; -- End function
	.set _ZN9rocsparseL42csr2bsr_wavefront_per_row_multipass_kernelILj256ELj32ELj16E21rocsparse_complex_numIdEilEEv20rocsparse_direction_T4_S4_S4_S4_S4_21rocsparse_index_base_PKT2_PKT3_PKS4_S5_PS6_PS9_PS4_.num_vgpr, 76
	.set _ZN9rocsparseL42csr2bsr_wavefront_per_row_multipass_kernelILj256ELj32ELj16E21rocsparse_complex_numIdEilEEv20rocsparse_direction_T4_S4_S4_S4_S4_21rocsparse_index_base_PKT2_PKT3_PKS4_S5_PS6_PS9_PS4_.num_agpr, 0
	.set _ZN9rocsparseL42csr2bsr_wavefront_per_row_multipass_kernelILj256ELj32ELj16E21rocsparse_complex_numIdEilEEv20rocsparse_direction_T4_S4_S4_S4_S4_21rocsparse_index_base_PKT2_PKT3_PKS4_S5_PS6_PS9_PS4_.numbered_sgpr, 48
	.set _ZN9rocsparseL42csr2bsr_wavefront_per_row_multipass_kernelILj256ELj32ELj16E21rocsparse_complex_numIdEilEEv20rocsparse_direction_T4_S4_S4_S4_S4_21rocsparse_index_base_PKT2_PKT3_PKS4_S5_PS6_PS9_PS4_.num_named_barrier, 0
	.set _ZN9rocsparseL42csr2bsr_wavefront_per_row_multipass_kernelILj256ELj32ELj16E21rocsparse_complex_numIdEilEEv20rocsparse_direction_T4_S4_S4_S4_S4_21rocsparse_index_base_PKT2_PKT3_PKS4_S5_PS6_PS9_PS4_.private_seg_size, 0
	.set _ZN9rocsparseL42csr2bsr_wavefront_per_row_multipass_kernelILj256ELj32ELj16E21rocsparse_complex_numIdEilEEv20rocsparse_direction_T4_S4_S4_S4_S4_21rocsparse_index_base_PKT2_PKT3_PKS4_S5_PS6_PS9_PS4_.uses_vcc, 1
	.set _ZN9rocsparseL42csr2bsr_wavefront_per_row_multipass_kernelILj256ELj32ELj16E21rocsparse_complex_numIdEilEEv20rocsparse_direction_T4_S4_S4_S4_S4_21rocsparse_index_base_PKT2_PKT3_PKS4_S5_PS6_PS9_PS4_.uses_flat_scratch, 0
	.set _ZN9rocsparseL42csr2bsr_wavefront_per_row_multipass_kernelILj256ELj32ELj16E21rocsparse_complex_numIdEilEEv20rocsparse_direction_T4_S4_S4_S4_S4_21rocsparse_index_base_PKT2_PKT3_PKS4_S5_PS6_PS9_PS4_.has_dyn_sized_stack, 0
	.set _ZN9rocsparseL42csr2bsr_wavefront_per_row_multipass_kernelILj256ELj32ELj16E21rocsparse_complex_numIdEilEEv20rocsparse_direction_T4_S4_S4_S4_S4_21rocsparse_index_base_PKT2_PKT3_PKS4_S5_PS6_PS9_PS4_.has_recursion, 0
	.set _ZN9rocsparseL42csr2bsr_wavefront_per_row_multipass_kernelILj256ELj32ELj16E21rocsparse_complex_numIdEilEEv20rocsparse_direction_T4_S4_S4_S4_S4_21rocsparse_index_base_PKT2_PKT3_PKS4_S5_PS6_PS9_PS4_.has_indirect_call, 0
	.section	.AMDGPU.csdata,"",@progbits
; Kernel info:
; codeLenInByte = 3152
; TotalNumSgprs: 50
; NumVgprs: 76
; ScratchSize: 0
; MemoryBound: 0
; FloatMode: 240
; IeeeMode: 1
; LDSByteSize: 32776 bytes/workgroup (compile time only)
; SGPRBlocks: 0
; VGPRBlocks: 4
; NumSGPRsForWavesPerEU: 50
; NumVGPRsForWavesPerEU: 76
; NamedBarCnt: 0
; Occupancy: 12
; WaveLimiterHint : 0
; COMPUTE_PGM_RSRC2:SCRATCH_EN: 0
; COMPUTE_PGM_RSRC2:USER_SGPR: 2
; COMPUTE_PGM_RSRC2:TRAP_HANDLER: 0
; COMPUTE_PGM_RSRC2:TGID_X_EN: 1
; COMPUTE_PGM_RSRC2:TGID_Y_EN: 0
; COMPUTE_PGM_RSRC2:TGID_Z_EN: 0
; COMPUTE_PGM_RSRC2:TIDIG_COMP_CNT: 0
	.section	.text._ZN9rocsparseL38csr2bsr_block_per_row_multipass_kernelILj256ELj32E21rocsparse_complex_numIdEilEEv20rocsparse_direction_T3_S4_S4_S4_S4_21rocsparse_index_base_PKT1_PKT2_PKS4_S5_PS6_PS9_PS4_,"axG",@progbits,_ZN9rocsparseL38csr2bsr_block_per_row_multipass_kernelILj256ELj32E21rocsparse_complex_numIdEilEEv20rocsparse_direction_T3_S4_S4_S4_S4_21rocsparse_index_base_PKT1_PKT2_PKS4_S5_PS6_PS9_PS4_,comdat
	.globl	_ZN9rocsparseL38csr2bsr_block_per_row_multipass_kernelILj256ELj32E21rocsparse_complex_numIdEilEEv20rocsparse_direction_T3_S4_S4_S4_S4_21rocsparse_index_base_PKT1_PKT2_PKS4_S5_PS6_PS9_PS4_ ; -- Begin function _ZN9rocsparseL38csr2bsr_block_per_row_multipass_kernelILj256ELj32E21rocsparse_complex_numIdEilEEv20rocsparse_direction_T3_S4_S4_S4_S4_21rocsparse_index_base_PKT1_PKT2_PKS4_S5_PS6_PS9_PS4_
	.p2align	8
	.type	_ZN9rocsparseL38csr2bsr_block_per_row_multipass_kernelILj256ELj32E21rocsparse_complex_numIdEilEEv20rocsparse_direction_T3_S4_S4_S4_S4_21rocsparse_index_base_PKT1_PKT2_PKS4_S5_PS6_PS9_PS4_,@function
_ZN9rocsparseL38csr2bsr_block_per_row_multipass_kernelILj256ELj32E21rocsparse_complex_numIdEilEEv20rocsparse_direction_T3_S4_S4_S4_S4_21rocsparse_index_base_PKT1_PKT2_PKS4_S5_PS6_PS9_PS4_: ; @_ZN9rocsparseL38csr2bsr_block_per_row_multipass_kernelILj256ELj32E21rocsparse_complex_numIdEilEEv20rocsparse_direction_T3_S4_S4_S4_S4_21rocsparse_index_base_PKT1_PKT2_PKS4_S5_PS6_PS9_PS4_
; %bb.0:
	s_clause 0x1
	s_load_b128 s[12:15], s[0:1], 0x20
	s_load_b64 s[6:7], s[0:1], 0x8
	s_bfe_u32 s3, ttmp6, 0x4000c
	v_dual_mov_b32 v32, 0 :: v_dual_lshrrev_b32 v2, 3, v0
	s_add_co_i32 s3, s3, 1
	s_and_b32 s2, ttmp6, 15
	s_mul_i32 s3, ttmp9, s3
	s_getreg_b32 s4, hwreg(HW_REG_IB_STS2, 6, 4)
	v_dual_mov_b32 v3, v32 :: v_dual_mov_b32 v26, 0
	s_add_co_i32 s2, s2, s3
	s_cmp_eq_u32 s4, 0
	s_clause 0x1
	s_load_b32 s24, s[0:1], 0x30
	s_load_b64 s[4:5], s[0:1], 0x40
	s_cselect_b32 s2, ttmp9, s2
	s_delay_alu instid0(SALU_CYCLE_1)
	s_ashr_i32 s3, s2, 31
	s_wait_kmcnt 0x0
	v_mad_nc_u64_u32 v[4:5], s14, s2, v[2:3]
	s_mul_i32 s8, s14, s3
	s_mul_i32 s9, s15, s2
	s_delay_alu instid0(VALU_DEP_1) | instid1(SALU_CYCLE_1)
	v_add3_u32 v5, s8, s9, v5
	v_cmp_gt_i64_e64 s9, s[14:15], v[2:3]
	s_delay_alu instid0(VALU_DEP_2) | instskip(SKIP_1) | instid1(SALU_CYCLE_1)
	v_cmp_gt_i64_e32 vcc_lo, s[6:7], v[4:5]
	s_and_b32 s6, s9, vcc_lo
	s_and_saveexec_b32 s7, s6
	s_cbranch_execnz .LBB166_3
; %bb.1:
	s_or_b32 exec_lo, exec_lo, s7
	s_and_saveexec_b32 s7, s6
	s_cbranch_execnz .LBB166_4
.LBB166_2:
	s_or_b32 exec_lo, exec_lo, s7
	v_cmp_lt_i64_e64 s4, s[12:13], 1
	s_and_b32 vcc_lo, exec_lo, s4
	s_cbranch_vccz .LBB166_5
	s_branch .LBB166_45
.LBB166_3:
	v_lshl_add_u64 v[6:7], v[4:5], 2, s[4:5]
	global_load_b32 v1, v[6:7], off
	s_wait_loadcnt 0x0
	v_subrev_nc_u32_e32 v26, s24, v1
	s_or_b32 exec_lo, exec_lo, s7
	s_and_saveexec_b32 s7, s6
	s_cbranch_execz .LBB166_2
.LBB166_4:
	v_lshl_add_u64 v[4:5], v[4:5], 2, s[4:5]
	global_load_b32 v1, v[4:5], off offset:4
	s_wait_loadcnt 0x0
	v_subrev_nc_u32_e32 v32, s24, v1
	s_or_b32 exec_lo, exec_lo, s7
	v_cmp_lt_i64_e64 s4, s[12:13], 1
	s_and_b32 vcc_lo, exec_lo, s4
	s_cbranch_vccnz .LBB166_45
.LBB166_5:
	v_mul_u64_e32 v[10:11], s[14:15], v[2:3]
	s_clause 0x1
	s_load_b128 s[4:7], s[0:1], 0x58
	s_load_b64 s[26:27], s[0:1], 0x68
	v_dual_lshlrev_b32 v33, 9, v2 :: v_dual_bitop2_b32 v6, 7, v0 bitop3:0x40
	v_mbcnt_lo_u32_b32 v1, -1, 0
	v_dual_lshlrev_b32 v8, 4, v2 :: v_dual_mov_b32 v4, 0
	s_delay_alu instid0(VALU_DEP_3) | instskip(SKIP_1) | instid1(VALU_DEP_3)
	v_lshlrev_b32_e32 v2, 4, v6
	s_lshl_b64 s[2:3], s[2:3], 2
	v_xor_b32_e32 v12, 4, v1
	s_delay_alu instid0(VALU_DEP_3)
	v_dual_mov_b32 v7, v4 :: v_dual_bitop2_b32 v13, 2, v1 bitop3:0x14
	s_clause 0x2
	s_load_b96 s[20:22], s[0:1], 0x48
	s_load_b64 s[30:31], s[0:1], 0x38
	s_load_b32 s8, s[0:1], 0x0
	v_dual_mov_b32 v3, v4 :: v_dual_bitop2_b32 v14, 1, v1 bitop3:0x14
	v_cmp_gt_i32_e32 vcc_lo, 32, v12
	v_cvt_f32_u32_e32 v5, s14
	v_lshl_or_b32 v35, v1, 2, 28
	v_dual_mov_b32 v21, v4 :: v_dual_bitop2_b32 v20, 16, v6 bitop3:0x54
	s_wait_kmcnt 0x0
	s_add_nc_u64 s[2:3], s[6:7], s[2:3]
	v_cndmask_b32_e32 v12, v1, v12, vcc_lo
	s_load_b32 s2, s[2:3], 0x0
	v_cmp_gt_i32_e32 vcc_lo, 32, v13
	v_rcp_iflag_f32_e32 v5, v5
	v_dual_mov_b32 v23, v4 :: v_dual_bitop2_b32 v22, 24, v6 bitop3:0x54
	v_mul_u64_e32 v[16:17], s[14:15], v[20:21]
	v_cndmask_b32_e32 v13, v1, v13, vcc_lo
	v_cmp_gt_i32_e32 vcc_lo, 32, v14
	v_dual_lshlrev_b32 v37, 2, v12 :: v_dual_bitop2_b32 v36, v33, v2 bitop3:0x54
	v_lshl_add_u64 v[10:11], v[10:11], 4, s[4:5]
	s_delay_alu instid0(VALU_DEP_4) | instskip(SKIP_2) | instid1(VALU_DEP_4)
	v_dual_cndmask_b32 v1, v1, v14 :: v_dual_lshlrev_b32 v38, 2, v13
	v_mul_u64_e32 v[12:13], s[14:15], v[6:7]
	v_mul_u64_e32 v[18:19], s[14:15], v[22:23]
	v_add_nc_u64_e32 v[10:11], v[10:11], v[2:3]
	s_delay_alu instid0(VALU_DEP_4) | instskip(SKIP_3) | instid1(VALU_DEP_2)
	v_dual_lshlrev_b32 v39, 2, v1 :: v_dual_bitop2_b32 v2, 8, v6 bitop3:0x54
	v_dual_mul_f32 v1, 0x4f7ffffe, v5 :: v_dual_mov_b32 v42, 1
	s_wait_kmcnt 0x0
	s_sub_co_i32 s34, s2, s22
	v_mul_u64_e32 v[14:15], s[14:15], v[2:3]
	s_cmp_eq_u32 s8, 0
	v_cvt_u32_f32_e32 v5, v1
	s_cselect_b32 s2, -1, 0
	s_sub_co_i32 s6, 0, s14
	v_cmp_gt_i64_e32 vcc_lo, s[14:15], v[6:7]
	v_cmp_gt_i64_e64 s10, s[14:15], v[2:3]
	v_mul_lo_u32 v1, s6, v5
	v_dual_mov_b32 v9, v4 :: v_dual_lshlrev_b32 v34, 3, v0
	s_mov_b32 s17, 0
	v_cmp_gt_u32_e64 s0, 0x80, v0
	s_mov_b32 s16, s17
	s_and_b32 s23, s9, vcc_lo
	s_and_b32 s33, s9, s10
	v_cmp_gt_i64_e32 vcc_lo, s[14:15], v[20:21]
	v_cmp_gt_i64_e64 s10, s[14:15], v[22:23]
	s_mov_b32 s18, s17
	v_mul_hi_u32 v24, v5, v1
	s_mov_b32 s19, s17
	v_cmp_gt_u32_e64 s1, 64, v0
	v_add_nc_u64_e32 v[8:9], s[4:5], v[8:9]
	v_cmp_gt_u32_e64 s3, 32, v0
	v_cmp_gt_u32_e64 s4, 16, v0
	;; [unrolled: 1-line block ×5, first 2 shown]
	v_cmp_eq_u32_e64 s8, 0, v0
	v_mov_b64_e32 v[0:1], s[16:17]
	v_mov_b64_e32 v[22:23], 0
	;; [unrolled: 1-line block ×3, first 2 shown]
	v_or_b32_e32 v7, 0x80, v36
	v_or_b32_e32 v40, 0x100, v36
	;; [unrolled: 1-line block ×3, first 2 shown]
	v_dual_mov_b32 v44, 0 :: v_dual_add_nc_u32 v43, v5, v24
	s_mul_u64 s[28:29], s[14:15], s[14:15]
	s_mov_b32 s25, s17
	s_mov_b64 s[18:19], 0xffffffff
	s_and_b32 s38, s9, vcc_lo
	s_and_b32 s39, s9, s10
	s_ashr_i32 s10, s15, 31
	s_branch .LBB166_7
.LBB166_6:                              ;   in Loop: Header=BB166_7 Depth=1
	s_or_b32 exec_lo, exec_lo, s11
	s_wait_dscnt 0x0
	s_barrier_signal -1
	s_barrier_wait -1
	ds_load_b64 v[22:23], v4
	s_add_co_i32 s34, s9, s34
	s_wait_dscnt 0x0
	s_barrier_signal -1
	s_barrier_wait -1
	v_dual_mov_b32 v44, v22 :: v_dual_ashrrev_i32 v23, 31, v22
	s_delay_alu instid0(VALU_DEP_1)
	v_cmp_gt_i64_e32 vcc_lo, s[12:13], v[22:23]
	s_cbranch_vccz .LBB166_45
.LBB166_7:                              ; =>This Loop Header: Depth=1
                                        ;     Child Loop BB166_10 Depth 2
	v_mov_b64_e32 v[20:21], s[12:13]
	v_dual_mov_b32 v5, v32 :: v_dual_add_nc_u32 v24, v26, v6
	s_mov_b32 s35, exec_lo
	ds_store_b8 v4, v4 offset:16384
	ds_store_b128 v36, v[0:3]
	ds_store_b128 v36, v[0:3] offset:128
	ds_store_b128 v36, v[0:3] offset:256
	;; [unrolled: 1-line block ×3, first 2 shown]
	s_wait_dscnt 0x0
	s_barrier_signal -1
	s_barrier_wait -1
	v_cmpx_lt_i32_e64 v24, v32
	s_cbranch_execz .LBB166_19
; %bb.8:                                ;   in Loop: Header=BB166_7 Depth=1
	v_mul_u64_e32 v[26:27], s[14:15], v[22:23]
	v_mov_b64_e32 v[20:21], s[12:13]
	v_mov_b32_e32 v27, v32
	s_mov_b32 s40, 0
	s_branch .LBB166_10
.LBB166_9:                              ;   in Loop: Header=BB166_10 Depth=2
	s_wait_xcnt 0x0
	s_or_b32 exec_lo, exec_lo, s9
	v_dual_mov_b32 v27, v5 :: v_dual_add_nc_u32 v24, 8, v24
	s_xor_b32 s11, vcc_lo, -1
	s_delay_alu instid0(VALU_DEP_1) | instskip(SKIP_1) | instid1(SALU_CYCLE_1)
	v_cmp_ge_i32_e64 s9, v24, v32
	s_or_b32 s9, s11, s9
	s_and_b32 s9, exec_lo, s9
	s_delay_alu instid0(SALU_CYCLE_1) | instskip(NEXT) | instid1(SALU_CYCLE_1)
	s_or_b32 s40, s9, s40
	s_and_not1_b32 exec_lo, exec_lo, s40
	s_cbranch_execz .LBB166_18
.LBB166_10:                             ;   Parent Loop BB166_7 Depth=1
                                        ; =>  This Inner Loop Header: Depth=2
	global_load_b64 v[28:29], v24, s[20:21] scale_offset
                                        ; implicit-def: $vgpr30_vgpr31
	s_mov_b32 s9, exec_lo
	s_wait_loadcnt 0x0
	v_sub_nc_u64_e64 v[28:29], v[28:29], s[24:25]
	s_delay_alu instid0(VALU_DEP_1) | instskip(SKIP_1) | instid1(VALU_DEP_1)
	v_or_b32_e32 v5, s15, v29
	s_wait_xcnt 0x0
	v_cmpx_ne_u64_e32 0, v[4:5]
	s_xor_b32 s41, exec_lo, s9
	s_cbranch_execz .LBB166_12
; %bb.11:                               ;   in Loop: Header=BB166_10 Depth=2
	s_mov_b32 s11, s10
	v_dual_mov_b32 v49, v4 :: v_dual_ashrrev_i32 v30, 31, v29
	s_add_nc_u64 s[36:37], s[14:15], s[10:11]
	v_mov_b32_e32 v53, v4
	s_xor_b64 s[36:37], s[36:37], s[10:11]
	s_delay_alu instid0(VALU_DEP_2)
	v_mov_b32_e32 v31, v30
	s_cvt_f32_u32 s9, s36
	s_cvt_f32_u32 s11, s37
	s_sub_nc_u64 s[44:45], 0, s[36:37]
	v_mov_b32_e32 v57, v4
	v_add_nc_u64_e32 v[46:47], v[28:29], v[30:31]
	s_fmamk_f32 s9, s11, 0x4f800000, s9
	s_delay_alu instid0(SALU_CYCLE_3) | instskip(NEXT) | instid1(VALU_DEP_1)
	v_s_rcp_f32 s9, s9
	v_xor_b32_e32 v48, v46, v30
	s_delay_alu instid0(VALU_DEP_2) | instskip(NEXT) | instid1(TRANS32_DEP_1)
	v_xor_b32_e32 v52, v47, v30
	s_mul_f32 s9, s9, 0x5f7ffffc
	s_delay_alu instid0(SALU_CYCLE_3) | instskip(NEXT) | instid1(SALU_CYCLE_3)
	s_mul_f32 s11, s9, 0x2f800000
	s_trunc_f32 s11, s11
	s_delay_alu instid0(SALU_CYCLE_3) | instskip(SKIP_1) | instid1(SALU_CYCLE_2)
	s_fmamk_f32 s9, s11, 0xcf800000, s9
	s_cvt_u32_f32 s43, s11
	s_cvt_u32_f32 s42, s9
	s_delay_alu instid0(SALU_CYCLE_3) | instskip(NEXT) | instid1(SALU_CYCLE_1)
	s_mul_u64 s[46:47], s[44:45], s[42:43]
	s_mul_hi_u32 s49, s42, s47
	s_mul_i32 s48, s42, s47
	s_mul_hi_u32 s16, s42, s46
	s_mul_i32 s11, s43, s46
	s_add_nc_u64 s[48:49], s[16:17], s[48:49]
	s_mul_hi_u32 s9, s43, s46
	s_mul_hi_u32 s50, s43, s47
	s_add_co_u32 s11, s48, s11
	s_add_co_ci_u32 s16, s49, s9
	s_mul_i32 s46, s43, s47
	s_add_co_ci_u32 s47, s50, 0
	s_delay_alu instid0(SALU_CYCLE_1) | instskip(NEXT) | instid1(SALU_CYCLE_1)
	s_add_nc_u64 s[46:47], s[16:17], s[46:47]
	s_add_co_u32 s42, s42, s46
	s_cselect_b32 s9, -1, 0
	s_delay_alu instid0(SALU_CYCLE_1) | instskip(SKIP_1) | instid1(SALU_CYCLE_1)
	s_cmp_lg_u32 s9, 0
	s_add_co_ci_u32 s43, s43, s47
	s_mul_u64 s[44:45], s[44:45], s[42:43]
	s_delay_alu instid0(SALU_CYCLE_1)
	s_mul_hi_u32 s47, s42, s45
	s_mul_i32 s46, s42, s45
	s_mul_hi_u32 s16, s42, s44
	s_mul_i32 s11, s43, s44
	s_add_nc_u64 s[46:47], s[16:17], s[46:47]
	s_mul_hi_u32 s9, s43, s44
	s_mul_hi_u32 s48, s43, s45
	s_add_co_u32 s11, s46, s11
	s_add_co_ci_u32 s16, s47, s9
	s_mul_i32 s44, s43, s45
	s_add_co_ci_u32 s45, s48, 0
	s_delay_alu instid0(SALU_CYCLE_1) | instskip(NEXT) | instid1(SALU_CYCLE_1)
	s_add_nc_u64 s[44:45], s[16:17], s[44:45]
	s_add_co_u32 s42, s42, s44
	s_cselect_b32 s9, -1, 0
	v_mul_hi_u32 v56, v48, s42
	s_cmp_lg_u32 s9, 0
	s_add_co_ci_u32 s16, s43, s45
	s_and_b64 s[44:45], s[42:43], s[18:19]
	v_mul_u64_e32 v[50:51], s[16:17], v[48:49]
	v_mul_u64_e32 v[46:47], s[44:45], v[52:53]
	;; [unrolled: 1-line block ×3, first 2 shown]
	s_delay_alu instid0(VALU_DEP_3) | instskip(NEXT) | instid1(VALU_DEP_1)
	v_add_nc_u64_e32 v[50:51], v[56:57], v[50:51]
	v_add_co_u32 v5, vcc_lo, v50, v46
	s_delay_alu instid0(VALU_DEP_2) | instskip(NEXT) | instid1(VALU_DEP_4)
	v_add_co_ci_u32_e32 v56, vcc_lo, v51, v47, vcc_lo
	v_add_co_ci_u32_e32 v55, vcc_lo, 0, v55, vcc_lo
	s_delay_alu instid0(VALU_DEP_1) | instskip(NEXT) | instid1(VALU_DEP_1)
	v_add_nc_u64_e32 v[46:47], v[56:57], v[54:55]
	v_mul_u64_e32 v[50:51], s[36:37], v[46:47]
	s_delay_alu instid0(VALU_DEP_1) | instskip(NEXT) | instid1(VALU_DEP_2)
	v_sub_nc_u32_e32 v5, v52, v51
	v_sub_co_u32 v25, vcc_lo, v48, v50
	s_delay_alu instid0(VALU_DEP_1) | instskip(NEXT) | instid1(VALU_DEP_3)
	v_sub_co_ci_u32_e64 v31, null, v52, v51, vcc_lo
	v_subrev_co_ci_u32_e64 v5, null, s37, v5, vcc_lo
	s_delay_alu instid0(VALU_DEP_3) | instskip(SKIP_1) | instid1(VALU_DEP_3)
	v_sub_co_u32 v29, s9, v25, s36
	v_add_nc_u64_e32 v[48:49], 2, v[46:47]
	v_subrev_co_ci_u32_e64 v5, null, 0, v5, s9
	s_delay_alu instid0(VALU_DEP_3) | instskip(SKIP_2) | instid1(VALU_DEP_4)
	v_cmp_le_u32_e32 vcc_lo, s36, v29
	v_add_nc_u64_e32 v[50:51], 1, v[46:47]
	v_cndmask_b32_e64 v29, 0, -1, vcc_lo
	v_cmp_le_u32_e32 vcc_lo, s37, v5
	v_cndmask_b32_e64 v45, 0, -1, vcc_lo
	v_cmp_le_u32_e32 vcc_lo, s36, v25
	;; [unrolled: 2-line block ×3, first 2 shown]
	v_cndmask_b32_e64 v52, 0, -1, vcc_lo
	v_cmp_eq_u32_e32 vcc_lo, s37, v5
	v_cndmask_b32_e32 v5, v45, v29, vcc_lo
	v_cmp_eq_u32_e32 vcc_lo, s37, v31
	s_delay_alu instid0(VALU_DEP_4) | instskip(NEXT) | instid1(VALU_DEP_3)
	v_cndmask_b32_e32 v25, v52, v25, vcc_lo
	v_cmp_ne_u32_e32 vcc_lo, 0, v5
	s_delay_alu instid0(VALU_DEP_2) | instskip(SKIP_1) | instid1(VALU_DEP_1)
	v_cmp_ne_u32_e64 s9, 0, v25
	v_dual_cndmask_b32 v5, v51, v49, vcc_lo :: v_dual_cndmask_b32 v25, v50, v48, vcc_lo
	v_dual_cndmask_b32 v5, v47, v5, s9 :: v_dual_bitop2_b32 v30, s10, v30 bitop3:0x14
	s_delay_alu instid0(VALU_DEP_1) | instskip(NEXT) | instid1(VALU_DEP_1)
	v_dual_cndmask_b32 v25, v46, v25, s9 :: v_dual_bitop2_b32 v47, v5, v30 bitop3:0x14
	v_dual_mov_b32 v31, v30 :: v_dual_bitop2_b32 v46, v25, v30 bitop3:0x14
	s_delay_alu instid0(VALU_DEP_1)
	v_sub_nc_u64_e32 v[30:31], v[46:47], v[30:31]
.LBB166_12:                             ;   in Loop: Header=BB166_10 Depth=2
	s_and_not1_saveexec_b32 s9, s41
	s_cbranch_execz .LBB166_14
; %bb.13:                               ;   in Loop: Header=BB166_10 Depth=2
	v_mul_hi_u32 v5, v28, v43
	v_mov_b32_e32 v31, v4
	s_delay_alu instid0(VALU_DEP_2) | instskip(NEXT) | instid1(VALU_DEP_1)
	v_mul_lo_u32 v25, v5, s14
	v_sub_nc_u32_e32 v25, v28, v25
	s_delay_alu instid0(VALU_DEP_1) | instskip(SKIP_1) | instid1(VALU_DEP_2)
	v_subrev_nc_u32_e32 v30, s14, v25
	v_cmp_le_u32_e32 vcc_lo, s14, v25
	v_dual_add_nc_u32 v29, 1, v5 :: v_dual_cndmask_b32 v25, v25, v30, vcc_lo
	s_delay_alu instid0(VALU_DEP_1) | instskip(NEXT) | instid1(VALU_DEP_2)
	v_cndmask_b32_e32 v5, v5, v29, vcc_lo
	v_cmp_le_u32_e32 vcc_lo, s14, v25
	s_delay_alu instid0(VALU_DEP_2) | instskip(NEXT) | instid1(VALU_DEP_1)
	v_add_nc_u32_e32 v29, 1, v5
	v_cndmask_b32_e32 v30, v5, v29, vcc_lo
.LBB166_14:                             ;   in Loop: Header=BB166_10 Depth=2
	s_or_b32 exec_lo, exec_lo, s9
	s_delay_alu instid0(VALU_DEP_1) | instskip(SKIP_2) | instid1(SALU_CYCLE_1)
	v_cmp_ne_u64_e64 s9, v[30:31], v[22:23]
	v_cmp_eq_u64_e32 vcc_lo, v[30:31], v[22:23]
	s_and_saveexec_b32 s11, s9
	s_xor_b32 s9, exec_lo, s11
; %bb.15:                               ;   in Loop: Header=BB166_10 Depth=2
	v_min_i64 v[20:21], v[30:31], v[20:21]
                                        ; implicit-def: $vgpr28_vgpr29
                                        ; implicit-def: $vgpr27
; %bb.16:                               ;   in Loop: Header=BB166_10 Depth=2
	s_or_saveexec_b32 s9, s9
	v_mov_b32_e32 v5, v24
	s_xor_b32 exec_lo, exec_lo, s9
	s_cbranch_execz .LBB166_9
; %bb.17:                               ;   in Loop: Header=BB166_10 Depth=2
	v_dual_ashrrev_i32 v25, 31, v24 :: v_dual_sub_nc_u32 v5, v28, v26
	s_delay_alu instid0(VALU_DEP_1) | instskip(NEXT) | instid1(VALU_DEP_2)
	v_lshl_add_u64 v[30:31], v[24:25], 4, s[30:31]
	v_lshl_add_u32 v25, v5, 4, v33
	v_mov_b32_e32 v5, v27
	global_load_b128 v[46:49], v[30:31], off
	ds_store_b8 v4, v42 offset:16384
	s_wait_loadcnt 0x0
	ds_store_2addr_b64 v25, v[46:47], v[48:49] offset1:1
	s_branch .LBB166_9
.LBB166_18:                             ;   in Loop: Header=BB166_7 Depth=1
	s_or_b32 exec_lo, exec_lo, s40
.LBB166_19:                             ;   in Loop: Header=BB166_7 Depth=1
	s_delay_alu instid0(SALU_CYCLE_1)
	s_or_b32 exec_lo, exec_lo, s35
	ds_bpermute_b32 v22, v37, v5
	s_wait_dscnt 0x0
	s_barrier_signal -1
	s_barrier_wait -1
	ds_load_u8 v23, v4 offset:16384
	s_mov_b32 s9, 0
	v_min_i32_e32 v5, v22, v5
	ds_bpermute_b32 v22, v38, v5
	s_wait_dscnt 0x0
	v_min_i32_e32 v5, v22, v5
	ds_bpermute_b32 v22, v39, v5
	s_wait_dscnt 0x0
	v_min_i32_e32 v5, v22, v5
	ds_bpermute_b32 v26, v35, v5
	v_and_b32_e32 v5, 1, v23
	s_delay_alu instid0(VALU_DEP_1)
	v_cmp_eq_u32_e32 vcc_lo, 0, v5
	s_cbranch_vccnz .LBB166_26
; %bb.20:                               ;   in Loop: Header=BB166_7 Depth=1
	s_ashr_i32 s35, s34, 31
	v_dual_mov_b32 v5, s34 :: v_dual_add_nc_u32 v28, s22, v44
	s_mul_u64 s[36:37], s[28:29], s[34:35]
	s_delay_alu instid0(SALU_CYCLE_1) | instskip(NEXT) | instid1(VALU_DEP_1)
	s_lshl_b64 s[36:37], s[36:37], 4
	v_ashrrev_i32_e32 v29, 31, v28
	v_add_nc_u64_e32 v[22:23], s[36:37], v[8:9]
	v_add_nc_u64_e32 v[24:25], s[36:37], v[10:11]
	global_store_b64 v5, v[28:29], s[26:27] scale_offset
	s_wait_xcnt 0x0
	s_and_saveexec_b32 s9, s23
	s_cbranch_execnz .LBB166_42
; %bb.21:                               ;   in Loop: Header=BB166_7 Depth=1
	s_or_b32 exec_lo, exec_lo, s9
	s_and_saveexec_b32 s9, s33
	s_cbranch_execnz .LBB166_43
.LBB166_22:                             ;   in Loop: Header=BB166_7 Depth=1
	s_or_b32 exec_lo, exec_lo, s9
	s_and_saveexec_b32 s9, s38
	s_cbranch_execnz .LBB166_44
.LBB166_23:                             ;   in Loop: Header=BB166_7 Depth=1
	s_or_b32 exec_lo, exec_lo, s9
	s_and_saveexec_b32 s9, s39
	s_cbranch_execz .LBB166_25
.LBB166_24:                             ;   in Loop: Header=BB166_7 Depth=1
	ds_load_2addr_b64 v[28:31], v41 offset1:1
	v_add_nc_u64_e32 v[24:25], 0x180, v[24:25]
	v_lshl_add_u64 v[22:23], v[18:19], 4, v[22:23]
	s_delay_alu instid0(VALU_DEP_1)
	v_dual_cndmask_b32 v23, v23, v25, s2 :: v_dual_cndmask_b32 v22, v22, v24, s2
	s_wait_dscnt 0x0
	global_store_b128 v[22:23], v[28:31], off
.LBB166_25:                             ;   in Loop: Header=BB166_7 Depth=1
	s_wait_xcnt 0x0
	s_or_b32 exec_lo, exec_lo, s9
	s_mov_b32 s9, 1
.LBB166_26:                             ;   in Loop: Header=BB166_7 Depth=1
	s_wait_storecnt_dscnt 0x0
	s_barrier_signal -1
	s_barrier_wait -1
	ds_store_b64 v34, v[20:21]
	s_wait_dscnt 0x0
	s_barrier_signal -1
	s_barrier_wait -1
	s_and_saveexec_b32 s11, s0
	s_cbranch_execz .LBB166_28
; %bb.27:                               ;   in Loop: Header=BB166_7 Depth=1
	ds_load_2addr_stride64_b64 v[20:23], v34 offset1:2
	s_wait_dscnt 0x0
	v_min_i64 v[20:21], v[22:23], v[20:21]
	ds_store_b64 v34, v[20:21]
.LBB166_28:                             ;   in Loop: Header=BB166_7 Depth=1
	s_or_b32 exec_lo, exec_lo, s11
	s_wait_dscnt 0x0
	s_barrier_signal -1
	s_barrier_wait -1
	s_and_saveexec_b32 s11, s1
	s_cbranch_execz .LBB166_30
; %bb.29:                               ;   in Loop: Header=BB166_7 Depth=1
	ds_load_2addr_stride64_b64 v[20:23], v34 offset1:1
	s_wait_dscnt 0x0
	v_min_i64 v[20:21], v[22:23], v[20:21]
	ds_store_b64 v34, v[20:21]
.LBB166_30:                             ;   in Loop: Header=BB166_7 Depth=1
	s_or_b32 exec_lo, exec_lo, s11
	s_wait_dscnt 0x0
	s_barrier_signal -1
	s_barrier_wait -1
	s_and_saveexec_b32 s11, s3
	s_cbranch_execz .LBB166_32
; %bb.31:                               ;   in Loop: Header=BB166_7 Depth=1
	ds_load_2addr_b64 v[20:23], v34 offset1:32
	s_wait_dscnt 0x0
	v_min_i64 v[20:21], v[22:23], v[20:21]
	ds_store_b64 v34, v[20:21]
.LBB166_32:                             ;   in Loop: Header=BB166_7 Depth=1
	s_or_b32 exec_lo, exec_lo, s11
	s_wait_dscnt 0x0
	s_barrier_signal -1
	s_barrier_wait -1
	s_and_saveexec_b32 s11, s4
	s_cbranch_execz .LBB166_34
; %bb.33:                               ;   in Loop: Header=BB166_7 Depth=1
	ds_load_2addr_b64 v[20:23], v34 offset1:16
	s_wait_dscnt 0x0
	v_min_i64 v[20:21], v[22:23], v[20:21]
	ds_store_b64 v34, v[20:21]
.LBB166_34:                             ;   in Loop: Header=BB166_7 Depth=1
	s_or_b32 exec_lo, exec_lo, s11
	s_wait_dscnt 0x0
	s_barrier_signal -1
	s_barrier_wait -1
	s_and_saveexec_b32 s11, s5
	s_cbranch_execz .LBB166_36
; %bb.35:                               ;   in Loop: Header=BB166_7 Depth=1
	ds_load_2addr_b64 v[20:23], v34 offset1:8
	s_wait_dscnt 0x0
	v_min_i64 v[20:21], v[22:23], v[20:21]
	ds_store_b64 v34, v[20:21]
.LBB166_36:                             ;   in Loop: Header=BB166_7 Depth=1
	s_or_b32 exec_lo, exec_lo, s11
	s_wait_dscnt 0x0
	s_barrier_signal -1
	s_barrier_wait -1
	s_and_saveexec_b32 s11, s6
	s_cbranch_execz .LBB166_38
; %bb.37:                               ;   in Loop: Header=BB166_7 Depth=1
	ds_load_2addr_b64 v[20:23], v34 offset1:4
	s_wait_dscnt 0x0
	v_min_i64 v[20:21], v[22:23], v[20:21]
	ds_store_b64 v34, v[20:21]
.LBB166_38:                             ;   in Loop: Header=BB166_7 Depth=1
	s_or_b32 exec_lo, exec_lo, s11
	s_wait_dscnt 0x0
	s_barrier_signal -1
	s_barrier_wait -1
	s_and_saveexec_b32 s11, s7
	s_cbranch_execz .LBB166_40
; %bb.39:                               ;   in Loop: Header=BB166_7 Depth=1
	ds_load_2addr_b64 v[20:23], v34 offset1:2
	s_wait_dscnt 0x0
	v_min_i64 v[20:21], v[22:23], v[20:21]
	ds_store_b64 v34, v[20:21]
.LBB166_40:                             ;   in Loop: Header=BB166_7 Depth=1
	s_or_b32 exec_lo, exec_lo, s11
	s_wait_dscnt 0x0
	s_barrier_signal -1
	s_barrier_wait -1
	s_and_saveexec_b32 s11, s8
	s_cbranch_execz .LBB166_6
; %bb.41:                               ;   in Loop: Header=BB166_7 Depth=1
	ds_load_b128 v[20:23], v4
	s_wait_dscnt 0x0
	v_min_i64 v[20:21], v[22:23], v[20:21]
	ds_store_b64 v4, v[20:21]
	s_branch .LBB166_6
.LBB166_42:                             ;   in Loop: Header=BB166_7 Depth=1
	ds_load_2addr_b64 v[28:31], v36 offset1:1
	v_lshl_add_u64 v[44:45], v[12:13], 4, v[22:23]
	s_delay_alu instid0(VALU_DEP_1)
	v_dual_cndmask_b32 v45, v45, v25, s2 :: v_dual_cndmask_b32 v44, v44, v24, s2
	s_wait_dscnt 0x0
	global_store_b128 v[44:45], v[28:31], off
	s_wait_xcnt 0x0
	s_or_b32 exec_lo, exec_lo, s9
	s_and_saveexec_b32 s9, s33
	s_cbranch_execz .LBB166_22
.LBB166_43:                             ;   in Loop: Header=BB166_7 Depth=1
	ds_load_2addr_b64 v[28:31], v7 offset1:1
	v_add_nc_u64_e32 v[44:45], 0x80, v[24:25]
	v_lshl_add_u64 v[46:47], v[14:15], 4, v[22:23]
	s_delay_alu instid0(VALU_DEP_1)
	v_dual_cndmask_b32 v45, v47, v45, s2 :: v_dual_cndmask_b32 v44, v46, v44, s2
	s_wait_dscnt 0x0
	global_store_b128 v[44:45], v[28:31], off
	s_wait_xcnt 0x0
	s_or_b32 exec_lo, exec_lo, s9
	s_and_saveexec_b32 s9, s38
	s_cbranch_execz .LBB166_23
.LBB166_44:                             ;   in Loop: Header=BB166_7 Depth=1
	ds_load_2addr_b64 v[28:31], v40 offset1:1
	v_add_nc_u64_e32 v[44:45], 0x100, v[24:25]
	v_lshl_add_u64 v[46:47], v[16:17], 4, v[22:23]
	s_delay_alu instid0(VALU_DEP_1)
	v_dual_cndmask_b32 v45, v47, v45, s2 :: v_dual_cndmask_b32 v44, v46, v44, s2
	s_wait_dscnt 0x0
	global_store_b128 v[44:45], v[28:31], off
	s_wait_xcnt 0x0
	s_or_b32 exec_lo, exec_lo, s9
	s_and_saveexec_b32 s9, s39
	s_cbranch_execnz .LBB166_24
	s_branch .LBB166_25
.LBB166_45:
	s_endpgm
	.section	.rodata,"a",@progbits
	.p2align	6, 0x0
	.amdhsa_kernel _ZN9rocsparseL38csr2bsr_block_per_row_multipass_kernelILj256ELj32E21rocsparse_complex_numIdEilEEv20rocsparse_direction_T3_S4_S4_S4_S4_21rocsparse_index_base_PKT1_PKT2_PKS4_S5_PS6_PS9_PS4_
		.amdhsa_group_segment_fixed_size 16392
		.amdhsa_private_segment_fixed_size 0
		.amdhsa_kernarg_size 112
		.amdhsa_user_sgpr_count 2
		.amdhsa_user_sgpr_dispatch_ptr 0
		.amdhsa_user_sgpr_queue_ptr 0
		.amdhsa_user_sgpr_kernarg_segment_ptr 1
		.amdhsa_user_sgpr_dispatch_id 0
		.amdhsa_user_sgpr_kernarg_preload_length 0
		.amdhsa_user_sgpr_kernarg_preload_offset 0
		.amdhsa_user_sgpr_private_segment_size 0
		.amdhsa_wavefront_size32 1
		.amdhsa_uses_dynamic_stack 0
		.amdhsa_enable_private_segment 0
		.amdhsa_system_sgpr_workgroup_id_x 1
		.amdhsa_system_sgpr_workgroup_id_y 0
		.amdhsa_system_sgpr_workgroup_id_z 0
		.amdhsa_system_sgpr_workgroup_info 0
		.amdhsa_system_vgpr_workitem_id 0
		.amdhsa_next_free_vgpr 58
		.amdhsa_next_free_sgpr 51
		.amdhsa_named_barrier_count 0
		.amdhsa_reserve_vcc 1
		.amdhsa_float_round_mode_32 0
		.amdhsa_float_round_mode_16_64 0
		.amdhsa_float_denorm_mode_32 3
		.amdhsa_float_denorm_mode_16_64 3
		.amdhsa_fp16_overflow 0
		.amdhsa_memory_ordered 1
		.amdhsa_forward_progress 1
		.amdhsa_inst_pref_size 22
		.amdhsa_round_robin_scheduling 0
		.amdhsa_exception_fp_ieee_invalid_op 0
		.amdhsa_exception_fp_denorm_src 0
		.amdhsa_exception_fp_ieee_div_zero 0
		.amdhsa_exception_fp_ieee_overflow 0
		.amdhsa_exception_fp_ieee_underflow 0
		.amdhsa_exception_fp_ieee_inexact 0
		.amdhsa_exception_int_div_zero 0
	.end_amdhsa_kernel
	.section	.text._ZN9rocsparseL38csr2bsr_block_per_row_multipass_kernelILj256ELj32E21rocsparse_complex_numIdEilEEv20rocsparse_direction_T3_S4_S4_S4_S4_21rocsparse_index_base_PKT1_PKT2_PKS4_S5_PS6_PS9_PS4_,"axG",@progbits,_ZN9rocsparseL38csr2bsr_block_per_row_multipass_kernelILj256ELj32E21rocsparse_complex_numIdEilEEv20rocsparse_direction_T3_S4_S4_S4_S4_21rocsparse_index_base_PKT1_PKT2_PKS4_S5_PS6_PS9_PS4_,comdat
.Lfunc_end166:
	.size	_ZN9rocsparseL38csr2bsr_block_per_row_multipass_kernelILj256ELj32E21rocsparse_complex_numIdEilEEv20rocsparse_direction_T3_S4_S4_S4_S4_21rocsparse_index_base_PKT1_PKT2_PKS4_S5_PS6_PS9_PS4_, .Lfunc_end166-_ZN9rocsparseL38csr2bsr_block_per_row_multipass_kernelILj256ELj32E21rocsparse_complex_numIdEilEEv20rocsparse_direction_T3_S4_S4_S4_S4_21rocsparse_index_base_PKT1_PKT2_PKS4_S5_PS6_PS9_PS4_
                                        ; -- End function
	.set _ZN9rocsparseL38csr2bsr_block_per_row_multipass_kernelILj256ELj32E21rocsparse_complex_numIdEilEEv20rocsparse_direction_T3_S4_S4_S4_S4_21rocsparse_index_base_PKT1_PKT2_PKS4_S5_PS6_PS9_PS4_.num_vgpr, 58
	.set _ZN9rocsparseL38csr2bsr_block_per_row_multipass_kernelILj256ELj32E21rocsparse_complex_numIdEilEEv20rocsparse_direction_T3_S4_S4_S4_S4_21rocsparse_index_base_PKT1_PKT2_PKS4_S5_PS6_PS9_PS4_.num_agpr, 0
	.set _ZN9rocsparseL38csr2bsr_block_per_row_multipass_kernelILj256ELj32E21rocsparse_complex_numIdEilEEv20rocsparse_direction_T3_S4_S4_S4_S4_21rocsparse_index_base_PKT1_PKT2_PKS4_S5_PS6_PS9_PS4_.numbered_sgpr, 51
	.set _ZN9rocsparseL38csr2bsr_block_per_row_multipass_kernelILj256ELj32E21rocsparse_complex_numIdEilEEv20rocsparse_direction_T3_S4_S4_S4_S4_21rocsparse_index_base_PKT1_PKT2_PKS4_S5_PS6_PS9_PS4_.num_named_barrier, 0
	.set _ZN9rocsparseL38csr2bsr_block_per_row_multipass_kernelILj256ELj32E21rocsparse_complex_numIdEilEEv20rocsparse_direction_T3_S4_S4_S4_S4_21rocsparse_index_base_PKT1_PKT2_PKS4_S5_PS6_PS9_PS4_.private_seg_size, 0
	.set _ZN9rocsparseL38csr2bsr_block_per_row_multipass_kernelILj256ELj32E21rocsparse_complex_numIdEilEEv20rocsparse_direction_T3_S4_S4_S4_S4_21rocsparse_index_base_PKT1_PKT2_PKS4_S5_PS6_PS9_PS4_.uses_vcc, 1
	.set _ZN9rocsparseL38csr2bsr_block_per_row_multipass_kernelILj256ELj32E21rocsparse_complex_numIdEilEEv20rocsparse_direction_T3_S4_S4_S4_S4_21rocsparse_index_base_PKT1_PKT2_PKS4_S5_PS6_PS9_PS4_.uses_flat_scratch, 0
	.set _ZN9rocsparseL38csr2bsr_block_per_row_multipass_kernelILj256ELj32E21rocsparse_complex_numIdEilEEv20rocsparse_direction_T3_S4_S4_S4_S4_21rocsparse_index_base_PKT1_PKT2_PKS4_S5_PS6_PS9_PS4_.has_dyn_sized_stack, 0
	.set _ZN9rocsparseL38csr2bsr_block_per_row_multipass_kernelILj256ELj32E21rocsparse_complex_numIdEilEEv20rocsparse_direction_T3_S4_S4_S4_S4_21rocsparse_index_base_PKT1_PKT2_PKS4_S5_PS6_PS9_PS4_.has_recursion, 0
	.set _ZN9rocsparseL38csr2bsr_block_per_row_multipass_kernelILj256ELj32E21rocsparse_complex_numIdEilEEv20rocsparse_direction_T3_S4_S4_S4_S4_21rocsparse_index_base_PKT1_PKT2_PKS4_S5_PS6_PS9_PS4_.has_indirect_call, 0
	.section	.AMDGPU.csdata,"",@progbits
; Kernel info:
; codeLenInByte = 2772
; TotalNumSgprs: 53
; NumVgprs: 58
; ScratchSize: 0
; MemoryBound: 0
; FloatMode: 240
; IeeeMode: 1
; LDSByteSize: 16392 bytes/workgroup (compile time only)
; SGPRBlocks: 0
; VGPRBlocks: 3
; NumSGPRsForWavesPerEU: 53
; NumVGPRsForWavesPerEU: 58
; NamedBarCnt: 0
; Occupancy: 16
; WaveLimiterHint : 1
; COMPUTE_PGM_RSRC2:SCRATCH_EN: 0
; COMPUTE_PGM_RSRC2:USER_SGPR: 2
; COMPUTE_PGM_RSRC2:TRAP_HANDLER: 0
; COMPUTE_PGM_RSRC2:TGID_X_EN: 1
; COMPUTE_PGM_RSRC2:TGID_Y_EN: 0
; COMPUTE_PGM_RSRC2:TGID_Z_EN: 0
; COMPUTE_PGM_RSRC2:TIDIG_COMP_CNT: 0
	.section	.text._ZN9rocsparseL21csr2bsr_65_inf_kernelILj32E21rocsparse_complex_numIdEilEEv20rocsparse_direction_T2_S4_S4_S4_S4_S4_21rocsparse_index_base_PKT0_PKT1_PKS4_S5_PS6_PS9_PS4_SF_SG_SE_,"axG",@progbits,_ZN9rocsparseL21csr2bsr_65_inf_kernelILj32E21rocsparse_complex_numIdEilEEv20rocsparse_direction_T2_S4_S4_S4_S4_S4_21rocsparse_index_base_PKT0_PKT1_PKS4_S5_PS6_PS9_PS4_SF_SG_SE_,comdat
	.globl	_ZN9rocsparseL21csr2bsr_65_inf_kernelILj32E21rocsparse_complex_numIdEilEEv20rocsparse_direction_T2_S4_S4_S4_S4_S4_21rocsparse_index_base_PKT0_PKT1_PKS4_S5_PS6_PS9_PS4_SF_SG_SE_ ; -- Begin function _ZN9rocsparseL21csr2bsr_65_inf_kernelILj32E21rocsparse_complex_numIdEilEEv20rocsparse_direction_T2_S4_S4_S4_S4_S4_21rocsparse_index_base_PKT0_PKT1_PKS4_S5_PS6_PS9_PS4_SF_SG_SE_
	.p2align	8
	.type	_ZN9rocsparseL21csr2bsr_65_inf_kernelILj32E21rocsparse_complex_numIdEilEEv20rocsparse_direction_T2_S4_S4_S4_S4_S4_21rocsparse_index_base_PKT0_PKT1_PKS4_S5_PS6_PS9_PS4_SF_SG_SE_,@function
_ZN9rocsparseL21csr2bsr_65_inf_kernelILj32E21rocsparse_complex_numIdEilEEv20rocsparse_direction_T2_S4_S4_S4_S4_S4_21rocsparse_index_base_PKT0_PKT1_PKS4_S5_PS6_PS9_PS4_SF_SG_SE_: ; @_ZN9rocsparseL21csr2bsr_65_inf_kernelILj32E21rocsparse_complex_numIdEilEEv20rocsparse_direction_T2_S4_S4_S4_S4_S4_21rocsparse_index_base_PKT0_PKT1_PKS4_S5_PS6_PS9_PS4_SF_SG_SE_
; %bb.0:
	s_clause 0x1
	s_load_b64 s[8:9], s[0:1], 0x18
	s_load_b128 s[4:7], s[0:1], 0x8
	s_bfe_u32 s10, ttmp6, 0x4000c
	s_clause 0x1
	s_load_b64 s[2:3], s[0:1], 0x78
	s_load_b32 s12, s[0:1], 0x58
	s_add_co_i32 s10, s10, 1
	s_and_b32 s11, ttmp6, 15
	s_mul_i32 s10, ttmp9, s10
	s_getreg_b32 s13, hwreg(HW_REG_IB_STS2, 6, 4)
	s_add_co_i32 s11, s11, s10
	s_cmp_eq_u32 s13, 0
	s_mov_b32 s21, 0
	s_cselect_b32 s20, ttmp9, s11
	s_mov_b64 s[22:23], 0
	s_wait_kmcnt 0x0
	v_cmp_le_i64_e64 s8, s[8:9], s[20:21]
	s_and_b32 vcc_lo, exec_lo, s8
	s_cbranch_vccnz .LBB167_2
; %bb.1:
	s_load_b64 s[8:9], s[0:1], 0x68
	s_lshl_b64 s[10:11], s[20:21], 2
	s_wait_kmcnt 0x0
	s_add_nc_u64 s[8:9], s[8:9], s[10:11]
	s_load_b32 s8, s[8:9], 0x0
	s_wait_kmcnt 0x0
	s_sub_co_i32 s22, s8, s12
	s_delay_alu instid0(SALU_CYCLE_1)
	s_ashr_i32 s23, s22, 31
.LBB167_2:
	s_clause 0x1
	s_load_b128 s[8:11], s[0:1], 0x28
	s_load_b32 s14, s[0:1], 0x38
	v_mov_b32_e32 v1, 0
	s_wait_kmcnt 0x0
	s_delay_alu instid0(VALU_DEP_1)
	v_mul_u64_e32 v[2:3], s[10:11], v[0:1]
	s_mul_u64 s[16:17], s[20:21], s[10:11]
	s_lshl_b64 s[18:19], s[10:11], 7
	s_lshl_b64 s[16:17], s[16:17], 8
	v_cmp_lt_i64_e64 s13, s[10:11], 1
	s_add_nc_u64 s[2:3], s[2:3], s[16:17]
	v_cmp_gt_i64_e64 s33, s[10:11], 0
	s_add_nc_u64 s[16:17], s[2:3], s[18:19]
	s_and_b32 vcc_lo, exec_lo, s13
	v_lshlrev_b64_e32 v[4:5], 2, v[2:3]
	s_delay_alu instid0(VALU_DEP_1)
	v_add_nc_u64_e32 v[6:7], s[2:3], v[4:5]
	v_add_nc_u64_e32 v[8:9], s[16:17], v[4:5]
	s_cbranch_vccnz .LBB167_7
; %bb.3:
	s_load_b64 s[2:3], s[0:1], 0x48
	s_mul_u64 s[16:17], s[8:9], s[20:21]
	s_delay_alu instid0(VALU_DEP_1)
	v_mov_b64_e32 v[10:11], v[8:9]
	v_add_nc_u64_e32 v[4:5], s[16:17], v[0:1]
	v_mov_b64_e32 v[12:13], v[0:1]
	v_mov_b64_e32 v[14:15], v[6:7]
	s_mov_b64 s[18:19], s[10:11]
	s_wait_kmcnt 0x0
	s_delay_alu instid0(VALU_DEP_3) | instskip(NEXT) | instid1(VALU_DEP_1)
	v_lshl_add_u64 v[4:5], v[4:5], 2, s[2:3]
	v_add_nc_u64_e32 v[4:5], 4, v[4:5]
	s_branch .LBB167_5
.LBB167_4:                              ;   in Loop: Header=BB167_5 Depth=1
	s_wait_xcnt 0x0
	s_or_b32 exec_lo, exec_lo, s2
	v_add_nc_u64_e32 v[14:15], 4, v[14:15]
	v_add_nc_u64_e32 v[4:5], 0x80, v[4:5]
	;; [unrolled: 1-line block ×4, first 2 shown]
	s_add_nc_u64 s[18:19], s[18:19], -1
	s_delay_alu instid0(SALU_CYCLE_1)
	s_cmp_eq_u64 s[18:19], 0
	s_cbranch_scc1 .LBB167_7
.LBB167_5:                              ; =>This Inner Loop Header: Depth=1
	s_delay_alu instid0(VALU_DEP_2)
	v_add_nc_u64_e32 v[16:17], s[16:17], v[12:13]
	v_cmp_gt_i64_e64 s2, s[8:9], v[12:13]
	global_store_b32 v[14:15], v1, off
	global_store_b32 v[10:11], v1, off
	v_cmp_gt_i64_e32 vcc_lo, s[4:5], v[16:17]
	s_and_b32 s3, vcc_lo, s2
	s_wait_xcnt 0x0
	s_and_saveexec_b32 s2, s3
	s_cbranch_execz .LBB167_4
; %bb.6:                                ;   in Loop: Header=BB167_5 Depth=1
	global_load_b64 v[16:17], v[4:5], off offset:-4
	s_wait_loadcnt 0x0
	v_subrev_nc_u32_e32 v16, s14, v16
	v_subrev_nc_u32_e32 v17, s14, v17
	global_store_b32 v[14:15], v16, off
	global_store_b32 v[10:11], v17, off
	s_branch .LBB167_4
.LBB167_7:
	v_cmp_lt_i64_e64 s2, s[6:7], 1
	s_and_b32 vcc_lo, exec_lo, s2
	s_cbranch_vccnz .LBB167_52
; %bb.8:
	s_clause 0x1
	s_load_b128 s[24:27], s[0:1], 0x80
	s_load_b64 s[28:29], s[0:1], 0x70
	v_mbcnt_lo_u32_b32 v4, -1, 0
	s_lshl_b64 s[30:31], s[10:11], 5
	s_clause 0x3
	s_load_b64 s[2:3], s[0:1], 0x60
	s_load_b64 s[4:5], s[0:1], 0x50
	;; [unrolled: 1-line block ×3, first 2 shown]
	s_load_b32 s18, s[0:1], 0x0
	s_wait_xcnt 0x0
	s_mul_u64 s[0:1], s[30:31], s[20:21]
	v_mov_b64_e32 v[20:21], 0
	v_xor_b32_e32 v14, 8, v4
	v_xor_b32_e32 v5, 16, v4
	s_lshl_b64 s[20:21], s[0:1], 3
	s_lshl_b64 s[0:1], s[0:1], 4
	v_mov_b64_e32 v[18:19], 0
	v_mov_b32_e32 v41, 0x7c
	v_cmp_gt_i32_e32 vcc_lo, 32, v5
	s_mov_b32 s19, 0
	s_mov_b32 s40, 0
	;; [unrolled: 1-line block ×4, first 2 shown]
	v_cndmask_b32_e32 v5, v4, v5, vcc_lo
	v_cmp_gt_i32_e32 vcc_lo, 32, v14
	s_wait_kmcnt 0x0
	s_add_nc_u64 s[20:21], s[24:25], s[20:21]
	s_add_nc_u64 s[0:1], s[26:27], s[0:1]
	v_lshl_add_u64 v[10:11], v[2:3], 3, s[20:21]
	v_lshl_add_u64 v[12:13], v[2:3], 4, s[0:1]
	v_dual_lshlrev_b32 v36, 2, v5 :: v_dual_bitop2_b32 v3, 1, v4 bitop3:0x14
	v_dual_cndmask_b32 v2, v4, v14, vcc_lo :: v_dual_bitop2_b32 v15, 4, v4 bitop3:0x14
	v_cmp_eq_u32_e64 s0, 31, v0
	s_lshl_b64 s[20:21], s[22:23], 3
	s_cmp_lg_u32 s18, 0
	v_cmp_gt_i32_e32 vcc_lo, 32, v15
	v_xor_b32_e32 v16, 2, v4
	s_add_nc_u64 s[20:21], s[28:29], s[20:21]
	s_cselect_b32 s38, -1, 0
	s_add_nc_u64 s[22:23], s[22:23], -1
	v_cndmask_b32_e32 v14, v4, v15, vcc_lo
	v_cmp_gt_i32_e32 vcc_lo, 32, v16
	v_lshlrev_b32_e32 v37, 2, v2
	s_lshl_b64 s[24:25], s[8:9], 4
	s_mov_b64 s[26:27], 0xffffffff
	s_lshl_b64 s[28:29], s[8:9], 9
	v_cndmask_b32_e32 v15, v4, v16, vcc_lo
	v_cmp_gt_i32_e32 vcc_lo, 32, v3
	v_lshlrev_b32_e32 v38, 2, v14
	v_mov_b64_e32 v[16:17], 0
	s_ashr_i32 s30, s9, 31
	v_dual_mov_b32 v2, 0 :: v_dual_cndmask_b32 v3, v4, v3
	v_dual_lshlrev_b32 v4, 4, v0 :: v_dual_lshlrev_b32 v39, 2, v15
	s_sub_co_i32 s39, 0, s8
	s_delay_alu instid0(VALU_DEP_2) | instskip(NEXT) | instid1(VALU_DEP_1)
	v_dual_mov_b32 v5, v2 :: v_dual_lshlrev_b32 v40, 2, v3
	v_add_nc_u64_e32 v[14:15], s[2:3], v[4:5]
	s_branch .LBB167_10
.LBB167_9:                              ;   in Loop: Header=BB167_10 Depth=1
	s_wait_dscnt 0x2
	v_add_nc_u64_e32 v[20:21], 1, v[4:5]
	s_delay_alu instid0(VALU_DEP_1) | instskip(SKIP_1) | instid1(SALU_CYCLE_1)
	v_cmp_le_i64_e32 vcc_lo, s[6:7], v[20:21]
	s_or_b32 s40, vcc_lo, s40
	s_and_not1_b32 exec_lo, exec_lo, s40
	s_cbranch_execz .LBB167_52
.LBB167_10:                             ; =>This Loop Header: Depth=1
                                        ;     Child Loop BB167_14 Depth 2
                                        ;       Child Loop BB167_17 Depth 3
                                        ;     Child Loop BB167_33 Depth 2
	v_mov_b64_e32 v[22:23], s[6:7]
	s_and_not1_b32 vcc_lo, exec_lo, s33
	s_cbranch_vccnz .LBB167_23
; %bb.11:                               ;   in Loop: Header=BB167_10 Depth=1
	v_mov_b64_e32 v[22:23], s[6:7]
	s_mov_b64 s[34:35], 0
	s_branch .LBB167_14
.LBB167_12:                             ;   in Loop: Header=BB167_14 Depth=2
	s_wait_xcnt 0x0
	s_or_b32 exec_lo, exec_lo, s18
.LBB167_13:                             ;   in Loop: Header=BB167_14 Depth=2
	s_delay_alu instid0(SALU_CYCLE_1) | instskip(SKIP_1) | instid1(SALU_CYCLE_1)
	s_or_b32 exec_lo, exec_lo, s1
	s_add_nc_u64 s[34:35], s[34:35], 1
	s_cmp_eq_u64 s[34:35], s[10:11]
	s_cbranch_scc1 .LBB167_23
.LBB167_14:                             ;   Parent Loop BB167_10 Depth=1
                                        ; =>  This Loop Header: Depth=2
                                        ;       Child Loop BB167_17 Depth 3
	s_lshl_b64 s[36:37], s[34:35], 2
	v_mov_b64_e32 v[32:33], s[6:7]
	v_add_nc_u64_e32 v[24:25], s[36:37], v[6:7]
	v_add_nc_u64_e32 v[4:5], s[36:37], v[8:9]
	v_lshl_add_u64 v[28:29], s[34:35], 4, v[12:13]
	v_mov_b32_e32 v3, v2
	v_lshl_add_u64 v[26:27], s[34:35], 3, v[10:11]
	s_mov_b32 s1, exec_lo
	s_clause 0x1
	global_load_b32 v30, v[24:25], off
	global_load_b32 v42, v[4:5], off
	s_wait_xcnt 0x0
	v_dual_mov_b32 v4, v2 :: v_dual_mov_b32 v5, v2
	global_store_b128 v[28:29], v[2:5], off
	global_store_b64 v[26:27], v[32:33], off
	s_wait_loadcnt 0x0
	s_wait_xcnt 0x0
	v_cmpx_lt_i32_e64 v30, v42
	s_cbranch_execz .LBB167_13
; %bb.15:                               ;   in Loop: Header=BB167_14 Depth=2
	v_ashrrev_i32_e32 v31, 31, v30
	s_mov_b32 s18, 0
                                        ; implicit-def: $sgpr31
                                        ; implicit-def: $sgpr37
                                        ; implicit-def: $sgpr36
	s_delay_alu instid0(VALU_DEP_1)
	v_lshl_add_u64 v[32:33], v[30:31], 4, s[16:17]
	v_lshl_add_u64 v[34:35], v[30:31], 3, s[4:5]
	s_branch .LBB167_17
.LBB167_16:                             ;   in Loop: Header=BB167_17 Depth=3
	s_or_b32 exec_lo, exec_lo, s41
	s_delay_alu instid0(SALU_CYCLE_1) | instskip(NEXT) | instid1(SALU_CYCLE_1)
	s_and_b32 s41, exec_lo, s37
	s_or_b32 s18, s41, s18
	s_and_not1_b32 s31, s31, exec_lo
	s_and_b32 s41, s36, exec_lo
	s_delay_alu instid0(SALU_CYCLE_1)
	s_or_b32 s31, s31, s41
	s_and_not1_b32 exec_lo, exec_lo, s18
	s_cbranch_execz .LBB167_19
.LBB167_17:                             ;   Parent Loop BB167_10 Depth=1
                                        ;     Parent Loop BB167_14 Depth=2
                                        ; =>    This Inner Loop Header: Depth=3
	global_load_b128 v[44:47], v[32:33], off
	v_mov_b32_e32 v3, v30
	s_or_b32 s36, s36, exec_lo
	s_or_b32 s37, s37, exec_lo
	s_mov_b32 s41, exec_lo
                                        ; implicit-def: $vgpr30
	s_wait_loadcnt 0x0
	global_store_b128 v[28:29], v[44:47], off
	global_load_b64 v[4:5], v[34:35], off
	s_wait_loadcnt 0x0
	v_sub_nc_u64_e64 v[4:5], v[4:5], s[14:15]
	s_wait_xcnt 0x0
	s_delay_alu instid0(VALU_DEP_1)
	v_cmpx_lt_i64_e64 v[4:5], v[20:21]
	s_cbranch_execz .LBB167_16
; %bb.18:                               ;   in Loop: Header=BB167_17 Depth=3
	v_add_nc_u32_e32 v30, 1, v3
	v_add_nc_u64_e32 v[32:33], 16, v[32:33]
	v_add_nc_u64_e32 v[34:35], 8, v[34:35]
	s_and_not1_b32 s37, s37, exec_lo
	s_and_not1_b32 s36, s36, exec_lo
	v_cmp_ge_i32_e32 vcc_lo, v30, v42
	s_and_b32 s42, vcc_lo, exec_lo
	s_delay_alu instid0(SALU_CYCLE_1)
	s_or_b32 s37, s37, s42
	s_branch .LBB167_16
.LBB167_19:                             ;   in Loop: Header=BB167_14 Depth=2
	s_or_b32 exec_lo, exec_lo, s18
	s_xor_b32 s18, s31, -1
	s_delay_alu instid0(SALU_CYCLE_1) | instskip(NEXT) | instid1(SALU_CYCLE_1)
	s_and_saveexec_b32 s31, s18
	s_xor_b32 s18, exec_lo, s31
	s_cbranch_execz .LBB167_21
; %bb.20:                               ;   in Loop: Header=BB167_14 Depth=2
	global_store_b64 v[26:27], v[4:5], off
                                        ; implicit-def: $vgpr26_vgpr27
                                        ; implicit-def: $vgpr24_vgpr25
.LBB167_21:                             ;   in Loop: Header=BB167_14 Depth=2
	s_wait_xcnt 0x0
	s_and_not1_saveexec_b32 s18, s18
	s_cbranch_execz .LBB167_12
; %bb.22:                               ;   in Loop: Header=BB167_14 Depth=2
	v_min_i64 v[22:23], v[4:5], v[22:23]
	global_store_b64 v[26:27], v[4:5], off
	global_store_b32 v[24:25], v3, off
	s_branch .LBB167_12
.LBB167_23:                             ;   in Loop: Header=BB167_10 Depth=1
	ds_bpermute_b32 v4, v36, v22
	ds_bpermute_b32 v5, v36, v23
	s_wait_dscnt 0x0
	v_min_i64 v[4:5], v[4:5], v[22:23]
	ds_bpermute_b32 v20, v37, v4
	ds_bpermute_b32 v21, v37, v5
	s_wait_dscnt 0x0
	v_min_i64 v[4:5], v[20:21], v[4:5]
	;; [unrolled: 4-line block ×5, first 2 shown]
	s_delay_alu instid0(VALU_DEP_1) | instskip(SKIP_1) | instid1(SALU_CYCLE_1)
	v_cmp_gt_i64_e32 vcc_lo, s[6:7], v[4:5]
	s_and_b32 s1, s0, vcc_lo
	s_and_saveexec_b32 s36, s1
	s_cbranch_execz .LBB167_29
; %bb.24:                               ;   in Loop: Header=BB167_10 Depth=1
	v_or_b32_e32 v3, s9, v5
                                        ; implicit-def: $vgpr20_vgpr21
	s_mov_b32 s1, exec_lo
	s_delay_alu instid0(VALU_DEP_1)
	v_cmpx_ne_u64_e32 0, v[2:3]
	s_xor_b32 s37, exec_lo, s1
	s_cbranch_execnz .LBB167_50
; %bb.25:                               ;   in Loop: Header=BB167_10 Depth=1
	s_and_not1_saveexec_b32 s1, s37
	s_cbranch_execnz .LBB167_51
.LBB167_26:                             ;   in Loop: Header=BB167_10 Depth=1
	s_or_b32 exec_lo, exec_lo, s1
	s_delay_alu instid0(SALU_CYCLE_1) | instskip(NEXT) | instid1(VALU_DEP_1)
	s_mov_b32 s1, exec_lo
	v_cmpx_ge_i64_e64 v[20:21], v[18:19]
	s_cbranch_execz .LBB167_28
.LBB167_27:                             ;   in Loop: Header=BB167_10 Depth=1
	v_add_nc_u64_e32 v[22:23], s[12:13], v[20:21]
	v_lshl_add_u64 v[24:25], v[16:17], 3, s[20:21]
	v_add_nc_u64_e32 v[16:17], 1, v[16:17]
	v_add_nc_u64_e32 v[18:19], 1, v[20:21]
	global_store_b64 v[24:25], v[22:23], off
.LBB167_28:                             ;   in Loop: Header=BB167_10 Depth=1
	s_wait_xcnt 0x0
	s_or_b32 exec_lo, exec_lo, s1
.LBB167_29:                             ;   in Loop: Header=BB167_10 Depth=1
	s_delay_alu instid0(SALU_CYCLE_1)
	s_or_b32 exec_lo, exec_lo, s36
	ds_bpermute_b32 v4, v41, v4
	ds_bpermute_b32 v5, v41, v5
	;; [unrolled: 1-line block ×4, first 2 shown]
	s_and_not1_b32 vcc_lo, exec_lo, s33
	s_cbranch_vccnz .LBB167_9
; %bb.30:                               ;   in Loop: Header=BB167_10 Depth=1
	s_wait_dscnt 0x0
	v_dual_mov_b32 v3, v17 :: v_dual_mov_b32 v22, v16
	v_mov_b32_e32 v23, v2
	v_mov_b64_e32 v[28:29], v[14:15]
	s_mov_b64 s[34:35], s[10:11]
	s_delay_alu instid0(VALU_DEP_3) | instskip(NEXT) | instid1(VALU_DEP_1)
	v_add_nc_u64_e32 v[20:21], s[22:23], v[2:3]
	v_add_nc_u64_e32 v[24:25], v[20:21], v[22:23]
	;; [unrolled: 1-line block ×3, first 2 shown]
	s_delay_alu instid0(VALU_DEP_2) | instskip(NEXT) | instid1(VALU_DEP_2)
	v_mad_nc_u64_u32 v[26:27], s8, v24, v[0:1]
	v_mul_u64_e32 v[22:23], s[8:9], v[22:23]
	s_delay_alu instid0(VALU_DEP_2) | instskip(NEXT) | instid1(VALU_DEP_3)
	v_mad_u32 v3, s9, v24, v27
	v_mad_nc_u64_u32 v[20:21], s24, v26, s[2:3]
	s_delay_alu instid0(VALU_DEP_2) | instskip(NEXT) | instid1(VALU_DEP_2)
	v_mad_u32 v3, s8, v25, v3
	v_mad_u32 v21, s25, v26, v21
	v_mov_b64_e32 v[24:25], v[10:11]
	v_mov_b64_e32 v[26:27], v[12:13]
	s_delay_alu instid0(VALU_DEP_3)
	v_mad_u32 v21, s24, v3, v21
	s_branch .LBB167_33
.LBB167_31:                             ;   in Loop: Header=BB167_33 Depth=2
	s_or_b32 exec_lo, exec_lo, s1
	global_load_b128 v[42:45], v[26:27], off
	v_lshl_add_u64 v[30:31], v[32:33], 4, v[20:21]
	s_wait_loadcnt 0x0
	global_store_b128 v[30:31], v[42:45], off
.LBB167_32:                             ;   in Loop: Header=BB167_33 Depth=2
	s_wait_xcnt 0x0
	s_or_b32 exec_lo, exec_lo, s41
	v_add_nc_u64_e32 v[20:21], s[28:29], v[20:21]
	v_add_nc_u64_e32 v[28:29], 0x200, v[28:29]
	;; [unrolled: 1-line block ×4, first 2 shown]
	s_add_nc_u64 s[34:35], s[34:35], -1
	s_delay_alu instid0(SALU_CYCLE_1)
	s_cmp_eq_u64 s[34:35], 0
	s_cbranch_scc1 .LBB167_9
.LBB167_33:                             ;   Parent Loop BB167_10 Depth=1
                                        ; =>  This Inner Loop Header: Depth=2
	global_load_b64 v[30:31], v[24:25], off
	s_mov_b32 s41, exec_lo
	s_wait_loadcnt 0x0
	v_cmpx_gt_i64_e64 s[6:7], v[30:31]
	s_cbranch_execz .LBB167_32
; %bb.34:                               ;   in Loop: Header=BB167_33 Depth=2
	v_or_b32_e32 v42, s9, v31
                                        ; implicit-def: $vgpr32_vgpr33
	s_mov_b32 s1, exec_lo
	s_delay_alu instid0(VALU_DEP_1) | instskip(NEXT) | instid1(VALU_DEP_1)
	v_mov_b32_e32 v3, v42
	v_cmpx_ne_u64_e32 0, v[2:3]
	s_xor_b32 s42, exec_lo, s1
	s_cbranch_execz .LBB167_36
; %bb.35:                               ;   in Loop: Header=BB167_33 Depth=2
	s_mov_b32 s31, s30
	v_dual_mov_b32 v45, v2 :: v_dual_ashrrev_i32 v32, 31, v31
	s_add_nc_u64 s[36:37], s[8:9], s[30:31]
	s_delay_alu instid0(SALU_CYCLE_1) | instskip(NEXT) | instid1(VALU_DEP_1)
	s_xor_b64 s[36:37], s[36:37], s[30:31]
	v_mov_b32_e32 v33, v32
	s_cvt_f32_u32 s1, s36
	s_cvt_f32_u32 s18, s37
	s_sub_nc_u64 s[46:47], 0, s[36:37]
	s_delay_alu instid0(VALU_DEP_1) | instskip(NEXT) | instid1(SALU_CYCLE_1)
	v_add_nc_u64_e32 v[34:35], v[30:31], v[32:33]
	s_fmamk_f32 s1, s18, 0x4f800000, s1
	v_mov_b32_e32 v49, v2
	s_delay_alu instid0(SALU_CYCLE_2) | instskip(NEXT) | instid1(VALU_DEP_2)
	v_s_rcp_f32 s1, s1
	v_xor_b32_e32 v44, v34, v32
	s_delay_alu instid0(VALU_DEP_3) | instskip(NEXT) | instid1(TRANS32_DEP_1)
	v_dual_mov_b32 v53, v2 :: v_dual_bitop2_b32 v48, v35, v32 bitop3:0x14
	s_mul_f32 s1, s1, 0x5f7ffffc
	s_delay_alu instid0(SALU_CYCLE_3) | instskip(NEXT) | instid1(SALU_CYCLE_3)
	s_mul_f32 s18, s1, 0x2f800000
	s_trunc_f32 s18, s18
	s_delay_alu instid0(SALU_CYCLE_3) | instskip(SKIP_1) | instid1(SALU_CYCLE_2)
	s_fmamk_f32 s1, s18, 0xcf800000, s1
	s_cvt_u32_f32 s45, s18
	s_cvt_u32_f32 s44, s1
	s_delay_alu instid0(SALU_CYCLE_3) | instskip(NEXT) | instid1(SALU_CYCLE_1)
	s_mul_u64 s[48:49], s[46:47], s[44:45]
	s_mul_hi_u32 s51, s44, s49
	s_mul_i32 s50, s44, s49
	s_mul_hi_u32 s18, s44, s48
	s_mul_i32 s31, s45, s48
	s_add_nc_u64 s[50:51], s[18:19], s[50:51]
	s_mul_hi_u32 s1, s45, s48
	s_mul_hi_u32 s43, s45, s49
	s_add_co_u32 s18, s50, s31
	s_add_co_ci_u32 s18, s51, s1
	s_mul_i32 s48, s45, s49
	s_add_co_ci_u32 s49, s43, 0
	s_delay_alu instid0(SALU_CYCLE_1) | instskip(NEXT) | instid1(SALU_CYCLE_1)
	s_add_nc_u64 s[48:49], s[18:19], s[48:49]
	s_add_co_u32 s44, s44, s48
	s_cselect_b32 s1, -1, 0
	s_delay_alu instid0(SALU_CYCLE_1) | instskip(SKIP_1) | instid1(SALU_CYCLE_1)
	s_cmp_lg_u32 s1, 0
	s_add_co_ci_u32 s45, s45, s49
	s_mul_u64 s[46:47], s[46:47], s[44:45]
	s_delay_alu instid0(SALU_CYCLE_1)
	s_mul_hi_u32 s49, s44, s47
	s_mul_i32 s48, s44, s47
	s_mul_hi_u32 s18, s44, s46
	s_mul_i32 s31, s45, s46
	s_add_nc_u64 s[48:49], s[18:19], s[48:49]
	s_mul_hi_u32 s1, s45, s46
	s_mul_hi_u32 s43, s45, s47
	s_add_co_u32 s18, s48, s31
	s_add_co_ci_u32 s18, s49, s1
	s_mul_i32 s46, s45, s47
	s_add_co_ci_u32 s47, s43, 0
	s_delay_alu instid0(SALU_CYCLE_1) | instskip(NEXT) | instid1(SALU_CYCLE_1)
	s_add_nc_u64 s[46:47], s[18:19], s[46:47]
	s_add_co_u32 s44, s44, s46
	s_cselect_b32 s1, -1, 0
	v_mul_hi_u32 v52, v44, s44
	s_cmp_lg_u32 s1, 0
	s_add_co_ci_u32 s18, s45, s47
	s_and_b64 s[46:47], s[44:45], s[26:27]
	v_mul_u64_e32 v[46:47], s[18:19], v[44:45]
	v_mul_u64_e32 v[34:35], s[46:47], v[48:49]
	;; [unrolled: 1-line block ×3, first 2 shown]
	s_delay_alu instid0(VALU_DEP_3) | instskip(NEXT) | instid1(VALU_DEP_1)
	v_add_nc_u64_e32 v[46:47], v[52:53], v[46:47]
	v_add_co_u32 v3, vcc_lo, v46, v34
	s_delay_alu instid0(VALU_DEP_2) | instskip(NEXT) | instid1(VALU_DEP_4)
	v_add_co_ci_u32_e32 v52, vcc_lo, v47, v35, vcc_lo
	v_add_co_ci_u32_e32 v51, vcc_lo, 0, v51, vcc_lo
	s_delay_alu instid0(VALU_DEP_1) | instskip(NEXT) | instid1(VALU_DEP_1)
	v_add_nc_u64_e32 v[34:35], v[52:53], v[50:51]
	v_mul_u64_e32 v[46:47], s[36:37], v[34:35]
	s_delay_alu instid0(VALU_DEP_1) | instskip(NEXT) | instid1(VALU_DEP_2)
	v_sub_nc_u32_e32 v3, v48, v47
	v_sub_co_u32 v33, vcc_lo, v44, v46
	s_delay_alu instid0(VALU_DEP_1) | instskip(NEXT) | instid1(VALU_DEP_3)
	v_sub_co_ci_u32_e64 v48, null, v48, v47, vcc_lo
	v_subrev_co_ci_u32_e64 v3, null, s37, v3, vcc_lo
	s_delay_alu instid0(VALU_DEP_3) | instskip(SKIP_1) | instid1(VALU_DEP_3)
	v_sub_co_u32 v43, s1, v33, s36
	v_add_nc_u64_e32 v[46:47], 1, v[34:35]
	v_subrev_co_ci_u32_e64 v3, null, 0, v3, s1
	s_delay_alu instid0(VALU_DEP_3) | instskip(SKIP_1) | instid1(VALU_DEP_3)
	v_cmp_le_u32_e32 vcc_lo, s36, v43
	v_cndmask_b32_e64 v43, 0, -1, vcc_lo
	v_cmp_le_u32_e32 vcc_lo, s37, v3
	v_cndmask_b32_e64 v44, 0, -1, vcc_lo
	;; [unrolled: 2-line block ×4, first 2 shown]
	v_cmp_eq_u32_e32 vcc_lo, s37, v3
	v_cndmask_b32_e32 v3, v44, v43, vcc_lo
	v_cmp_eq_u32_e32 vcc_lo, s37, v48
	v_add_nc_u64_e32 v[44:45], 2, v[34:35]
	v_cndmask_b32_e32 v33, v49, v33, vcc_lo
	s_delay_alu instid0(VALU_DEP_4) | instskip(NEXT) | instid1(VALU_DEP_2)
	v_cmp_ne_u32_e32 vcc_lo, 0, v3
	v_cmp_ne_u32_e64 s1, 0, v33
	s_delay_alu instid0(VALU_DEP_4) | instskip(NEXT) | instid1(VALU_DEP_1)
	v_dual_cndmask_b32 v3, v47, v45, vcc_lo :: v_dual_cndmask_b32 v33, v46, v44, vcc_lo
	v_dual_cndmask_b32 v3, v35, v3, s1 :: v_dual_bitop2_b32 v32, s30, v32 bitop3:0x14
	s_delay_alu instid0(VALU_DEP_1) | instskip(NEXT) | instid1(VALU_DEP_2)
	v_dual_cndmask_b32 v34, v34, v33, s1 :: v_dual_mov_b32 v33, v32
	v_xor_b32_e32 v35, v3, v32
	s_delay_alu instid0(VALU_DEP_2) | instskip(NEXT) | instid1(VALU_DEP_1)
	v_xor_b32_e32 v34, v34, v32
	v_sub_nc_u64_e32 v[32:33], v[34:35], v[32:33]
.LBB167_36:                             ;   in Loop: Header=BB167_33 Depth=2
	s_and_not1_saveexec_b32 s1, s42
	s_cbranch_execz .LBB167_38
; %bb.37:                               ;   in Loop: Header=BB167_33 Depth=2
	v_cvt_f32_u32_e32 v3, s8
	s_delay_alu instid0(VALU_DEP_1) | instskip(SKIP_1) | instid1(TRANS32_DEP_1)
	v_rcp_iflag_f32_e32 v3, v3
	v_nop
	v_mul_f32_e32 v3, 0x4f7ffffe, v3
	s_delay_alu instid0(VALU_DEP_1) | instskip(NEXT) | instid1(VALU_DEP_1)
	v_cvt_u32_f32_e32 v3, v3
	v_mul_lo_u32 v32, s39, v3
	s_delay_alu instid0(VALU_DEP_1) | instskip(NEXT) | instid1(VALU_DEP_1)
	v_mul_hi_u32 v32, v3, v32
	v_add_nc_u32_e32 v3, v3, v32
	s_delay_alu instid0(VALU_DEP_1) | instskip(NEXT) | instid1(VALU_DEP_1)
	v_mul_hi_u32 v3, v30, v3
	v_mul_lo_u32 v32, v3, s8
	s_delay_alu instid0(VALU_DEP_1) | instskip(NEXT) | instid1(VALU_DEP_1)
	v_dual_add_nc_u32 v33, 1, v3 :: v_dual_sub_nc_u32 v32, v30, v32
	v_subrev_nc_u32_e32 v34, s8, v32
	v_cmp_le_u32_e32 vcc_lo, s8, v32
	s_delay_alu instid0(VALU_DEP_2) | instskip(NEXT) | instid1(VALU_DEP_1)
	v_dual_cndmask_b32 v32, v32, v34 :: v_dual_cndmask_b32 v3, v3, v33
	v_cmp_le_u32_e32 vcc_lo, s8, v32
	s_delay_alu instid0(VALU_DEP_2) | instskip(NEXT) | instid1(VALU_DEP_1)
	v_add_nc_u32_e32 v33, 1, v3
	v_dual_cndmask_b32 v32, v3, v33 :: v_dual_mov_b32 v33, v2
.LBB167_38:                             ;   in Loop: Header=BB167_33 Depth=2
	s_or_b32 exec_lo, exec_lo, s1
	v_or_b32_e32 v3, s9, v5
                                        ; implicit-def: $vgpr34_vgpr35
	s_mov_b32 s1, exec_lo
	s_delay_alu instid0(VALU_DEP_1)
	v_cmpx_ne_u64_e32 0, v[2:3]
	s_xor_b32 s42, exec_lo, s1
	s_cbranch_execnz .LBB167_41
; %bb.39:                               ;   in Loop: Header=BB167_33 Depth=2
	s_and_not1_saveexec_b32 s1, s42
	s_cbranch_execnz .LBB167_42
.LBB167_40:                             ;   in Loop: Header=BB167_33 Depth=2
	s_or_b32 exec_lo, exec_lo, s1
	s_delay_alu instid0(VALU_DEP_1)
	v_cmp_eq_u64_e32 vcc_lo, v[32:33], v[34:35]
	s_and_b32 exec_lo, exec_lo, vcc_lo
	s_cbranch_execz .LBB167_32
	s_branch .LBB167_43
.LBB167_41:                             ;   in Loop: Header=BB167_33 Depth=2
	s_mov_b32 s31, s30
	v_dual_mov_b32 v47, v2 :: v_dual_ashrrev_i32 v34, 31, v5
	s_add_nc_u64 s[36:37], s[8:9], s[30:31]
	v_mov_b32_e32 v55, v2
	s_xor_b64 s[36:37], s[36:37], s[30:31]
	s_delay_alu instid0(VALU_DEP_2) | instskip(SKIP_3) | instid1(VALU_DEP_1)
	v_mov_b32_e32 v35, v34
	s_cvt_f32_u32 s1, s36
	s_cvt_f32_u32 s18, s37
	s_sub_nc_u64 s[46:47], 0, s[36:37]
	v_add_nc_u64_e32 v[44:45], v[4:5], v[34:35]
	s_delay_alu instid0(SALU_CYCLE_1) | instskip(SKIP_1) | instid1(SALU_CYCLE_2)
	s_fmamk_f32 s1, s18, 0x4f800000, s1
	v_mov_b32_e32 v51, v2
	v_s_rcp_f32 s1, s1
	s_delay_alu instid0(VALU_DEP_2) | instskip(NEXT) | instid1(VALU_DEP_3)
	v_xor_b32_e32 v46, v44, v34
	v_xor_b32_e32 v50, v45, v34
	;; [unrolled: 1-line block ×3, first 2 shown]
	s_delay_alu instid0(TRANS32_DEP_1) | instskip(NEXT) | instid1(SALU_CYCLE_3)
	s_mul_f32 s1, s1, 0x5f7ffffc
	s_mul_f32 s18, s1, 0x2f800000
	s_delay_alu instid0(SALU_CYCLE_3) | instskip(NEXT) | instid1(SALU_CYCLE_3)
	s_trunc_f32 s18, s18
	s_fmamk_f32 s1, s18, 0xcf800000, s1
	s_cvt_u32_f32 s45, s18
	s_delay_alu instid0(SALU_CYCLE_2) | instskip(NEXT) | instid1(SALU_CYCLE_3)
	s_cvt_u32_f32 s44, s1
	s_mul_u64 s[48:49], s[46:47], s[44:45]
	s_delay_alu instid0(SALU_CYCLE_1)
	s_mul_hi_u32 s51, s44, s49
	s_mul_i32 s50, s44, s49
	s_mul_hi_u32 s18, s44, s48
	s_mul_i32 s31, s45, s48
	s_add_nc_u64 s[50:51], s[18:19], s[50:51]
	s_mul_hi_u32 s1, s45, s48
	s_mul_hi_u32 s43, s45, s49
	s_add_co_u32 s18, s50, s31
	s_add_co_ci_u32 s18, s51, s1
	s_mul_i32 s48, s45, s49
	s_add_co_ci_u32 s49, s43, 0
	s_delay_alu instid0(SALU_CYCLE_1) | instskip(NEXT) | instid1(SALU_CYCLE_1)
	s_add_nc_u64 s[48:49], s[18:19], s[48:49]
	s_add_co_u32 s44, s44, s48
	s_cselect_b32 s1, -1, 0
	s_delay_alu instid0(SALU_CYCLE_1) | instskip(SKIP_1) | instid1(SALU_CYCLE_1)
	s_cmp_lg_u32 s1, 0
	s_add_co_ci_u32 s45, s45, s49
	s_mul_u64 s[46:47], s[46:47], s[44:45]
	s_delay_alu instid0(SALU_CYCLE_1)
	s_mul_hi_u32 s49, s44, s47
	s_mul_i32 s48, s44, s47
	s_mul_hi_u32 s18, s44, s46
	s_mul_i32 s31, s45, s46
	s_add_nc_u64 s[48:49], s[18:19], s[48:49]
	s_mul_hi_u32 s1, s45, s46
	s_mul_hi_u32 s43, s45, s47
	s_add_co_u32 s18, s48, s31
	s_add_co_ci_u32 s18, s49, s1
	s_mul_i32 s46, s45, s47
	s_add_co_ci_u32 s47, s43, 0
	s_delay_alu instid0(SALU_CYCLE_1) | instskip(NEXT) | instid1(SALU_CYCLE_1)
	s_add_nc_u64 s[46:47], s[18:19], s[46:47]
	s_add_co_u32 s44, s44, s46
	s_cselect_b32 s1, -1, 0
	v_mul_hi_u32 v54, v46, s44
	s_cmp_lg_u32 s1, 0
	s_add_co_ci_u32 s18, s45, s47
	s_and_b64 s[46:47], s[44:45], s[26:27]
	v_mul_u64_e32 v[48:49], s[18:19], v[46:47]
	v_mul_u64_e32 v[44:45], s[46:47], v[50:51]
	;; [unrolled: 1-line block ×3, first 2 shown]
	s_delay_alu instid0(VALU_DEP_3) | instskip(NEXT) | instid1(VALU_DEP_1)
	v_add_nc_u64_e32 v[48:49], v[54:55], v[48:49]
	v_add_co_u32 v3, vcc_lo, v48, v44
	s_delay_alu instid0(VALU_DEP_2) | instskip(NEXT) | instid1(VALU_DEP_4)
	v_add_co_ci_u32_e32 v54, vcc_lo, v49, v45, vcc_lo
	v_add_co_ci_u32_e32 v53, vcc_lo, 0, v53, vcc_lo
	s_delay_alu instid0(VALU_DEP_1) | instskip(NEXT) | instid1(VALU_DEP_1)
	v_add_nc_u64_e32 v[44:45], v[54:55], v[52:53]
	v_mul_u64_e32 v[48:49], s[36:37], v[44:45]
	s_delay_alu instid0(VALU_DEP_1) | instskip(NEXT) | instid1(VALU_DEP_2)
	v_sub_nc_u32_e32 v3, v50, v49
	v_sub_co_u32 v35, vcc_lo, v46, v48
	s_delay_alu instid0(VALU_DEP_1) | instskip(NEXT) | instid1(VALU_DEP_3)
	v_sub_co_ci_u32_e64 v50, null, v50, v49, vcc_lo
	v_subrev_co_ci_u32_e64 v3, null, s37, v3, vcc_lo
	s_delay_alu instid0(VALU_DEP_3) | instskip(SKIP_1) | instid1(VALU_DEP_3)
	v_sub_co_u32 v43, s1, v35, s36
	v_add_nc_u64_e32 v[48:49], 1, v[44:45]
	v_subrev_co_ci_u32_e64 v3, null, 0, v3, s1
	s_delay_alu instid0(VALU_DEP_3) | instskip(SKIP_1) | instid1(VALU_DEP_3)
	v_cmp_le_u32_e32 vcc_lo, s36, v43
	v_cndmask_b32_e64 v43, 0, -1, vcc_lo
	v_cmp_le_u32_e32 vcc_lo, s37, v3
	v_cndmask_b32_e64 v46, 0, -1, vcc_lo
	;; [unrolled: 2-line block ×4, first 2 shown]
	v_cmp_eq_u32_e32 vcc_lo, s37, v3
	v_cndmask_b32_e32 v3, v46, v43, vcc_lo
	v_cmp_eq_u32_e32 vcc_lo, s37, v50
	v_add_nc_u64_e32 v[46:47], 2, v[44:45]
	v_cndmask_b32_e32 v35, v51, v35, vcc_lo
	s_delay_alu instid0(VALU_DEP_4) | instskip(NEXT) | instid1(VALU_DEP_2)
	v_cmp_ne_u32_e32 vcc_lo, 0, v3
	v_cmp_ne_u32_e64 s1, 0, v35
	s_delay_alu instid0(VALU_DEP_4) | instskip(NEXT) | instid1(VALU_DEP_1)
	v_dual_cndmask_b32 v3, v49, v47, vcc_lo :: v_dual_cndmask_b32 v35, v48, v46, vcc_lo
	v_dual_cndmask_b32 v43, v44, v35, s1 :: v_dual_mov_b32 v35, v34
	s_delay_alu instid0(VALU_DEP_1) | instskip(NEXT) | instid1(VALU_DEP_1)
	v_dual_cndmask_b32 v3, v45, v3, s1 :: v_dual_bitop2_b32 v44, v43, v34 bitop3:0x14
	v_xor_b32_e32 v45, v3, v34
	s_delay_alu instid0(VALU_DEP_1)
	v_sub_nc_u64_e32 v[34:35], v[44:45], v[34:35]
	s_and_not1_saveexec_b32 s1, s42
	s_cbranch_execz .LBB167_40
.LBB167_42:                             ;   in Loop: Header=BB167_33 Depth=2
	v_cvt_f32_u32_e32 v3, s8
	s_delay_alu instid0(VALU_DEP_1) | instskip(SKIP_1) | instid1(TRANS32_DEP_1)
	v_rcp_iflag_f32_e32 v3, v3
	v_nop
	v_mul_f32_e32 v3, 0x4f7ffffe, v3
	s_delay_alu instid0(VALU_DEP_1) | instskip(NEXT) | instid1(VALU_DEP_1)
	v_cvt_u32_f32_e32 v3, v3
	v_mul_lo_u32 v34, s39, v3
	s_delay_alu instid0(VALU_DEP_1) | instskip(NEXT) | instid1(VALU_DEP_1)
	v_mul_hi_u32 v34, v3, v34
	v_add_nc_u32_e32 v3, v3, v34
	s_delay_alu instid0(VALU_DEP_1) | instskip(NEXT) | instid1(VALU_DEP_1)
	v_mul_hi_u32 v3, v4, v3
	v_mul_lo_u32 v34, v3, s8
	s_delay_alu instid0(VALU_DEP_1) | instskip(NEXT) | instid1(VALU_DEP_1)
	v_dual_add_nc_u32 v35, 1, v3 :: v_dual_sub_nc_u32 v34, v4, v34
	v_subrev_nc_u32_e32 v43, s8, v34
	v_cmp_le_u32_e32 vcc_lo, s8, v34
	s_delay_alu instid0(VALU_DEP_2) | instskip(NEXT) | instid1(VALU_DEP_4)
	v_cndmask_b32_e32 v34, v34, v43, vcc_lo
	v_cndmask_b32_e32 v3, v3, v35, vcc_lo
	s_delay_alu instid0(VALU_DEP_2) | instskip(NEXT) | instid1(VALU_DEP_2)
	v_cmp_le_u32_e32 vcc_lo, s8, v34
	v_add_nc_u32_e32 v35, 1, v3
	s_delay_alu instid0(VALU_DEP_1) | instskip(SKIP_1) | instid1(VALU_DEP_1)
	v_dual_cndmask_b32 v34, v3, v35 :: v_dual_mov_b32 v35, v2
	s_or_b32 exec_lo, exec_lo, s1
	v_cmp_eq_u64_e32 vcc_lo, v[32:33], v[34:35]
	s_and_b32 exec_lo, exec_lo, vcc_lo
	s_cbranch_execz .LBB167_32
.LBB167_43:                             ;   in Loop: Header=BB167_33 Depth=2
	s_and_b32 vcc_lo, exec_lo, s38
	s_cbranch_vccz .LBB167_45
; %bb.44:                               ;   in Loop: Header=BB167_33 Depth=2
	global_load_b128 v[44:47], v[26:27], off
	v_mul_u64_e32 v[32:33], s[8:9], v[32:33]
	s_delay_alu instid0(VALU_DEP_1) | instskip(NEXT) | instid1(VALU_DEP_1)
	v_sub_nc_u64_e32 v[32:33], v[30:31], v[32:33]
	v_add_nc_u64_e32 v[32:33], v[32:33], v[22:23]
	s_delay_alu instid0(VALU_DEP_1) | instskip(NEXT) | instid1(VALU_DEP_1)
	v_mad_nc_u64_u32 v[34:35], s24, v32, v[28:29]
	v_mad_u32 v3, s25, v32, v35
	s_delay_alu instid0(VALU_DEP_1)
	v_mad_u32 v35, s24, v33, v3
	s_wait_loadcnt 0x0
	global_store_b128 v[34:35], v[44:47], off
	s_cbranch_execnz .LBB167_32
	s_branch .LBB167_46
.LBB167_45:                             ;   in Loop: Header=BB167_33 Depth=2
.LBB167_46:                             ;   in Loop: Header=BB167_33 Depth=2
	v_mov_b32_e32 v3, v42
                                        ; implicit-def: $vgpr32_vgpr33
	s_mov_b32 s1, exec_lo
	s_wait_xcnt 0x0
	s_delay_alu instid0(VALU_DEP_1)
	v_cmpx_ne_u64_e32 0, v[2:3]
	s_xor_b32 s42, exec_lo, s1
	s_cbranch_execz .LBB167_48
; %bb.47:                               ;   in Loop: Header=BB167_33 Depth=2
	s_mov_b32 s31, s30
	v_dual_mov_b32 v35, v2 :: v_dual_ashrrev_i32 v32, 31, v31
	s_add_nc_u64 s[36:37], s[8:9], s[30:31]
	s_delay_alu instid0(SALU_CYCLE_1) | instskip(NEXT) | instid1(VALU_DEP_1)
	s_xor_b64 s[36:37], s[36:37], s[30:31]
	v_mov_b32_e32 v33, v32
	s_cvt_f32_u32 s1, s36
	s_cvt_f32_u32 s18, s37
	s_sub_nc_u64 s[46:47], 0, s[36:37]
	s_delay_alu instid0(VALU_DEP_1) | instskip(NEXT) | instid1(SALU_CYCLE_1)
	v_add_nc_u64_e32 v[30:31], v[30:31], v[32:33]
	s_fmamk_f32 s1, s18, 0x4f800000, s1
	v_mov_b32_e32 v45, v2
	s_delay_alu instid0(SALU_CYCLE_2) | instskip(NEXT) | instid1(VALU_DEP_2)
	v_s_rcp_f32 s1, s1
	v_xor_b32_e32 v34, v30, v32
	s_delay_alu instid0(VALU_DEP_3) | instskip(NEXT) | instid1(TRANS32_DEP_1)
	v_dual_mov_b32 v49, v2 :: v_dual_bitop2_b32 v44, v31, v32 bitop3:0x14
	s_mul_f32 s1, s1, 0x5f7ffffc
	s_delay_alu instid0(SALU_CYCLE_3) | instskip(NEXT) | instid1(SALU_CYCLE_3)
	s_mul_f32 s18, s1, 0x2f800000
	s_trunc_f32 s18, s18
	s_delay_alu instid0(SALU_CYCLE_3) | instskip(SKIP_1) | instid1(SALU_CYCLE_2)
	s_fmamk_f32 s1, s18, 0xcf800000, s1
	s_cvt_u32_f32 s45, s18
	s_cvt_u32_f32 s44, s1
	s_delay_alu instid0(SALU_CYCLE_3) | instskip(NEXT) | instid1(SALU_CYCLE_1)
	s_mul_u64 s[48:49], s[46:47], s[44:45]
	s_mul_hi_u32 s51, s44, s49
	s_mul_i32 s50, s44, s49
	s_mul_hi_u32 s18, s44, s48
	s_mul_i32 s31, s45, s48
	s_add_nc_u64 s[50:51], s[18:19], s[50:51]
	s_mul_hi_u32 s1, s45, s48
	s_mul_hi_u32 s43, s45, s49
	s_add_co_u32 s18, s50, s31
	s_add_co_ci_u32 s18, s51, s1
	s_mul_i32 s48, s45, s49
	s_add_co_ci_u32 s49, s43, 0
	s_delay_alu instid0(SALU_CYCLE_1) | instskip(NEXT) | instid1(SALU_CYCLE_1)
	s_add_nc_u64 s[48:49], s[18:19], s[48:49]
	s_add_co_u32 s44, s44, s48
	s_cselect_b32 s1, -1, 0
	s_delay_alu instid0(SALU_CYCLE_1) | instskip(SKIP_1) | instid1(SALU_CYCLE_1)
	s_cmp_lg_u32 s1, 0
	s_add_co_ci_u32 s45, s45, s49
	s_mul_u64 s[46:47], s[46:47], s[44:45]
	s_delay_alu instid0(SALU_CYCLE_1)
	s_mul_hi_u32 s49, s44, s47
	s_mul_i32 s48, s44, s47
	s_mul_hi_u32 s18, s44, s46
	s_mul_i32 s31, s45, s46
	s_add_nc_u64 s[48:49], s[18:19], s[48:49]
	s_mul_hi_u32 s1, s45, s46
	s_mul_hi_u32 s43, s45, s47
	s_add_co_u32 s18, s48, s31
	s_add_co_ci_u32 s18, s49, s1
	s_mul_i32 s46, s45, s47
	s_add_co_ci_u32 s47, s43, 0
	s_delay_alu instid0(SALU_CYCLE_1) | instskip(NEXT) | instid1(SALU_CYCLE_1)
	s_add_nc_u64 s[46:47], s[18:19], s[46:47]
	s_add_co_u32 s44, s44, s46
	s_cselect_b32 s1, -1, 0
	v_mul_hi_u32 v48, v34, s44
	s_cmp_lg_u32 s1, 0
	s_add_co_ci_u32 s18, s45, s47
	s_and_b64 s[46:47], s[44:45], s[26:27]
	v_mul_u64_e32 v[42:43], s[18:19], v[34:35]
	v_mul_u64_e32 v[30:31], s[46:47], v[44:45]
	;; [unrolled: 1-line block ×3, first 2 shown]
	s_delay_alu instid0(VALU_DEP_3) | instskip(NEXT) | instid1(VALU_DEP_1)
	v_add_nc_u64_e32 v[42:43], v[48:49], v[42:43]
	v_add_co_u32 v3, vcc_lo, v42, v30
	s_delay_alu instid0(VALU_DEP_2) | instskip(NEXT) | instid1(VALU_DEP_4)
	v_add_co_ci_u32_e32 v48, vcc_lo, v43, v31, vcc_lo
	v_add_co_ci_u32_e32 v47, vcc_lo, 0, v47, vcc_lo
	s_delay_alu instid0(VALU_DEP_1) | instskip(NEXT) | instid1(VALU_DEP_1)
	v_add_nc_u64_e32 v[30:31], v[48:49], v[46:47]
	v_mul_u64_e32 v[30:31], s[36:37], v[30:31]
	s_delay_alu instid0(VALU_DEP_1) | instskip(NEXT) | instid1(VALU_DEP_2)
	v_sub_nc_u32_e32 v3, v44, v31
	v_sub_co_u32 v30, vcc_lo, v34, v30
	s_delay_alu instid0(VALU_DEP_1) | instskip(NEXT) | instid1(VALU_DEP_3)
	v_sub_co_ci_u32_e64 v31, null, v44, v31, vcc_lo
	v_subrev_co_ci_u32_e64 v3, null, s37, v3, vcc_lo
	s_delay_alu instid0(VALU_DEP_3) | instskip(SKIP_1) | instid1(VALU_DEP_3)
	v_sub_co_u32 v34, vcc_lo, v30, s36
	v_cmp_le_u32_e64 s1, s36, v30
	v_subrev_co_ci_u32_e64 v35, null, 0, v3, vcc_lo
	v_subrev_co_ci_u32_e64 v3, null, s37, v3, vcc_lo
	s_delay_alu instid0(VALU_DEP_3) | instskip(SKIP_2) | instid1(VALU_DEP_2)
	v_cndmask_b32_e64 v42, 0, -1, s1
	v_cmp_le_u32_e64 s1, s36, v34
	v_cmp_le_u32_e32 vcc_lo, s37, v31
	v_cndmask_b32_e64 v43, 0, -1, s1
	v_cmp_le_u32_e64 s1, s37, v35
	v_cndmask_b32_e64 v45, 0, -1, vcc_lo
	v_cmp_eq_u32_e32 vcc_lo, s37, v35
	s_delay_alu instid0(VALU_DEP_3) | instskip(SKIP_1) | instid1(VALU_DEP_1)
	v_cndmask_b32_e64 v44, 0, -1, s1
	v_cmp_eq_u32_e64 s1, s37, v31
	v_dual_cndmask_b32 v43, v44, v43, vcc_lo :: v_dual_cndmask_b32 v42, v45, v42, s1
	v_sub_co_u32 v44, vcc_lo, v34, s36
	s_delay_alu instid0(VALU_DEP_1) | instskip(NEXT) | instid1(VALU_DEP_3)
	v_subrev_co_ci_u32_e64 v3, null, 0, v3, vcc_lo
	v_cmp_ne_u32_e32 vcc_lo, 0, v43
	s_delay_alu instid0(VALU_DEP_2) | instskip(SKIP_1) | instid1(VALU_DEP_2)
	v_dual_cndmask_b32 v3, v35, v3 :: v_dual_cndmask_b32 v34, v34, v44
	v_cmp_ne_u32_e32 vcc_lo, 0, v42
	v_dual_cndmask_b32 v3, v31, v3 :: v_dual_cndmask_b32 v30, v30, v34
	s_delay_alu instid0(VALU_DEP_1) | instskip(NEXT) | instid1(VALU_DEP_2)
	v_xor_b32_e32 v31, v3, v32
	v_xor_b32_e32 v30, v30, v32
	s_delay_alu instid0(VALU_DEP_1)
	v_sub_nc_u64_e32 v[32:33], v[30:31], v[32:33]
                                        ; implicit-def: $vgpr30_vgpr31
.LBB167_48:                             ;   in Loop: Header=BB167_33 Depth=2
	s_and_not1_saveexec_b32 s1, s42
	s_cbranch_execz .LBB167_31
; %bb.49:                               ;   in Loop: Header=BB167_33 Depth=2
	v_cvt_f32_u32_e32 v3, s8
	v_mov_b32_e32 v33, v2
	s_delay_alu instid0(VALU_DEP_2) | instskip(SKIP_1) | instid1(TRANS32_DEP_1)
	v_rcp_iflag_f32_e32 v3, v3
	v_nop
	v_mul_f32_e32 v3, 0x4f7ffffe, v3
	s_delay_alu instid0(VALU_DEP_1) | instskip(NEXT) | instid1(VALU_DEP_1)
	v_cvt_u32_f32_e32 v3, v3
	v_mul_lo_u32 v31, s39, v3
	s_delay_alu instid0(VALU_DEP_1) | instskip(NEXT) | instid1(VALU_DEP_1)
	v_mul_hi_u32 v31, v3, v31
	v_add_nc_u32_e32 v3, v3, v31
	s_delay_alu instid0(VALU_DEP_1) | instskip(NEXT) | instid1(VALU_DEP_1)
	v_mul_hi_u32 v3, v30, v3
	v_mul_lo_u32 v3, v3, s8
	s_delay_alu instid0(VALU_DEP_1) | instskip(NEXT) | instid1(VALU_DEP_1)
	v_sub_nc_u32_e32 v3, v30, v3
	v_subrev_nc_u32_e32 v30, s8, v3
	v_cmp_le_u32_e32 vcc_lo, s8, v3
	s_delay_alu instid0(VALU_DEP_2) | instskip(NEXT) | instid1(VALU_DEP_1)
	v_cndmask_b32_e32 v3, v3, v30, vcc_lo
	v_subrev_nc_u32_e32 v30, s8, v3
	v_cmp_le_u32_e32 vcc_lo, s8, v3
	s_delay_alu instid0(VALU_DEP_2)
	v_cndmask_b32_e32 v32, v3, v30, vcc_lo
	s_branch .LBB167_31
.LBB167_50:                             ;   in Loop: Header=BB167_10 Depth=1
	s_mov_b32 s31, s30
	v_dual_mov_b32 v25, v2 :: v_dual_ashrrev_i32 v20, 31, v5
	s_add_nc_u64 s[34:35], s[8:9], s[30:31]
	s_delay_alu instid0(SALU_CYCLE_1) | instskip(NEXT) | instid1(VALU_DEP_1)
	s_xor_b64 s[34:35], s[34:35], s[30:31]
	v_mov_b32_e32 v21, v20
	s_cvt_f32_u32 s1, s34
	s_cvt_f32_u32 s18, s35
	s_sub_nc_u64 s[44:45], 0, s[34:35]
	s_delay_alu instid0(VALU_DEP_1) | instskip(NEXT) | instid1(SALU_CYCLE_1)
	v_add_nc_u64_e32 v[22:23], v[4:5], v[20:21]
	s_fmamk_f32 s1, s18, 0x4f800000, s1
	v_mov_b32_e32 v29, v2
	s_delay_alu instid0(SALU_CYCLE_2) | instskip(NEXT) | instid1(VALU_DEP_2)
	v_s_rcp_f32 s1, s1
	v_xor_b32_e32 v24, v22, v20
	s_delay_alu instid0(VALU_DEP_3) | instskip(SKIP_1) | instid1(TRANS32_DEP_1)
	v_dual_mov_b32 v33, v2 :: v_dual_bitop2_b32 v28, v23, v20 bitop3:0x14
	v_xor_b32_e32 v20, s30, v20
	s_mul_f32 s1, s1, 0x5f7ffffc
	s_delay_alu instid0(SALU_CYCLE_3) | instskip(NEXT) | instid1(SALU_CYCLE_3)
	s_mul_f32 s18, s1, 0x2f800000
	s_trunc_f32 s18, s18
	s_delay_alu instid0(SALU_CYCLE_3) | instskip(SKIP_1) | instid1(SALU_CYCLE_2)
	s_fmamk_f32 s1, s18, 0xcf800000, s1
	s_cvt_u32_f32 s43, s18
	s_cvt_u32_f32 s42, s1
	s_delay_alu instid0(SALU_CYCLE_3) | instskip(NEXT) | instid1(SALU_CYCLE_1)
	s_mul_u64 s[46:47], s[44:45], s[42:43]
	s_mul_hi_u32 s49, s42, s47
	s_mul_i32 s48, s42, s47
	s_mul_hi_u32 s18, s42, s46
	s_mul_i32 s31, s43, s46
	s_add_nc_u64 s[48:49], s[18:19], s[48:49]
	s_mul_hi_u32 s1, s43, s46
	s_mul_hi_u32 s41, s43, s47
	s_add_co_u32 s18, s48, s31
	s_add_co_ci_u32 s18, s49, s1
	s_mul_i32 s46, s43, s47
	s_add_co_ci_u32 s47, s41, 0
	s_delay_alu instid0(SALU_CYCLE_1) | instskip(NEXT) | instid1(SALU_CYCLE_1)
	s_add_nc_u64 s[46:47], s[18:19], s[46:47]
	s_add_co_u32 s42, s42, s46
	s_cselect_b32 s1, -1, 0
	s_delay_alu instid0(SALU_CYCLE_1) | instskip(SKIP_1) | instid1(SALU_CYCLE_1)
	s_cmp_lg_u32 s1, 0
	s_add_co_ci_u32 s43, s43, s47
	s_mul_u64 s[44:45], s[44:45], s[42:43]
	s_delay_alu instid0(SALU_CYCLE_1)
	s_mul_hi_u32 s47, s42, s45
	s_mul_i32 s46, s42, s45
	s_mul_hi_u32 s18, s42, s44
	s_mul_i32 s31, s43, s44
	s_add_nc_u64 s[46:47], s[18:19], s[46:47]
	s_mul_hi_u32 s1, s43, s44
	s_mul_hi_u32 s41, s43, s45
	s_add_co_u32 s18, s46, s31
	s_add_co_ci_u32 s18, s47, s1
	s_mul_i32 s44, s43, s45
	s_add_co_ci_u32 s45, s41, 0
	s_delay_alu instid0(SALU_CYCLE_1) | instskip(NEXT) | instid1(SALU_CYCLE_1)
	s_add_nc_u64 s[44:45], s[18:19], s[44:45]
	s_add_co_u32 s42, s42, s44
	s_cselect_b32 s1, -1, 0
	v_mul_hi_u32 v32, v24, s42
	s_cmp_lg_u32 s1, 0
	s_add_co_ci_u32 s18, s43, s45
	s_and_b64 s[44:45], s[42:43], s[26:27]
	v_mul_u64_e32 v[26:27], s[18:19], v[24:25]
	v_mul_u64_e32 v[22:23], s[44:45], v[28:29]
	;; [unrolled: 1-line block ×3, first 2 shown]
	s_delay_alu instid0(VALU_DEP_3) | instskip(NEXT) | instid1(VALU_DEP_1)
	v_add_nc_u64_e32 v[26:27], v[32:33], v[26:27]
	v_add_co_u32 v3, vcc_lo, v26, v22
	s_delay_alu instid0(VALU_DEP_2) | instskip(NEXT) | instid1(VALU_DEP_4)
	v_add_co_ci_u32_e32 v32, vcc_lo, v27, v23, vcc_lo
	v_add_co_ci_u32_e32 v31, vcc_lo, 0, v31, vcc_lo
	s_delay_alu instid0(VALU_DEP_1) | instskip(NEXT) | instid1(VALU_DEP_1)
	v_add_nc_u64_e32 v[22:23], v[32:33], v[30:31]
	v_mul_u64_e32 v[26:27], s[34:35], v[22:23]
	s_delay_alu instid0(VALU_DEP_1) | instskip(NEXT) | instid1(VALU_DEP_2)
	v_sub_nc_u32_e32 v3, v28, v27
	v_sub_co_u32 v21, vcc_lo, v24, v26
	s_delay_alu instid0(VALU_DEP_1) | instskip(NEXT) | instid1(VALU_DEP_3)
	v_sub_co_ci_u32_e64 v28, null, v28, v27, vcc_lo
	v_subrev_co_ci_u32_e64 v3, null, s35, v3, vcc_lo
	s_delay_alu instid0(VALU_DEP_3) | instskip(SKIP_1) | instid1(VALU_DEP_3)
	v_sub_co_u32 v24, s1, v21, s34
	v_add_nc_u64_e32 v[26:27], 1, v[22:23]
	v_subrev_co_ci_u32_e64 v3, null, 0, v3, s1
	s_delay_alu instid0(VALU_DEP_3) | instskip(SKIP_1) | instid1(VALU_DEP_3)
	v_cmp_le_u32_e32 vcc_lo, s34, v24
	v_cndmask_b32_e64 v24, 0, -1, vcc_lo
	v_cmp_le_u32_e32 vcc_lo, s35, v3
	v_cndmask_b32_e64 v25, 0, -1, vcc_lo
	v_cmp_le_u32_e32 vcc_lo, s34, v21
	v_cndmask_b32_e64 v21, 0, -1, vcc_lo
	v_cmp_le_u32_e32 vcc_lo, s35, v28
	v_cndmask_b32_e64 v29, 0, -1, vcc_lo
	v_cmp_eq_u32_e32 vcc_lo, s35, v3
	v_cndmask_b32_e32 v3, v25, v24, vcc_lo
	v_cmp_eq_u32_e32 vcc_lo, s35, v28
	v_add_nc_u64_e32 v[24:25], 2, v[22:23]
	v_cndmask_b32_e32 v21, v29, v21, vcc_lo
	s_delay_alu instid0(VALU_DEP_4) | instskip(NEXT) | instid1(VALU_DEP_2)
	v_cmp_ne_u32_e32 vcc_lo, 0, v3
	v_cmp_ne_u32_e64 s1, 0, v21
	s_delay_alu instid0(VALU_DEP_4) | instskip(NEXT) | instid1(VALU_DEP_1)
	v_dual_cndmask_b32 v3, v27, v25, vcc_lo :: v_dual_cndmask_b32 v21, v26, v24, vcc_lo
	v_dual_cndmask_b32 v22, v22, v21, s1 :: v_dual_mov_b32 v21, v20
	s_delay_alu instid0(VALU_DEP_1) | instskip(NEXT) | instid1(VALU_DEP_1)
	v_dual_cndmask_b32 v3, v23, v3, s1 :: v_dual_bitop2_b32 v22, v22, v20 bitop3:0x14
	v_xor_b32_e32 v23, v3, v20
	s_delay_alu instid0(VALU_DEP_1)
	v_sub_nc_u64_e32 v[20:21], v[22:23], v[20:21]
	s_and_not1_saveexec_b32 s1, s37
	s_cbranch_execz .LBB167_26
.LBB167_51:                             ;   in Loop: Header=BB167_10 Depth=1
	v_cvt_f32_u32_e32 v3, s8
	s_delay_alu instid0(VALU_DEP_1) | instskip(SKIP_1) | instid1(TRANS32_DEP_1)
	v_rcp_iflag_f32_e32 v3, v3
	v_nop
	v_mul_f32_e32 v3, 0x4f7ffffe, v3
	s_delay_alu instid0(VALU_DEP_1) | instskip(NEXT) | instid1(VALU_DEP_1)
	v_cvt_u32_f32_e32 v3, v3
	v_mul_lo_u32 v20, s39, v3
	s_delay_alu instid0(VALU_DEP_1) | instskip(NEXT) | instid1(VALU_DEP_1)
	v_mul_hi_u32 v20, v3, v20
	v_add_nc_u32_e32 v3, v3, v20
	s_delay_alu instid0(VALU_DEP_1) | instskip(NEXT) | instid1(VALU_DEP_1)
	v_mul_hi_u32 v3, v4, v3
	v_mul_lo_u32 v20, v3, s8
	s_delay_alu instid0(VALU_DEP_1) | instskip(NEXT) | instid1(VALU_DEP_1)
	v_dual_add_nc_u32 v21, 1, v3 :: v_dual_sub_nc_u32 v20, v4, v20
	v_subrev_nc_u32_e32 v22, s8, v20
	v_cmp_le_u32_e32 vcc_lo, s8, v20
	s_delay_alu instid0(VALU_DEP_2) | instskip(NEXT) | instid1(VALU_DEP_1)
	v_dual_cndmask_b32 v20, v20, v22 :: v_dual_cndmask_b32 v3, v3, v21
	v_cmp_le_u32_e32 vcc_lo, s8, v20
	s_delay_alu instid0(VALU_DEP_2) | instskip(NEXT) | instid1(VALU_DEP_1)
	v_add_nc_u32_e32 v21, 1, v3
	v_dual_cndmask_b32 v20, v3, v21 :: v_dual_mov_b32 v21, v2
	s_or_b32 exec_lo, exec_lo, s1
	s_delay_alu instid0(SALU_CYCLE_1) | instskip(NEXT) | instid1(VALU_DEP_1)
	s_mov_b32 s1, exec_lo
	v_cmpx_ge_i64_e64 v[20:21], v[18:19]
	s_cbranch_execnz .LBB167_27
	s_branch .LBB167_28
.LBB167_52:
	s_endpgm
	.section	.rodata,"a",@progbits
	.p2align	6, 0x0
	.amdhsa_kernel _ZN9rocsparseL21csr2bsr_65_inf_kernelILj32E21rocsparse_complex_numIdEilEEv20rocsparse_direction_T2_S4_S4_S4_S4_S4_21rocsparse_index_base_PKT0_PKT1_PKS4_S5_PS6_PS9_PS4_SF_SG_SE_
		.amdhsa_group_segment_fixed_size 0
		.amdhsa_private_segment_fixed_size 0
		.amdhsa_kernarg_size 144
		.amdhsa_user_sgpr_count 2
		.amdhsa_user_sgpr_dispatch_ptr 0
		.amdhsa_user_sgpr_queue_ptr 0
		.amdhsa_user_sgpr_kernarg_segment_ptr 1
		.amdhsa_user_sgpr_dispatch_id 0
		.amdhsa_user_sgpr_kernarg_preload_length 0
		.amdhsa_user_sgpr_kernarg_preload_offset 0
		.amdhsa_user_sgpr_private_segment_size 0
		.amdhsa_wavefront_size32 1
		.amdhsa_uses_dynamic_stack 0
		.amdhsa_enable_private_segment 0
		.amdhsa_system_sgpr_workgroup_id_x 1
		.amdhsa_system_sgpr_workgroup_id_y 0
		.amdhsa_system_sgpr_workgroup_id_z 0
		.amdhsa_system_sgpr_workgroup_info 0
		.amdhsa_system_vgpr_workitem_id 0
		.amdhsa_next_free_vgpr 56
		.amdhsa_next_free_sgpr 52
		.amdhsa_named_barrier_count 0
		.amdhsa_reserve_vcc 1
		.amdhsa_float_round_mode_32 0
		.amdhsa_float_round_mode_16_64 0
		.amdhsa_float_denorm_mode_32 3
		.amdhsa_float_denorm_mode_16_64 3
		.amdhsa_fp16_overflow 0
		.amdhsa_memory_ordered 1
		.amdhsa_forward_progress 1
		.amdhsa_inst_pref_size 39
		.amdhsa_round_robin_scheduling 0
		.amdhsa_exception_fp_ieee_invalid_op 0
		.amdhsa_exception_fp_denorm_src 0
		.amdhsa_exception_fp_ieee_div_zero 0
		.amdhsa_exception_fp_ieee_overflow 0
		.amdhsa_exception_fp_ieee_underflow 0
		.amdhsa_exception_fp_ieee_inexact 0
		.amdhsa_exception_int_div_zero 0
	.end_amdhsa_kernel
	.section	.text._ZN9rocsparseL21csr2bsr_65_inf_kernelILj32E21rocsparse_complex_numIdEilEEv20rocsparse_direction_T2_S4_S4_S4_S4_S4_21rocsparse_index_base_PKT0_PKT1_PKS4_S5_PS6_PS9_PS4_SF_SG_SE_,"axG",@progbits,_ZN9rocsparseL21csr2bsr_65_inf_kernelILj32E21rocsparse_complex_numIdEilEEv20rocsparse_direction_T2_S4_S4_S4_S4_S4_21rocsparse_index_base_PKT0_PKT1_PKS4_S5_PS6_PS9_PS4_SF_SG_SE_,comdat
.Lfunc_end167:
	.size	_ZN9rocsparseL21csr2bsr_65_inf_kernelILj32E21rocsparse_complex_numIdEilEEv20rocsparse_direction_T2_S4_S4_S4_S4_S4_21rocsparse_index_base_PKT0_PKT1_PKS4_S5_PS6_PS9_PS4_SF_SG_SE_, .Lfunc_end167-_ZN9rocsparseL21csr2bsr_65_inf_kernelILj32E21rocsparse_complex_numIdEilEEv20rocsparse_direction_T2_S4_S4_S4_S4_S4_21rocsparse_index_base_PKT0_PKT1_PKS4_S5_PS6_PS9_PS4_SF_SG_SE_
                                        ; -- End function
	.set _ZN9rocsparseL21csr2bsr_65_inf_kernelILj32E21rocsparse_complex_numIdEilEEv20rocsparse_direction_T2_S4_S4_S4_S4_S4_21rocsparse_index_base_PKT0_PKT1_PKS4_S5_PS6_PS9_PS4_SF_SG_SE_.num_vgpr, 56
	.set _ZN9rocsparseL21csr2bsr_65_inf_kernelILj32E21rocsparse_complex_numIdEilEEv20rocsparse_direction_T2_S4_S4_S4_S4_S4_21rocsparse_index_base_PKT0_PKT1_PKS4_S5_PS6_PS9_PS4_SF_SG_SE_.num_agpr, 0
	.set _ZN9rocsparseL21csr2bsr_65_inf_kernelILj32E21rocsparse_complex_numIdEilEEv20rocsparse_direction_T2_S4_S4_S4_S4_S4_21rocsparse_index_base_PKT0_PKT1_PKS4_S5_PS6_PS9_PS4_SF_SG_SE_.numbered_sgpr, 52
	.set _ZN9rocsparseL21csr2bsr_65_inf_kernelILj32E21rocsparse_complex_numIdEilEEv20rocsparse_direction_T2_S4_S4_S4_S4_S4_21rocsparse_index_base_PKT0_PKT1_PKS4_S5_PS6_PS9_PS4_SF_SG_SE_.num_named_barrier, 0
	.set _ZN9rocsparseL21csr2bsr_65_inf_kernelILj32E21rocsparse_complex_numIdEilEEv20rocsparse_direction_T2_S4_S4_S4_S4_S4_21rocsparse_index_base_PKT0_PKT1_PKS4_S5_PS6_PS9_PS4_SF_SG_SE_.private_seg_size, 0
	.set _ZN9rocsparseL21csr2bsr_65_inf_kernelILj32E21rocsparse_complex_numIdEilEEv20rocsparse_direction_T2_S4_S4_S4_S4_S4_21rocsparse_index_base_PKT0_PKT1_PKS4_S5_PS6_PS9_PS4_SF_SG_SE_.uses_vcc, 1
	.set _ZN9rocsparseL21csr2bsr_65_inf_kernelILj32E21rocsparse_complex_numIdEilEEv20rocsparse_direction_T2_S4_S4_S4_S4_S4_21rocsparse_index_base_PKT0_PKT1_PKS4_S5_PS6_PS9_PS4_SF_SG_SE_.uses_flat_scratch, 0
	.set _ZN9rocsparseL21csr2bsr_65_inf_kernelILj32E21rocsparse_complex_numIdEilEEv20rocsparse_direction_T2_S4_S4_S4_S4_S4_21rocsparse_index_base_PKT0_PKT1_PKS4_S5_PS6_PS9_PS4_SF_SG_SE_.has_dyn_sized_stack, 0
	.set _ZN9rocsparseL21csr2bsr_65_inf_kernelILj32E21rocsparse_complex_numIdEilEEv20rocsparse_direction_T2_S4_S4_S4_S4_S4_21rocsparse_index_base_PKT0_PKT1_PKS4_S5_PS6_PS9_PS4_SF_SG_SE_.has_recursion, 0
	.set _ZN9rocsparseL21csr2bsr_65_inf_kernelILj32E21rocsparse_complex_numIdEilEEv20rocsparse_direction_T2_S4_S4_S4_S4_S4_21rocsparse_index_base_PKT0_PKT1_PKS4_S5_PS6_PS9_PS4_SF_SG_SE_.has_indirect_call, 0
	.section	.AMDGPU.csdata,"",@progbits
; Kernel info:
; codeLenInByte = 4900
; TotalNumSgprs: 54
; NumVgprs: 56
; ScratchSize: 0
; MemoryBound: 0
; FloatMode: 240
; IeeeMode: 1
; LDSByteSize: 0 bytes/workgroup (compile time only)
; SGPRBlocks: 0
; VGPRBlocks: 3
; NumSGPRsForWavesPerEU: 54
; NumVGPRsForWavesPerEU: 56
; NamedBarCnt: 0
; Occupancy: 16
; WaveLimiterHint : 1
; COMPUTE_PGM_RSRC2:SCRATCH_EN: 0
; COMPUTE_PGM_RSRC2:USER_SGPR: 2
; COMPUTE_PGM_RSRC2:TRAP_HANDLER: 0
; COMPUTE_PGM_RSRC2:TGID_X_EN: 1
; COMPUTE_PGM_RSRC2:TGID_Y_EN: 0
; COMPUTE_PGM_RSRC2:TGID_Z_EN: 0
; COMPUTE_PGM_RSRC2:TIDIG_COMP_CNT: 0
	.section	.text._ZN9rocsparseL35csr2bsr_block_dim_equals_one_kernelILj256E21rocsparse_complex_numIdEllEEvT2_S3_S3_S3_21rocsparse_index_base_PKT0_PKT1_PKS3_S4_PS5_PS8_PS3_,"axG",@progbits,_ZN9rocsparseL35csr2bsr_block_dim_equals_one_kernelILj256E21rocsparse_complex_numIdEllEEvT2_S3_S3_S3_21rocsparse_index_base_PKT0_PKT1_PKS3_S4_PS5_PS8_PS3_,comdat
	.globl	_ZN9rocsparseL35csr2bsr_block_dim_equals_one_kernelILj256E21rocsparse_complex_numIdEllEEvT2_S3_S3_S3_21rocsparse_index_base_PKT0_PKT1_PKS3_S4_PS5_PS8_PS3_ ; -- Begin function _ZN9rocsparseL35csr2bsr_block_dim_equals_one_kernelILj256E21rocsparse_complex_numIdEllEEvT2_S3_S3_S3_21rocsparse_index_base_PKT0_PKT1_PKS3_S4_PS5_PS8_PS3_
	.p2align	8
	.type	_ZN9rocsparseL35csr2bsr_block_dim_equals_one_kernelILj256E21rocsparse_complex_numIdEllEEvT2_S3_S3_S3_21rocsparse_index_base_PKT0_PKT1_PKS3_S4_PS5_PS8_PS3_,@function
_ZN9rocsparseL35csr2bsr_block_dim_equals_one_kernelILj256E21rocsparse_complex_numIdEllEEvT2_S3_S3_S3_21rocsparse_index_base_PKT0_PKT1_PKS3_S4_PS5_PS8_PS3_: ; @_ZN9rocsparseL35csr2bsr_block_dim_equals_one_kernelILj256E21rocsparse_complex_numIdEllEEvT2_S3_S3_S3_21rocsparse_index_base_PKT0_PKT1_PKS3_S4_PS5_PS8_PS3_
; %bb.0:
	s_clause 0x1
	s_load_b64 s[2:3], s[0:1], 0x0
	s_load_b128 s[4:7], s[0:1], 0x28
	s_bfe_u32 s8, ttmp6, 0x4000c
	s_and_b32 s9, ttmp6, 15
	s_add_co_i32 s8, s8, 1
	s_getreg_b32 s10, hwreg(HW_REG_IB_STS2, 6, 4)
	s_mul_i32 s8, ttmp9, s8
	v_mov_b32_e32 v1, 0
	s_add_co_i32 s9, s9, s8
	s_cmp_eq_u32 s10, 0
	s_cselect_b32 s12, ttmp9, s9
	s_delay_alu instid0(SALU_CYCLE_1) | instskip(SKIP_2) | instid1(SALU_CYCLE_1)
	v_lshl_or_b32 v0, s12, 8, v0
	s_wait_kmcnt 0x0
	s_lshl_b64 s[2:3], s[2:3], 3
	s_add_nc_u64 s[2:3], s[6:7], s[2:3]
	s_clause 0x1
	s_load_b64 s[8:9], s[2:3], 0x0
	s_load_b64 s[10:11], s[6:7], 0x0
	s_wait_xcnt 0x0
	s_mov_b32 s7, 0
	s_mov_b32 s6, exec_lo
	s_wait_kmcnt 0x0
	s_sub_nc_u64 s[2:3], s[8:9], s[10:11]
	s_delay_alu instid0(SALU_CYCLE_1)
	v_cmpx_gt_i64_e64 s[2:3], v[0:1]
	s_cbranch_execz .LBB168_3
; %bb.1:
	s_clause 0x3
	s_load_b96 s[8:10], s[0:1], 0x38
	s_load_b64 s[16:17], s[0:1], 0x48
	s_load_b32 s6, s[0:1], 0x20
	s_load_b96 s[12:14], s[0:1], 0x58
	v_lshlrev_b64_e32 v[2:3], 4, v[0:1]
	v_lshlrev_b64_e32 v[4:5], 3, v[0:1]
	s_wait_xcnt 0x0
	s_mov_b32 s1, s7
	s_mov_b32 s18, s7
	s_wait_kmcnt 0x0
	s_mov_b32 s0, s10
	s_delay_alu instid0(SALU_CYCLE_1) | instskip(SKIP_1) | instid1(SALU_CYCLE_1)
	s_sub_nc_u64 s[0:1], s[0:1], s[6:7]
	s_lshl_b32 s6, s14, 8
	s_lshl_b64 s[10:11], s[6:7], 4
	s_lshl_b64 s[14:15], s[6:7], 3
.LBB168_2:                              ; =>This Inner Loop Header: Depth=1
	v_add_nc_u64_e32 v[6:7], s[8:9], v[4:5]
	v_add_nc_u64_e32 v[8:9], s[12:13], v[4:5]
	;; [unrolled: 1-line block ×5, first 2 shown]
	global_load_b64 v[6:7], v[6:7], off
	v_cmp_le_i64_e32 vcc_lo, s[2:3], v[0:1]
	s_or_b32 s18, vcc_lo, s18
	s_wait_loadcnt 0x0
	s_wait_xcnt 0x0
	v_add_nc_u64_e32 v[6:7], s[0:1], v[6:7]
	global_store_b64 v[8:9], v[6:7], off
	global_load_b128 v[6:9], v[10:11], off
	s_wait_xcnt 0x0
	v_add_nc_u64_e32 v[10:11], s[16:17], v[2:3]
	v_add_nc_u64_e32 v[2:3], s[10:11], v[2:3]
	s_wait_loadcnt 0x0
	global_store_b128 v[10:11], v[6:9], off
	s_wait_xcnt 0x0
	s_and_not1_b32 exec_lo, exec_lo, s18
	s_cbranch_execnz .LBB168_2
.LBB168_3:
	s_endpgm
	.section	.rodata,"a",@progbits
	.p2align	6, 0x0
	.amdhsa_kernel _ZN9rocsparseL35csr2bsr_block_dim_equals_one_kernelILj256E21rocsparse_complex_numIdEllEEvT2_S3_S3_S3_21rocsparse_index_base_PKT0_PKT1_PKS3_S4_PS5_PS8_PS3_
		.amdhsa_group_segment_fixed_size 0
		.amdhsa_private_segment_fixed_size 0
		.amdhsa_kernarg_size 352
		.amdhsa_user_sgpr_count 2
		.amdhsa_user_sgpr_dispatch_ptr 0
		.amdhsa_user_sgpr_queue_ptr 0
		.amdhsa_user_sgpr_kernarg_segment_ptr 1
		.amdhsa_user_sgpr_dispatch_id 0
		.amdhsa_user_sgpr_kernarg_preload_length 0
		.amdhsa_user_sgpr_kernarg_preload_offset 0
		.amdhsa_user_sgpr_private_segment_size 0
		.amdhsa_wavefront_size32 1
		.amdhsa_uses_dynamic_stack 0
		.amdhsa_enable_private_segment 0
		.amdhsa_system_sgpr_workgroup_id_x 1
		.amdhsa_system_sgpr_workgroup_id_y 0
		.amdhsa_system_sgpr_workgroup_id_z 0
		.amdhsa_system_sgpr_workgroup_info 0
		.amdhsa_system_vgpr_workitem_id 0
		.amdhsa_next_free_vgpr 12
		.amdhsa_next_free_sgpr 19
		.amdhsa_named_barrier_count 0
		.amdhsa_reserve_vcc 1
		.amdhsa_float_round_mode_32 0
		.amdhsa_float_round_mode_16_64 0
		.amdhsa_float_denorm_mode_32 3
		.amdhsa_float_denorm_mode_16_64 3
		.amdhsa_fp16_overflow 0
		.amdhsa_memory_ordered 1
		.amdhsa_forward_progress 1
		.amdhsa_inst_pref_size 3
		.amdhsa_round_robin_scheduling 0
		.amdhsa_exception_fp_ieee_invalid_op 0
		.amdhsa_exception_fp_denorm_src 0
		.amdhsa_exception_fp_ieee_div_zero 0
		.amdhsa_exception_fp_ieee_overflow 0
		.amdhsa_exception_fp_ieee_underflow 0
		.amdhsa_exception_fp_ieee_inexact 0
		.amdhsa_exception_int_div_zero 0
	.end_amdhsa_kernel
	.section	.text._ZN9rocsparseL35csr2bsr_block_dim_equals_one_kernelILj256E21rocsparse_complex_numIdEllEEvT2_S3_S3_S3_21rocsparse_index_base_PKT0_PKT1_PKS3_S4_PS5_PS8_PS3_,"axG",@progbits,_ZN9rocsparseL35csr2bsr_block_dim_equals_one_kernelILj256E21rocsparse_complex_numIdEllEEvT2_S3_S3_S3_21rocsparse_index_base_PKT0_PKT1_PKS3_S4_PS5_PS8_PS3_,comdat
.Lfunc_end168:
	.size	_ZN9rocsparseL35csr2bsr_block_dim_equals_one_kernelILj256E21rocsparse_complex_numIdEllEEvT2_S3_S3_S3_21rocsparse_index_base_PKT0_PKT1_PKS3_S4_PS5_PS8_PS3_, .Lfunc_end168-_ZN9rocsparseL35csr2bsr_block_dim_equals_one_kernelILj256E21rocsparse_complex_numIdEllEEvT2_S3_S3_S3_21rocsparse_index_base_PKT0_PKT1_PKS3_S4_PS5_PS8_PS3_
                                        ; -- End function
	.set _ZN9rocsparseL35csr2bsr_block_dim_equals_one_kernelILj256E21rocsparse_complex_numIdEllEEvT2_S3_S3_S3_21rocsparse_index_base_PKT0_PKT1_PKS3_S4_PS5_PS8_PS3_.num_vgpr, 12
	.set _ZN9rocsparseL35csr2bsr_block_dim_equals_one_kernelILj256E21rocsparse_complex_numIdEllEEvT2_S3_S3_S3_21rocsparse_index_base_PKT0_PKT1_PKS3_S4_PS5_PS8_PS3_.num_agpr, 0
	.set _ZN9rocsparseL35csr2bsr_block_dim_equals_one_kernelILj256E21rocsparse_complex_numIdEllEEvT2_S3_S3_S3_21rocsparse_index_base_PKT0_PKT1_PKS3_S4_PS5_PS8_PS3_.numbered_sgpr, 19
	.set _ZN9rocsparseL35csr2bsr_block_dim_equals_one_kernelILj256E21rocsparse_complex_numIdEllEEvT2_S3_S3_S3_21rocsparse_index_base_PKT0_PKT1_PKS3_S4_PS5_PS8_PS3_.num_named_barrier, 0
	.set _ZN9rocsparseL35csr2bsr_block_dim_equals_one_kernelILj256E21rocsparse_complex_numIdEllEEvT2_S3_S3_S3_21rocsparse_index_base_PKT0_PKT1_PKS3_S4_PS5_PS8_PS3_.private_seg_size, 0
	.set _ZN9rocsparseL35csr2bsr_block_dim_equals_one_kernelILj256E21rocsparse_complex_numIdEllEEvT2_S3_S3_S3_21rocsparse_index_base_PKT0_PKT1_PKS3_S4_PS5_PS8_PS3_.uses_vcc, 1
	.set _ZN9rocsparseL35csr2bsr_block_dim_equals_one_kernelILj256E21rocsparse_complex_numIdEllEEvT2_S3_S3_S3_21rocsparse_index_base_PKT0_PKT1_PKS3_S4_PS5_PS8_PS3_.uses_flat_scratch, 0
	.set _ZN9rocsparseL35csr2bsr_block_dim_equals_one_kernelILj256E21rocsparse_complex_numIdEllEEvT2_S3_S3_S3_21rocsparse_index_base_PKT0_PKT1_PKS3_S4_PS5_PS8_PS3_.has_dyn_sized_stack, 0
	.set _ZN9rocsparseL35csr2bsr_block_dim_equals_one_kernelILj256E21rocsparse_complex_numIdEllEEvT2_S3_S3_S3_21rocsparse_index_base_PKT0_PKT1_PKS3_S4_PS5_PS8_PS3_.has_recursion, 0
	.set _ZN9rocsparseL35csr2bsr_block_dim_equals_one_kernelILj256E21rocsparse_complex_numIdEllEEvT2_S3_S3_S3_21rocsparse_index_base_PKT0_PKT1_PKS3_S4_PS5_PS8_PS3_.has_indirect_call, 0
	.section	.AMDGPU.csdata,"",@progbits
; Kernel info:
; codeLenInByte = 344
; TotalNumSgprs: 21
; NumVgprs: 12
; ScratchSize: 0
; MemoryBound: 0
; FloatMode: 240
; IeeeMode: 1
; LDSByteSize: 0 bytes/workgroup (compile time only)
; SGPRBlocks: 0
; VGPRBlocks: 0
; NumSGPRsForWavesPerEU: 21
; NumVGPRsForWavesPerEU: 12
; NamedBarCnt: 0
; Occupancy: 16
; WaveLimiterHint : 0
; COMPUTE_PGM_RSRC2:SCRATCH_EN: 0
; COMPUTE_PGM_RSRC2:USER_SGPR: 2
; COMPUTE_PGM_RSRC2:TRAP_HANDLER: 0
; COMPUTE_PGM_RSRC2:TGID_X_EN: 1
; COMPUTE_PGM_RSRC2:TGID_Y_EN: 0
; COMPUTE_PGM_RSRC2:TGID_Z_EN: 0
; COMPUTE_PGM_RSRC2:TIDIG_COMP_CNT: 0
	.section	.text._ZN9rocsparseL42csr2bsr_wavefront_per_row_multipass_kernelILj256ELj16ELj4E21rocsparse_complex_numIdEllEEv20rocsparse_direction_T4_S4_S4_S4_S4_21rocsparse_index_base_PKT2_PKT3_PKS4_S5_PS6_PS9_PS4_,"axG",@progbits,_ZN9rocsparseL42csr2bsr_wavefront_per_row_multipass_kernelILj256ELj16ELj4E21rocsparse_complex_numIdEllEEv20rocsparse_direction_T4_S4_S4_S4_S4_21rocsparse_index_base_PKT2_PKT3_PKS4_S5_PS6_PS9_PS4_,comdat
	.globl	_ZN9rocsparseL42csr2bsr_wavefront_per_row_multipass_kernelILj256ELj16ELj4E21rocsparse_complex_numIdEllEEv20rocsparse_direction_T4_S4_S4_S4_S4_21rocsparse_index_base_PKT2_PKT3_PKS4_S5_PS6_PS9_PS4_ ; -- Begin function _ZN9rocsparseL42csr2bsr_wavefront_per_row_multipass_kernelILj256ELj16ELj4E21rocsparse_complex_numIdEllEEv20rocsparse_direction_T4_S4_S4_S4_S4_21rocsparse_index_base_PKT2_PKT3_PKS4_S5_PS6_PS9_PS4_
	.p2align	8
	.type	_ZN9rocsparseL42csr2bsr_wavefront_per_row_multipass_kernelILj256ELj16ELj4E21rocsparse_complex_numIdEllEEv20rocsparse_direction_T4_S4_S4_S4_S4_21rocsparse_index_base_PKT2_PKT3_PKS4_S5_PS6_PS9_PS4_,@function
_ZN9rocsparseL42csr2bsr_wavefront_per_row_multipass_kernelILj256ELj16ELj4E21rocsparse_complex_numIdEllEEv20rocsparse_direction_T4_S4_S4_S4_S4_21rocsparse_index_base_PKT2_PKT3_PKS4_S5_PS6_PS9_PS4_: ; @_ZN9rocsparseL42csr2bsr_wavefront_per_row_multipass_kernelILj256ELj16ELj4E21rocsparse_complex_numIdEllEEv20rocsparse_direction_T4_S4_S4_S4_S4_21rocsparse_index_base_PKT2_PKT3_PKS4_S5_PS6_PS9_PS4_
; %bb.0:
	s_bfe_u32 s2, ttmp6, 0x4000c
	s_clause 0x1
	s_load_b96 s[8:10], s[0:1], 0x28
	s_load_b64 s[12:13], s[0:1], 0x40
	s_add_co_i32 s2, s2, 1
	s_and_b32 s3, ttmp6, 15
	s_mul_i32 s2, ttmp9, s2
	s_getreg_b32 s4, hwreg(HW_REG_IB_STS2, 6, 4)
	s_add_co_i32 s3, s3, s2
	s_cmp_eq_u32 s4, 0
	v_dual_mov_b32 v3, 0 :: v_dual_lshrrev_b32 v32, 4, v0
	s_cselect_b32 s14, ttmp9, s3
	v_bfe_u32 v2, v0, 2, 2
	s_ashr_i32 s15, s14, 31
	v_mov_b64_e32 v[18:19], 0
	s_lshl_b64 s[2:3], s[14:15], 4
	s_mov_b32 s11, 0
	v_or_b32_e32 v1, s2, v32
	s_load_b128 s[4:7], s[0:1], 0x18
	s_wait_kmcnt 0x0
	s_delay_alu instid0(VALU_DEP_1) | instskip(NEXT) | instid1(VALU_DEP_1)
	v_mad_nc_u64_u32 v[6:7], v1, s8, v[2:3]
	v_mad_u32 v4, s3, s8, v7
	s_load_b64 s[2:3], s[0:1], 0x8
	s_delay_alu instid0(VALU_DEP_1) | instskip(SKIP_2) | instid1(VALU_DEP_2)
	v_mad_u32 v7, v1, s9, v4
	v_mov_b64_e32 v[4:5], 0
	s_wait_kmcnt 0x0
	v_cmp_gt_i64_e32 vcc_lo, s[2:3], v[6:7]
	v_cmp_gt_i64_e64 s2, s[8:9], v[2:3]
	s_and_b32 s3, s2, vcc_lo
	s_delay_alu instid0(SALU_CYCLE_1)
	s_and_saveexec_b32 s15, s3
	s_cbranch_execz .LBB169_2
; %bb.1:
	v_lshl_add_u64 v[8:9], v[6:7], 3, s[12:13]
	global_load_b64 v[8:9], v[8:9], off
	s_wait_loadcnt 0x0
	v_sub_nc_u64_e64 v[18:19], v[8:9], s[10:11]
.LBB169_2:
	s_or_b32 exec_lo, exec_lo, s15
	s_and_saveexec_b32 s15, s3
	s_cbranch_execz .LBB169_4
; %bb.3:
	v_lshl_add_u64 v[4:5], v[6:7], 3, s[12:13]
	global_load_b64 v[4:5], v[4:5], off offset:8
	s_wait_loadcnt 0x0
	v_sub_nc_u64_e64 v[4:5], v[4:5], s[10:11]
.LBB169_4:
	s_or_b32 exec_lo, exec_lo, s15
	s_load_b32 s12, s[0:1], 0x50
	v_mov_b64_e32 v[6:7], 0
	v_lshl_or_b32 v8, s14, 4, v32
	v_mov_b32_e32 v9, 0
	s_mov_b32 s3, exec_lo
	s_delay_alu instid0(VALU_DEP_1)
	v_cmpx_gt_i64_e64 s[4:5], v[8:9]
	s_cbranch_execz .LBB169_6
; %bb.5:
	s_load_b64 s[4:5], s[0:1], 0x60
	s_mov_b32 s13, 0
	s_wait_kmcnt 0x0
	v_lshl_add_u64 v[6:7], v[8:9], 3, s[4:5]
	global_load_b64 v[6:7], v[6:7], off
	s_wait_loadcnt 0x0
	v_sub_nc_u64_e64 v[6:7], v[6:7], s[12:13]
.LBB169_6:
	s_or_b32 exec_lo, exec_lo, s3
	v_cmp_lt_i64_e64 s3, s[6:7], 1
	s_and_b32 vcc_lo, exec_lo, s3
	s_cbranch_vccnz .LBB169_25
; %bb.7:
	v_dual_mov_b32 v8, 0 :: v_dual_bitop2_b32 v10, 3, v0 bitop3:0x40
	v_mul_u64_e32 v[12:13], s[8:9], v[2:3]
	v_mbcnt_lo_u32_b32 v9, -1, 0
	s_clause 0x3
	s_load_b64 s[20:21], s[0:1], 0x58
	s_load_b64 s[16:17], s[0:1], 0x48
	s_load_b64 s[18:19], s[0:1], 0x38
	s_load_b32 s3, s[0:1], 0x0
	v_dual_mov_b32 v11, v8 :: v_dual_lshlrev_b32 v3, 6, v2
	v_dual_lshlrev_b32 v20, 4, v10 :: v_dual_bitop2_b32 v22, 2, v9 bitop3:0x14
	v_dual_lshlrev_b32 v24, 2, v9 :: v_dual_bitop2_b32 v23, 1, v9 bitop3:0x14
	s_delay_alu instid0(VALU_DEP_3) | instskip(SKIP_1) | instid1(VALU_DEP_4)
	v_mul_u64_e32 v[16:17], s[8:9], v[10:11]
	v_and_b32_e32 v1, 0x3f0, v0
	v_cmp_gt_i32_e32 vcc_lo, 32, v22
	v_xor_b32_e32 v25, 8, v9
	v_xor_b32_e32 v26, 4, v9
	s_load_b64 s[4:5], s[0:1], 0x68
	v_lshl_or_b32 v33, v1, 4, v3
	v_cndmask_b32_e32 v22, v9, v22, vcc_lo
	v_cmp_gt_i32_e32 vcc_lo, 32, v23
	v_mov_b32_e32 v1, v8
	s_wait_xcnt 0x0
	v_cmp_gt_i32_e64 s0, 32, v25
	v_dual_lshlrev_b32 v2, 4, v2 :: v_dual_mov_b32 v0, 0
	v_dual_mov_b32 v3, v8 :: v_dual_mov_b32 v21, v8
	v_dual_cndmask_b32 v23, v9, v23, vcc_lo :: v_dual_bitop2_b32 v35, 12, v24 bitop3:0x54
	v_cmp_gt_i64_e32 vcc_lo, s[8:9], v[10:11]
	v_cndmask_b32_e64 v25, v9, v25, s0
	v_cmp_gt_i32_e64 s0, 32, v26
	v_mov_b64_e32 v[14:15], 0
	v_dual_lshlrev_b32 v37, 2, v22 :: v_dual_bitop2_b32 v34, v33, v20 bitop3:0x54
	s_wait_kmcnt 0x0
	v_lshl_add_u64 v[12:13], v[12:13], 4, s[20:21]
	v_cndmask_b32_e64 v9, v9, v26, s0
	s_and_b32 s24, s2, vcc_lo
	s_cmp_eq_u32 s3, 0
	v_dual_lshlrev_b32 v38, 2, v23 :: v_dual_bitop2_b32 v36, 60, v24 bitop3:0x54
	v_add_nc_u64_e32 v[12:13], v[12:13], v[20:21]
	s_cselect_b32 vcc_lo, -1, 0
	v_lshlrev_b32_e32 v40, 2, v9
	v_lshl_add_u64 v[16:17], v[16:17], 4, s[20:21]
	v_mov_b32_e32 v41, 1
	s_mov_b32 s1, 0
	s_mul_u64 s[14:15], s[8:9], s[8:9]
	s_mov_b32 s11, s1
	v_add_nc_u64_e32 v[2:3], v[16:17], v[2:3]
	v_lshlrev_b32_e32 v39, 2, v25
	s_mov_b32 s13, s1
	s_mov_b64 s[2:3], 0xffffffff
	s_ashr_i32 s20, s9, 31
	s_sub_co_i32 s25, 0, s8
	s_mov_b32 s26, 0
	v_dual_cndmask_b32 v13, v3, v13, vcc_lo :: v_dual_mov_b32 v3, v8
	v_dual_cndmask_b32 v12, v2, v12, vcc_lo :: v_dual_mov_b32 v2, v8
	s_branch .LBB169_10
.LBB169_8:                              ;   in Loop: Header=BB169_10 Depth=1
	s_wait_xcnt 0x0
	s_or_b32 exec_lo, exec_lo, s21
	v_mov_b64_e32 v[20:21], 1
.LBB169_9:                              ;   in Loop: Header=BB169_10 Depth=1
	s_or_b32 exec_lo, exec_lo, s0
	ds_bpermute_b32 v14, v39, v16
	ds_bpermute_b32 v15, v39, v17
	v_add_nc_u64_e32 v[6:7], v[20:21], v[6:7]
	s_wait_storecnt_dscnt 0x0
	v_min_i64 v[14:15], v[14:15], v[16:17]
	ds_bpermute_b32 v16, v40, v14
	ds_bpermute_b32 v17, v40, v15
	s_wait_dscnt 0x0
	v_min_i64 v[14:15], v[16:17], v[14:15]
	ds_bpermute_b32 v16, v37, v14
	ds_bpermute_b32 v17, v37, v15
	s_wait_dscnt 0x0
	;; [unrolled: 4-line block ×4, first 2 shown]
	v_cmp_le_i64_e32 vcc_lo, s[6:7], v[14:15]
	s_or_b32 s26, vcc_lo, s26
	s_delay_alu instid0(SALU_CYCLE_1)
	s_and_not1_b32 exec_lo, exec_lo, s26
	s_cbranch_execz .LBB169_25
.LBB169_10:                             ; =>This Loop Header: Depth=1
                                        ;     Child Loop BB169_13 Depth 2
	v_add_nc_u64_e32 v[18:19], v[18:19], v[10:11]
	v_mov_b64_e32 v[16:17], s[6:7]
	v_mov_b64_e32 v[30:31], v[4:5]
	s_mov_b32 s27, exec_lo
	ds_store_b8 v32, v8 offset:4096
	ds_store_b128 v34, v[0:3]
	s_wait_dscnt 0x0
	v_cmpx_lt_i64_e64 v[18:19], v[4:5]
	s_cbranch_execz .LBB169_22
; %bb.11:                               ;   in Loop: Header=BB169_10 Depth=1
	v_mul_u64_e32 v[20:21], s[8:9], v[14:15]
	v_mov_b64_e32 v[16:17], s[6:7]
	v_mov_b64_e32 v[26:27], v[4:5]
	v_lshl_add_u64 v[22:23], v[18:19], 4, s[18:19]
	v_lshl_add_u64 v[24:25], v[18:19], 3, s[16:17]
	s_mov_b32 s28, 0
	s_branch .LBB169_13
.LBB169_12:                             ;   in Loop: Header=BB169_13 Depth=2
	s_wait_xcnt 0x0
	s_or_b32 exec_lo, exec_lo, s0
	v_add_nc_u64_e32 v[18:19], 4, v[18:19]
	s_xor_b32 s21, vcc_lo, -1
	v_add_nc_u64_e32 v[22:23], 64, v[22:23]
	v_add_nc_u64_e32 v[24:25], 32, v[24:25]
	v_mov_b64_e32 v[26:27], v[30:31]
	s_delay_alu instid0(VALU_DEP_4) | instskip(SKIP_1) | instid1(SALU_CYCLE_1)
	v_cmp_ge_i64_e64 s0, v[18:19], v[4:5]
	s_or_b32 s0, s21, s0
	s_and_b32 s0, exec_lo, s0
	s_delay_alu instid0(SALU_CYCLE_1) | instskip(NEXT) | instid1(SALU_CYCLE_1)
	s_or_b32 s28, s0, s28
	s_and_not1_b32 exec_lo, exec_lo, s28
	s_cbranch_execz .LBB169_21
.LBB169_13:                             ;   Parent Loop BB169_10 Depth=1
                                        ; =>  This Inner Loop Header: Depth=2
	global_load_b64 v[28:29], v[24:25], off
                                        ; implicit-def: $vgpr30_vgpr31
	s_mov_b32 s0, exec_lo
	s_wait_loadcnt 0x0
	v_sub_nc_u64_e64 v[28:29], v[28:29], s[10:11]
	s_delay_alu instid0(VALU_DEP_1) | instskip(SKIP_1) | instid1(VALU_DEP_1)
	v_or_b32_e32 v9, s9, v29
	s_wait_xcnt 0x0
	v_cmpx_ne_u64_e32 0, v[8:9]
	s_xor_b32 s29, exec_lo, s0
	s_cbranch_execz .LBB169_15
; %bb.14:                               ;   in Loop: Header=BB169_13 Depth=2
	s_mov_b32 s21, s20
	v_dual_mov_b32 v45, v8 :: v_dual_ashrrev_i32 v30, 31, v29
	s_add_nc_u64 s[22:23], s[8:9], s[20:21]
	v_mov_b32_e32 v49, v8
	s_xor_b64 s[22:23], s[22:23], s[20:21]
	s_delay_alu instid0(VALU_DEP_2)
	v_mov_b32_e32 v31, v30
	s_cvt_f32_u32 s0, s22
	s_cvt_f32_u32 s21, s23
	s_sub_nc_u64 s[34:35], 0, s[22:23]
	v_mov_b32_e32 v53, v8
	v_add_nc_u64_e32 v[42:43], v[28:29], v[30:31]
	s_fmamk_f32 s0, s21, 0x4f800000, s0
	s_delay_alu instid0(SALU_CYCLE_3) | instskip(NEXT) | instid1(VALU_DEP_1)
	v_s_rcp_f32 s0, s0
	v_xor_b32_e32 v44, v42, v30
	s_delay_alu instid0(VALU_DEP_2) | instskip(NEXT) | instid1(TRANS32_DEP_1)
	v_xor_b32_e32 v48, v43, v30
	s_mul_f32 s0, s0, 0x5f7ffffc
	s_delay_alu instid0(SALU_CYCLE_3) | instskip(NEXT) | instid1(SALU_CYCLE_3)
	s_mul_f32 s21, s0, 0x2f800000
	s_trunc_f32 s21, s21
	s_delay_alu instid0(SALU_CYCLE_3) | instskip(SKIP_1) | instid1(SALU_CYCLE_2)
	s_fmamk_f32 s0, s21, 0xcf800000, s0
	s_cvt_u32_f32 s31, s21
	s_cvt_u32_f32 s30, s0
	s_delay_alu instid0(SALU_CYCLE_3) | instskip(NEXT) | instid1(SALU_CYCLE_1)
	s_mul_u64 s[36:37], s[34:35], s[30:31]
	s_mul_hi_u32 s39, s30, s37
	s_mul_i32 s38, s30, s37
	s_mul_hi_u32 s0, s30, s36
	s_mul_i32 s33, s31, s36
	s_add_nc_u64 s[38:39], s[0:1], s[38:39]
	s_mul_hi_u32 s21, s31, s36
	s_mul_hi_u32 s40, s31, s37
	s_add_co_u32 s0, s38, s33
	s_add_co_ci_u32 s0, s39, s21
	s_mul_i32 s36, s31, s37
	s_add_co_ci_u32 s37, s40, 0
	s_delay_alu instid0(SALU_CYCLE_1) | instskip(NEXT) | instid1(SALU_CYCLE_1)
	s_add_nc_u64 s[36:37], s[0:1], s[36:37]
	s_add_co_u32 s30, s30, s36
	s_cselect_b32 s0, -1, 0
	s_delay_alu instid0(SALU_CYCLE_1) | instskip(SKIP_1) | instid1(SALU_CYCLE_1)
	s_cmp_lg_u32 s0, 0
	s_add_co_ci_u32 s31, s31, s37
	s_mul_u64 s[34:35], s[34:35], s[30:31]
	s_delay_alu instid0(SALU_CYCLE_1)
	s_mul_hi_u32 s37, s30, s35
	s_mul_i32 s36, s30, s35
	s_mul_hi_u32 s0, s30, s34
	s_mul_i32 s33, s31, s34
	s_add_nc_u64 s[36:37], s[0:1], s[36:37]
	s_mul_hi_u32 s21, s31, s34
	s_mul_hi_u32 s38, s31, s35
	s_add_co_u32 s0, s36, s33
	s_add_co_ci_u32 s0, s37, s21
	s_mul_i32 s34, s31, s35
	s_add_co_ci_u32 s35, s38, 0
	s_delay_alu instid0(SALU_CYCLE_1) | instskip(NEXT) | instid1(SALU_CYCLE_1)
	s_add_nc_u64 s[34:35], s[0:1], s[34:35]
	s_add_co_u32 s30, s30, s34
	s_cselect_b32 s0, -1, 0
	v_mul_hi_u32 v52, v44, s30
	s_cmp_lg_u32 s0, 0
	s_add_co_ci_u32 s0, s31, s35
	s_and_b64 s[34:35], s[30:31], s[2:3]
	v_mul_u64_e32 v[46:47], s[0:1], v[44:45]
	v_mul_u64_e32 v[42:43], s[34:35], v[48:49]
	;; [unrolled: 1-line block ×3, first 2 shown]
	s_delay_alu instid0(VALU_DEP_3) | instskip(NEXT) | instid1(VALU_DEP_1)
	v_add_nc_u64_e32 v[46:47], v[52:53], v[46:47]
	v_add_co_u32 v9, vcc_lo, v46, v42
	s_delay_alu instid0(VALU_DEP_2) | instskip(NEXT) | instid1(VALU_DEP_4)
	v_add_co_ci_u32_e32 v52, vcc_lo, v47, v43, vcc_lo
	v_add_co_ci_u32_e32 v51, vcc_lo, 0, v51, vcc_lo
	s_delay_alu instid0(VALU_DEP_1) | instskip(NEXT) | instid1(VALU_DEP_1)
	v_add_nc_u64_e32 v[42:43], v[52:53], v[50:51]
	v_mul_u64_e32 v[46:47], s[22:23], v[42:43]
	s_delay_alu instid0(VALU_DEP_1) | instskip(NEXT) | instid1(VALU_DEP_2)
	v_sub_nc_u32_e32 v9, v48, v47
	v_sub_co_u32 v21, vcc_lo, v44, v46
	s_delay_alu instid0(VALU_DEP_1) | instskip(NEXT) | instid1(VALU_DEP_3)
	v_sub_co_ci_u32_e64 v31, null, v48, v47, vcc_lo
	v_subrev_co_ci_u32_e64 v9, null, s23, v9, vcc_lo
	s_delay_alu instid0(VALU_DEP_3) | instskip(SKIP_1) | instid1(VALU_DEP_3)
	v_sub_co_u32 v29, s0, v21, s22
	v_add_nc_u64_e32 v[46:47], 1, v[42:43]
	v_subrev_co_ci_u32_e64 v9, null, 0, v9, s0
	s_delay_alu instid0(VALU_DEP_3) | instskip(SKIP_1) | instid1(VALU_DEP_3)
	v_cmp_le_u32_e32 vcc_lo, s22, v29
	v_cndmask_b32_e64 v29, 0, -1, vcc_lo
	v_cmp_le_u32_e32 vcc_lo, s23, v9
	v_cndmask_b32_e64 v44, 0, -1, vcc_lo
	v_cmp_le_u32_e32 vcc_lo, s22, v21
	v_cndmask_b32_e64 v21, 0, -1, vcc_lo
	v_cmp_le_u32_e32 vcc_lo, s23, v31
	v_cndmask_b32_e64 v48, 0, -1, vcc_lo
	v_cmp_eq_u32_e32 vcc_lo, s23, v9
	v_cndmask_b32_e32 v9, v44, v29, vcc_lo
	v_cmp_eq_u32_e32 vcc_lo, s23, v31
	v_add_nc_u64_e32 v[44:45], 2, v[42:43]
	v_cndmask_b32_e32 v21, v48, v21, vcc_lo
	s_delay_alu instid0(VALU_DEP_4) | instskip(NEXT) | instid1(VALU_DEP_2)
	v_cmp_ne_u32_e32 vcc_lo, 0, v9
	v_cmp_ne_u32_e64 s0, 0, v21
	s_delay_alu instid0(VALU_DEP_4) | instskip(NEXT) | instid1(VALU_DEP_1)
	v_dual_cndmask_b32 v9, v47, v45, vcc_lo :: v_dual_cndmask_b32 v21, v46, v44, vcc_lo
	v_dual_cndmask_b32 v9, v43, v9, s0 :: v_dual_bitop2_b32 v30, s20, v30 bitop3:0x14
	s_delay_alu instid0(VALU_DEP_1) | instskip(NEXT) | instid1(VALU_DEP_1)
	v_dual_cndmask_b32 v21, v42, v21, s0 :: v_dual_bitop2_b32 v43, v9, v30 bitop3:0x14
	v_dual_mov_b32 v31, v30 :: v_dual_bitop2_b32 v42, v21, v30 bitop3:0x14
	s_delay_alu instid0(VALU_DEP_1)
	v_sub_nc_u64_e32 v[30:31], v[42:43], v[30:31]
.LBB169_15:                             ;   in Loop: Header=BB169_13 Depth=2
	s_and_not1_saveexec_b32 s0, s29
	s_cbranch_execz .LBB169_17
; %bb.16:                               ;   in Loop: Header=BB169_13 Depth=2
	v_cvt_f32_u32_e32 v9, s8
	v_mov_b32_e32 v31, v8
	s_delay_alu instid0(VALU_DEP_2) | instskip(SKIP_1) | instid1(TRANS32_DEP_1)
	v_rcp_iflag_f32_e32 v9, v9
	v_nop
	v_mul_f32_e32 v9, 0x4f7ffffe, v9
	s_delay_alu instid0(VALU_DEP_1) | instskip(NEXT) | instid1(VALU_DEP_1)
	v_cvt_u32_f32_e32 v9, v9
	v_mul_lo_u32 v21, s25, v9
	s_delay_alu instid0(VALU_DEP_1) | instskip(NEXT) | instid1(VALU_DEP_1)
	v_mul_hi_u32 v21, v9, v21
	v_add_nc_u32_e32 v9, v9, v21
	s_delay_alu instid0(VALU_DEP_1) | instskip(NEXT) | instid1(VALU_DEP_1)
	v_mul_hi_u32 v9, v28, v9
	v_mul_lo_u32 v21, v9, s8
	s_delay_alu instid0(VALU_DEP_1) | instskip(NEXT) | instid1(VALU_DEP_1)
	v_sub_nc_u32_e32 v21, v28, v21
	v_subrev_nc_u32_e32 v30, s8, v21
	v_cmp_le_u32_e32 vcc_lo, s8, v21
	s_delay_alu instid0(VALU_DEP_2) | instskip(NEXT) | instid1(VALU_DEP_1)
	v_dual_add_nc_u32 v29, 1, v9 :: v_dual_cndmask_b32 v21, v21, v30, vcc_lo
	v_cndmask_b32_e32 v9, v9, v29, vcc_lo
	s_delay_alu instid0(VALU_DEP_2) | instskip(NEXT) | instid1(VALU_DEP_2)
	v_cmp_le_u32_e32 vcc_lo, s8, v21
	v_add_nc_u32_e32 v29, 1, v9
	s_delay_alu instid0(VALU_DEP_1)
	v_cndmask_b32_e32 v30, v9, v29, vcc_lo
.LBB169_17:                             ;   in Loop: Header=BB169_13 Depth=2
	s_or_b32 exec_lo, exec_lo, s0
	s_delay_alu instid0(VALU_DEP_1) | instskip(SKIP_2) | instid1(SALU_CYCLE_1)
	v_cmp_ne_u64_e64 s0, v[30:31], v[14:15]
	v_cmp_eq_u64_e32 vcc_lo, v[30:31], v[14:15]
	s_and_saveexec_b32 s21, s0
	s_xor_b32 s0, exec_lo, s21
; %bb.18:                               ;   in Loop: Header=BB169_13 Depth=2
	v_min_i64 v[16:17], v[30:31], v[16:17]
                                        ; implicit-def: $vgpr28_vgpr29
                                        ; implicit-def: $vgpr26_vgpr27
; %bb.19:                               ;   in Loop: Header=BB169_13 Depth=2
	s_or_saveexec_b32 s0, s0
	v_mov_b64_e32 v[30:31], v[18:19]
	s_xor_b32 exec_lo, exec_lo, s0
	s_cbranch_execz .LBB169_12
; %bb.20:                               ;   in Loop: Header=BB169_13 Depth=2
	global_load_b128 v[42:45], v[22:23], off
	v_sub_nc_u32_e32 v9, v28, v20
	v_mov_b64_e32 v[30:31], v[26:27]
	s_delay_alu instid0(VALU_DEP_2)
	v_lshl_add_u32 v9, v9, 4, v33
	ds_store_b8 v32, v41 offset:4096
	s_wait_loadcnt 0x0
	ds_store_2addr_b64 v9, v[42:43], v[44:45] offset1:1
	s_branch .LBB169_12
.LBB169_21:                             ;   in Loop: Header=BB169_10 Depth=1
	s_or_b32 exec_lo, exec_lo, s28
.LBB169_22:                             ;   in Loop: Header=BB169_10 Depth=1
	s_delay_alu instid0(SALU_CYCLE_1)
	s_or_b32 exec_lo, exec_lo, s27
	ds_bpermute_b32 v18, v37, v30
	ds_bpermute_b32 v19, v37, v31
	s_wait_dscnt 0x0
	ds_load_u8 v9, v32 offset:4096
	s_mov_b32 s0, exec_lo
	v_min_i64 v[18:19], v[18:19], v[30:31]
	s_wait_dscnt 0x0
	v_and_b32_e32 v9, 1, v9
	ds_bpermute_b32 v20, v38, v18
	ds_bpermute_b32 v21, v38, v19
	s_wait_dscnt 0x0
	v_min_i64 v[18:19], v[20:21], v[18:19]
	v_mov_b64_e32 v[20:21], 0
	ds_bpermute_b32 v18, v35, v18
	ds_bpermute_b32 v19, v35, v19
	v_cmpx_eq_u32_e32 1, v9
	s_cbranch_execz .LBB169_9
; %bb.23:                               ;   in Loop: Header=BB169_10 Depth=1
	v_add_nc_u64_e32 v[14:15], s[12:13], v[14:15]
	v_lshl_add_u64 v[20:21], v[6:7], 3, s[4:5]
	global_store_b64 v[20:21], v[14:15], off
	s_wait_xcnt 0x0
	s_and_saveexec_b32 s21, s24
	s_cbranch_execz .LBB169_8
; %bb.24:                               ;   in Loop: Header=BB169_10 Depth=1
	v_mul_u64_e32 v[14:15], s[14:15], v[6:7]
	ds_load_2addr_b64 v[20:23], v34 offset1:1
	v_lshl_add_u64 v[14:15], v[14:15], 4, v[12:13]
	s_wait_dscnt 0x0
	global_store_b128 v[14:15], v[20:23], off
	s_branch .LBB169_8
.LBB169_25:
	s_endpgm
	.section	.rodata,"a",@progbits
	.p2align	6, 0x0
	.amdhsa_kernel _ZN9rocsparseL42csr2bsr_wavefront_per_row_multipass_kernelILj256ELj16ELj4E21rocsparse_complex_numIdEllEEv20rocsparse_direction_T4_S4_S4_S4_S4_21rocsparse_index_base_PKT2_PKT3_PKS4_S5_PS6_PS9_PS4_
		.amdhsa_group_segment_fixed_size 4112
		.amdhsa_private_segment_fixed_size 0
		.amdhsa_kernarg_size 112
		.amdhsa_user_sgpr_count 2
		.amdhsa_user_sgpr_dispatch_ptr 0
		.amdhsa_user_sgpr_queue_ptr 0
		.amdhsa_user_sgpr_kernarg_segment_ptr 1
		.amdhsa_user_sgpr_dispatch_id 0
		.amdhsa_user_sgpr_kernarg_preload_length 0
		.amdhsa_user_sgpr_kernarg_preload_offset 0
		.amdhsa_user_sgpr_private_segment_size 0
		.amdhsa_wavefront_size32 1
		.amdhsa_uses_dynamic_stack 0
		.amdhsa_enable_private_segment 0
		.amdhsa_system_sgpr_workgroup_id_x 1
		.amdhsa_system_sgpr_workgroup_id_y 0
		.amdhsa_system_sgpr_workgroup_id_z 0
		.amdhsa_system_sgpr_workgroup_info 0
		.amdhsa_system_vgpr_workitem_id 0
		.amdhsa_next_free_vgpr 54
		.amdhsa_next_free_sgpr 41
		.amdhsa_named_barrier_count 0
		.amdhsa_reserve_vcc 1
		.amdhsa_float_round_mode_32 0
		.amdhsa_float_round_mode_16_64 0
		.amdhsa_float_denorm_mode_32 3
		.amdhsa_float_denorm_mode_16_64 3
		.amdhsa_fp16_overflow 0
		.amdhsa_memory_ordered 1
		.amdhsa_forward_progress 1
		.amdhsa_inst_pref_size 17
		.amdhsa_round_robin_scheduling 0
		.amdhsa_exception_fp_ieee_invalid_op 0
		.amdhsa_exception_fp_denorm_src 0
		.amdhsa_exception_fp_ieee_div_zero 0
		.amdhsa_exception_fp_ieee_overflow 0
		.amdhsa_exception_fp_ieee_underflow 0
		.amdhsa_exception_fp_ieee_inexact 0
		.amdhsa_exception_int_div_zero 0
	.end_amdhsa_kernel
	.section	.text._ZN9rocsparseL42csr2bsr_wavefront_per_row_multipass_kernelILj256ELj16ELj4E21rocsparse_complex_numIdEllEEv20rocsparse_direction_T4_S4_S4_S4_S4_21rocsparse_index_base_PKT2_PKT3_PKS4_S5_PS6_PS9_PS4_,"axG",@progbits,_ZN9rocsparseL42csr2bsr_wavefront_per_row_multipass_kernelILj256ELj16ELj4E21rocsparse_complex_numIdEllEEv20rocsparse_direction_T4_S4_S4_S4_S4_21rocsparse_index_base_PKT2_PKT3_PKS4_S5_PS6_PS9_PS4_,comdat
.Lfunc_end169:
	.size	_ZN9rocsparseL42csr2bsr_wavefront_per_row_multipass_kernelILj256ELj16ELj4E21rocsparse_complex_numIdEllEEv20rocsparse_direction_T4_S4_S4_S4_S4_21rocsparse_index_base_PKT2_PKT3_PKS4_S5_PS6_PS9_PS4_, .Lfunc_end169-_ZN9rocsparseL42csr2bsr_wavefront_per_row_multipass_kernelILj256ELj16ELj4E21rocsparse_complex_numIdEllEEv20rocsparse_direction_T4_S4_S4_S4_S4_21rocsparse_index_base_PKT2_PKT3_PKS4_S5_PS6_PS9_PS4_
                                        ; -- End function
	.set _ZN9rocsparseL42csr2bsr_wavefront_per_row_multipass_kernelILj256ELj16ELj4E21rocsparse_complex_numIdEllEEv20rocsparse_direction_T4_S4_S4_S4_S4_21rocsparse_index_base_PKT2_PKT3_PKS4_S5_PS6_PS9_PS4_.num_vgpr, 54
	.set _ZN9rocsparseL42csr2bsr_wavefront_per_row_multipass_kernelILj256ELj16ELj4E21rocsparse_complex_numIdEllEEv20rocsparse_direction_T4_S4_S4_S4_S4_21rocsparse_index_base_PKT2_PKT3_PKS4_S5_PS6_PS9_PS4_.num_agpr, 0
	.set _ZN9rocsparseL42csr2bsr_wavefront_per_row_multipass_kernelILj256ELj16ELj4E21rocsparse_complex_numIdEllEEv20rocsparse_direction_T4_S4_S4_S4_S4_21rocsparse_index_base_PKT2_PKT3_PKS4_S5_PS6_PS9_PS4_.numbered_sgpr, 41
	.set _ZN9rocsparseL42csr2bsr_wavefront_per_row_multipass_kernelILj256ELj16ELj4E21rocsparse_complex_numIdEllEEv20rocsparse_direction_T4_S4_S4_S4_S4_21rocsparse_index_base_PKT2_PKT3_PKS4_S5_PS6_PS9_PS4_.num_named_barrier, 0
	.set _ZN9rocsparseL42csr2bsr_wavefront_per_row_multipass_kernelILj256ELj16ELj4E21rocsparse_complex_numIdEllEEv20rocsparse_direction_T4_S4_S4_S4_S4_21rocsparse_index_base_PKT2_PKT3_PKS4_S5_PS6_PS9_PS4_.private_seg_size, 0
	.set _ZN9rocsparseL42csr2bsr_wavefront_per_row_multipass_kernelILj256ELj16ELj4E21rocsparse_complex_numIdEllEEv20rocsparse_direction_T4_S4_S4_S4_S4_21rocsparse_index_base_PKT2_PKT3_PKS4_S5_PS6_PS9_PS4_.uses_vcc, 1
	.set _ZN9rocsparseL42csr2bsr_wavefront_per_row_multipass_kernelILj256ELj16ELj4E21rocsparse_complex_numIdEllEEv20rocsparse_direction_T4_S4_S4_S4_S4_21rocsparse_index_base_PKT2_PKT3_PKS4_S5_PS6_PS9_PS4_.uses_flat_scratch, 0
	.set _ZN9rocsparseL42csr2bsr_wavefront_per_row_multipass_kernelILj256ELj16ELj4E21rocsparse_complex_numIdEllEEv20rocsparse_direction_T4_S4_S4_S4_S4_21rocsparse_index_base_PKT2_PKT3_PKS4_S5_PS6_PS9_PS4_.has_dyn_sized_stack, 0
	.set _ZN9rocsparseL42csr2bsr_wavefront_per_row_multipass_kernelILj256ELj16ELj4E21rocsparse_complex_numIdEllEEv20rocsparse_direction_T4_S4_S4_S4_S4_21rocsparse_index_base_PKT2_PKT3_PKS4_S5_PS6_PS9_PS4_.has_recursion, 0
	.set _ZN9rocsparseL42csr2bsr_wavefront_per_row_multipass_kernelILj256ELj16ELj4E21rocsparse_complex_numIdEllEEv20rocsparse_direction_T4_S4_S4_S4_S4_21rocsparse_index_base_PKT2_PKT3_PKS4_S5_PS6_PS9_PS4_.has_indirect_call, 0
	.section	.AMDGPU.csdata,"",@progbits
; Kernel info:
; codeLenInByte = 2124
; TotalNumSgprs: 43
; NumVgprs: 54
; ScratchSize: 0
; MemoryBound: 0
; FloatMode: 240
; IeeeMode: 1
; LDSByteSize: 4112 bytes/workgroup (compile time only)
; SGPRBlocks: 0
; VGPRBlocks: 3
; NumSGPRsForWavesPerEU: 43
; NumVGPRsForWavesPerEU: 54
; NamedBarCnt: 0
; Occupancy: 16
; WaveLimiterHint : 0
; COMPUTE_PGM_RSRC2:SCRATCH_EN: 0
; COMPUTE_PGM_RSRC2:USER_SGPR: 2
; COMPUTE_PGM_RSRC2:TRAP_HANDLER: 0
; COMPUTE_PGM_RSRC2:TGID_X_EN: 1
; COMPUTE_PGM_RSRC2:TGID_Y_EN: 0
; COMPUTE_PGM_RSRC2:TGID_Z_EN: 0
; COMPUTE_PGM_RSRC2:TIDIG_COMP_CNT: 0
	.section	.text._ZN9rocsparseL42csr2bsr_wavefront_per_row_multipass_kernelILj256ELj64ELj8E21rocsparse_complex_numIdEllEEv20rocsparse_direction_T4_S4_S4_S4_S4_21rocsparse_index_base_PKT2_PKT3_PKS4_S5_PS6_PS9_PS4_,"axG",@progbits,_ZN9rocsparseL42csr2bsr_wavefront_per_row_multipass_kernelILj256ELj64ELj8E21rocsparse_complex_numIdEllEEv20rocsparse_direction_T4_S4_S4_S4_S4_21rocsparse_index_base_PKT2_PKT3_PKS4_S5_PS6_PS9_PS4_,comdat
	.globl	_ZN9rocsparseL42csr2bsr_wavefront_per_row_multipass_kernelILj256ELj64ELj8E21rocsparse_complex_numIdEllEEv20rocsparse_direction_T4_S4_S4_S4_S4_21rocsparse_index_base_PKT2_PKT3_PKS4_S5_PS6_PS9_PS4_ ; -- Begin function _ZN9rocsparseL42csr2bsr_wavefront_per_row_multipass_kernelILj256ELj64ELj8E21rocsparse_complex_numIdEllEEv20rocsparse_direction_T4_S4_S4_S4_S4_21rocsparse_index_base_PKT2_PKT3_PKS4_S5_PS6_PS9_PS4_
	.p2align	8
	.type	_ZN9rocsparseL42csr2bsr_wavefront_per_row_multipass_kernelILj256ELj64ELj8E21rocsparse_complex_numIdEllEEv20rocsparse_direction_T4_S4_S4_S4_S4_21rocsparse_index_base_PKT2_PKT3_PKS4_S5_PS6_PS9_PS4_,@function
_ZN9rocsparseL42csr2bsr_wavefront_per_row_multipass_kernelILj256ELj64ELj8E21rocsparse_complex_numIdEllEEv20rocsparse_direction_T4_S4_S4_S4_S4_21rocsparse_index_base_PKT2_PKT3_PKS4_S5_PS6_PS9_PS4_: ; @_ZN9rocsparseL42csr2bsr_wavefront_per_row_multipass_kernelILj256ELj64ELj8E21rocsparse_complex_numIdEllEEv20rocsparse_direction_T4_S4_S4_S4_S4_21rocsparse_index_base_PKT2_PKT3_PKS4_S5_PS6_PS9_PS4_
; %bb.0:
	s_bfe_u32 s2, ttmp6, 0x4000c
	s_clause 0x1
	s_load_b96 s[8:10], s[0:1], 0x28
	s_load_b64 s[12:13], s[0:1], 0x40
	s_add_co_i32 s2, s2, 1
	s_and_b32 s3, ttmp6, 15
	s_mul_i32 s2, ttmp9, s2
	s_getreg_b32 s4, hwreg(HW_REG_IB_STS2, 6, 4)
	s_add_co_i32 s3, s3, s2
	s_cmp_eq_u32 s4, 0
	v_dual_mov_b32 v3, 0 :: v_dual_lshrrev_b32 v32, 6, v0
	s_cselect_b32 s14, ttmp9, s3
	v_bfe_u32 v2, v0, 3, 3
	s_ashr_i32 s15, s14, 31
	v_mov_b64_e32 v[18:19], 0
	s_lshl_b64 s[2:3], s[14:15], 2
	s_mov_b32 s11, 0
	v_or_b32_e32 v1, s2, v32
	s_load_b128 s[4:7], s[0:1], 0x18
	s_wait_kmcnt 0x0
	s_delay_alu instid0(VALU_DEP_1) | instskip(NEXT) | instid1(VALU_DEP_1)
	v_mad_nc_u64_u32 v[6:7], v1, s8, v[2:3]
	v_mad_u32 v4, s3, s8, v7
	s_load_b64 s[2:3], s[0:1], 0x8
	s_delay_alu instid0(VALU_DEP_1) | instskip(SKIP_2) | instid1(VALU_DEP_2)
	v_mad_u32 v7, v1, s9, v4
	v_mov_b64_e32 v[4:5], 0
	s_wait_kmcnt 0x0
	v_cmp_gt_i64_e32 vcc_lo, s[2:3], v[6:7]
	v_cmp_gt_i64_e64 s2, s[8:9], v[2:3]
	s_and_b32 s3, s2, vcc_lo
	s_delay_alu instid0(SALU_CYCLE_1)
	s_and_saveexec_b32 s15, s3
	s_cbranch_execz .LBB170_2
; %bb.1:
	v_lshl_add_u64 v[8:9], v[6:7], 3, s[12:13]
	global_load_b64 v[8:9], v[8:9], off
	s_wait_loadcnt 0x0
	v_sub_nc_u64_e64 v[18:19], v[8:9], s[10:11]
.LBB170_2:
	s_or_b32 exec_lo, exec_lo, s15
	s_and_saveexec_b32 s15, s3
	s_cbranch_execz .LBB170_4
; %bb.3:
	v_lshl_add_u64 v[4:5], v[6:7], 3, s[12:13]
	global_load_b64 v[4:5], v[4:5], off offset:8
	s_wait_loadcnt 0x0
	v_sub_nc_u64_e64 v[4:5], v[4:5], s[10:11]
.LBB170_4:
	s_or_b32 exec_lo, exec_lo, s15
	s_load_b32 s12, s[0:1], 0x50
	v_mov_b64_e32 v[6:7], 0
	v_lshl_or_b32 v8, s14, 2, v32
	v_mov_b32_e32 v9, 0
	s_mov_b32 s3, exec_lo
	s_delay_alu instid0(VALU_DEP_1)
	v_cmpx_gt_i64_e64 s[4:5], v[8:9]
	s_cbranch_execz .LBB170_6
; %bb.5:
	s_load_b64 s[4:5], s[0:1], 0x60
	s_mov_b32 s13, 0
	s_wait_kmcnt 0x0
	v_lshl_add_u64 v[6:7], v[8:9], 3, s[4:5]
	global_load_b64 v[6:7], v[6:7], off
	s_wait_loadcnt 0x0
	v_sub_nc_u64_e64 v[6:7], v[6:7], s[12:13]
.LBB170_6:
	s_or_b32 exec_lo, exec_lo, s3
	v_cmp_lt_i64_e64 s3, s[6:7], 1
	s_and_b32 vcc_lo, exec_lo, s3
	s_cbranch_vccnz .LBB170_25
; %bb.7:
	v_dual_mov_b32 v8, 0 :: v_dual_bitop2_b32 v10, 7, v0 bitop3:0x40
	v_and_b32_e32 v9, 0x3c0, v0
	v_mul_u64_e32 v[12:13], s[8:9], v[2:3]
	v_mbcnt_lo_u32_b32 v16, -1, 0
	s_delay_alu instid0(VALU_DEP_4)
	v_dual_mov_b32 v11, v8 :: v_dual_lshlrev_b32 v14, 7, v2
	v_lshlrev_b32_e32 v2, 4, v2
	s_clause 0x3
	s_load_b64 s[20:21], s[0:1], 0x58
	s_load_b64 s[16:17], s[0:1], 0x48
	;; [unrolled: 1-line block ×3, first 2 shown]
	s_load_b32 s3, s[0:1], 0x0
	v_dual_mov_b32 v3, v8 :: v_dual_bitop2_b32 v20, 1, v16 bitop3:0x14
	v_mul_u64_e32 v[0:1], s[8:9], v[10:11]
	v_lshl_or_b32 v33, v9, 4, v14
	v_dual_lshlrev_b32 v14, 4, v10 :: v_dual_bitop2_b32 v9, 4, v16 bitop3:0x14
	v_dual_mov_b32 v15, v8 :: v_dual_bitop2_b32 v17, 2, v16 bitop3:0x14
	v_or_b32_e32 v21, 32, v16
	s_delay_alu instid0(VALU_DEP_3)
	v_cmp_gt_i32_e32 vcc_lo, 32, v9
	v_xor_b32_e32 v22, 16, v16
	s_load_b64 s[4:5], s[0:1], 0x68
	v_lshl_or_b32 v34, v16, 2, 28
	s_wait_xcnt 0x0
	v_cmp_gt_i32_e64 s0, 32, v21
	v_cndmask_b32_e32 v9, v16, v9, vcc_lo
	v_cmp_gt_i32_e32 vcc_lo, 32, v17
	v_xor_b32_e32 v23, 8, v16
	v_bfrev_b32_e32 v42, 0.5
	v_cndmask_b32_e64 v21, v16, v21, s0
	v_cmp_gt_i32_e64 s0, 32, v22
	v_cndmask_b32_e32 v17, v16, v17, vcc_lo
	v_cmp_gt_i32_e32 vcc_lo, 32, v20
	v_or_b32_e32 v35, v33, v14
	s_mov_b32 s1, 0
	v_dual_cndmask_b32 v22, v16, v22, s0 :: v_dual_lshlrev_b32 v39, 2, v21
	v_cndmask_b32_e32 v20, v16, v20, vcc_lo
	v_cmp_gt_i64_e32 vcc_lo, s[8:9], v[10:11]
	s_wait_kmcnt 0x0
	v_lshl_add_u64 v[12:13], v[12:13], 4, s[20:21]
	v_dual_lshlrev_b32 v36, 2, v9 :: v_dual_lshlrev_b32 v40, 2, v22
	v_lshlrev_b32_e32 v38, 2, v20
	s_mul_u64 s[14:15], s[8:9], s[8:9]
	s_mov_b32 s11, s1
	v_lshl_add_u64 v[0:1], v[0:1], 4, s[20:21]
	s_and_b32 s24, s2, vcc_lo
	v_cmp_gt_i32_e32 vcc_lo, 32, v23
	v_lshlrev_b32_e32 v37, 2, v17
	s_cmp_eq_u32 s3, 0
	v_add_nc_u64_e32 v[0:1], v[0:1], v[2:3]
	v_add_nc_u64_e32 v[2:3], v[12:13], v[14:15]
	v_cndmask_b32_e32 v9, v16, v23, vcc_lo
	s_cselect_b32 vcc_lo, -1, 0
	v_mov_b64_e32 v[14:15], 0
	s_mov_b32 s13, s1
	s_delay_alu instid0(VALU_DEP_2) | instskip(NEXT) | instid1(VALU_DEP_4)
	v_dual_mov_b32 v43, 1 :: v_dual_lshlrev_b32 v41, 2, v9
	v_dual_cndmask_b32 v13, v1, v3 :: v_dual_cndmask_b32 v12, v0, v2
	v_dual_mov_b32 v0, 0 :: v_dual_mov_b32 v1, v8
	v_dual_mov_b32 v2, v8 :: v_dual_mov_b32 v3, v8
	s_mov_b64 s[2:3], 0xffffffff
	s_ashr_i32 s20, s9, 31
	s_sub_co_i32 s25, 0, s8
	s_mov_b32 s26, 0
	s_branch .LBB170_10
.LBB170_8:                              ;   in Loop: Header=BB170_10 Depth=1
	s_wait_xcnt 0x0
	s_or_b32 exec_lo, exec_lo, s21
	v_mov_b64_e32 v[20:21], 1
.LBB170_9:                              ;   in Loop: Header=BB170_10 Depth=1
	s_or_b32 exec_lo, exec_lo, s0
	ds_bpermute_b32 v14, v39, v16
	ds_bpermute_b32 v15, v39, v17
	v_add_nc_u64_e32 v[6:7], v[20:21], v[6:7]
	s_wait_storecnt_dscnt 0x0
	v_min_i64 v[14:15], v[14:15], v[16:17]
	ds_bpermute_b32 v16, v40, v14
	ds_bpermute_b32 v17, v40, v15
	s_wait_dscnt 0x0
	v_min_i64 v[14:15], v[16:17], v[14:15]
	ds_bpermute_b32 v16, v41, v14
	ds_bpermute_b32 v17, v41, v15
	s_wait_dscnt 0x0
	;; [unrolled: 4-line block ×6, first 2 shown]
	v_cmp_le_i64_e32 vcc_lo, s[6:7], v[14:15]
	s_or_b32 s26, vcc_lo, s26
	s_delay_alu instid0(SALU_CYCLE_1)
	s_and_not1_b32 exec_lo, exec_lo, s26
	s_cbranch_execz .LBB170_25
.LBB170_10:                             ; =>This Loop Header: Depth=1
                                        ;     Child Loop BB170_13 Depth 2
	v_add_nc_u64_e32 v[18:19], v[18:19], v[10:11]
	v_mov_b64_e32 v[16:17], s[6:7]
	v_mov_b64_e32 v[30:31], v[4:5]
	s_mov_b32 s27, exec_lo
	ds_store_b8 v32, v8 offset:4096
	ds_store_b128 v35, v[0:3]
	s_wait_dscnt 0x0
	v_cmpx_lt_i64_e64 v[18:19], v[4:5]
	s_cbranch_execz .LBB170_22
; %bb.11:                               ;   in Loop: Header=BB170_10 Depth=1
	v_mul_u64_e32 v[20:21], s[8:9], v[14:15]
	v_mov_b64_e32 v[16:17], s[6:7]
	v_mov_b64_e32 v[26:27], v[4:5]
	v_lshl_add_u64 v[22:23], v[18:19], 4, s[18:19]
	v_lshl_add_u64 v[24:25], v[18:19], 3, s[16:17]
	s_mov_b32 s28, 0
	s_branch .LBB170_13
.LBB170_12:                             ;   in Loop: Header=BB170_13 Depth=2
	s_wait_xcnt 0x0
	s_or_b32 exec_lo, exec_lo, s0
	v_add_nc_u64_e32 v[18:19], 8, v[18:19]
	s_xor_b32 s21, vcc_lo, -1
	v_add_nc_u64_e32 v[22:23], 0x80, v[22:23]
	v_add_nc_u64_e32 v[24:25], 64, v[24:25]
	v_mov_b64_e32 v[26:27], v[30:31]
	s_delay_alu instid0(VALU_DEP_4) | instskip(SKIP_1) | instid1(SALU_CYCLE_1)
	v_cmp_ge_i64_e64 s0, v[18:19], v[4:5]
	s_or_b32 s0, s21, s0
	s_and_b32 s0, exec_lo, s0
	s_delay_alu instid0(SALU_CYCLE_1) | instskip(NEXT) | instid1(SALU_CYCLE_1)
	s_or_b32 s28, s0, s28
	s_and_not1_b32 exec_lo, exec_lo, s28
	s_cbranch_execz .LBB170_21
.LBB170_13:                             ;   Parent Loop BB170_10 Depth=1
                                        ; =>  This Inner Loop Header: Depth=2
	global_load_b64 v[28:29], v[24:25], off
                                        ; implicit-def: $vgpr30_vgpr31
	s_mov_b32 s0, exec_lo
	s_wait_loadcnt 0x0
	v_sub_nc_u64_e64 v[28:29], v[28:29], s[10:11]
	s_delay_alu instid0(VALU_DEP_1) | instskip(SKIP_1) | instid1(VALU_DEP_1)
	v_or_b32_e32 v9, s9, v29
	s_wait_xcnt 0x0
	v_cmpx_ne_u64_e32 0, v[8:9]
	s_xor_b32 s29, exec_lo, s0
	s_cbranch_execz .LBB170_15
; %bb.14:                               ;   in Loop: Header=BB170_13 Depth=2
	s_mov_b32 s21, s20
	v_dual_mov_b32 v47, v8 :: v_dual_ashrrev_i32 v30, 31, v29
	s_add_nc_u64 s[22:23], s[8:9], s[20:21]
	s_delay_alu instid0(SALU_CYCLE_1) | instskip(NEXT) | instid1(VALU_DEP_1)
	s_xor_b64 s[22:23], s[22:23], s[20:21]
	v_mov_b32_e32 v31, v30
	s_cvt_f32_u32 s0, s22
	s_cvt_f32_u32 s21, s23
	s_sub_nc_u64 s[34:35], 0, s[22:23]
	s_delay_alu instid0(VALU_DEP_1) | instskip(NEXT) | instid1(SALU_CYCLE_1)
	v_add_nc_u64_e32 v[44:45], v[28:29], v[30:31]
	s_fmamk_f32 s0, s21, 0x4f800000, s0
	v_mov_b32_e32 v51, v8
	s_delay_alu instid0(SALU_CYCLE_2) | instskip(NEXT) | instid1(VALU_DEP_2)
	v_s_rcp_f32 s0, s0
	v_xor_b32_e32 v46, v44, v30
	s_delay_alu instid0(VALU_DEP_3) | instskip(NEXT) | instid1(TRANS32_DEP_1)
	v_dual_mov_b32 v55, v8 :: v_dual_bitop2_b32 v50, v45, v30 bitop3:0x14
	s_mul_f32 s0, s0, 0x5f7ffffc
	s_delay_alu instid0(SALU_CYCLE_3) | instskip(NEXT) | instid1(SALU_CYCLE_3)
	s_mul_f32 s21, s0, 0x2f800000
	s_trunc_f32 s21, s21
	s_delay_alu instid0(SALU_CYCLE_3) | instskip(SKIP_1) | instid1(SALU_CYCLE_2)
	s_fmamk_f32 s0, s21, 0xcf800000, s0
	s_cvt_u32_f32 s31, s21
	s_cvt_u32_f32 s30, s0
	s_delay_alu instid0(SALU_CYCLE_3) | instskip(NEXT) | instid1(SALU_CYCLE_1)
	s_mul_u64 s[36:37], s[34:35], s[30:31]
	s_mul_hi_u32 s39, s30, s37
	s_mul_i32 s38, s30, s37
	s_mul_hi_u32 s0, s30, s36
	s_mul_i32 s33, s31, s36
	s_add_nc_u64 s[38:39], s[0:1], s[38:39]
	s_mul_hi_u32 s21, s31, s36
	s_mul_hi_u32 s40, s31, s37
	s_add_co_u32 s0, s38, s33
	s_add_co_ci_u32 s0, s39, s21
	s_mul_i32 s36, s31, s37
	s_add_co_ci_u32 s37, s40, 0
	s_delay_alu instid0(SALU_CYCLE_1) | instskip(NEXT) | instid1(SALU_CYCLE_1)
	s_add_nc_u64 s[36:37], s[0:1], s[36:37]
	s_add_co_u32 s30, s30, s36
	s_cselect_b32 s0, -1, 0
	s_delay_alu instid0(SALU_CYCLE_1) | instskip(SKIP_1) | instid1(SALU_CYCLE_1)
	s_cmp_lg_u32 s0, 0
	s_add_co_ci_u32 s31, s31, s37
	s_mul_u64 s[34:35], s[34:35], s[30:31]
	s_delay_alu instid0(SALU_CYCLE_1)
	s_mul_hi_u32 s37, s30, s35
	s_mul_i32 s36, s30, s35
	s_mul_hi_u32 s0, s30, s34
	s_mul_i32 s33, s31, s34
	s_add_nc_u64 s[36:37], s[0:1], s[36:37]
	s_mul_hi_u32 s21, s31, s34
	s_mul_hi_u32 s38, s31, s35
	s_add_co_u32 s0, s36, s33
	s_add_co_ci_u32 s0, s37, s21
	s_mul_i32 s34, s31, s35
	s_add_co_ci_u32 s35, s38, 0
	s_delay_alu instid0(SALU_CYCLE_1) | instskip(NEXT) | instid1(SALU_CYCLE_1)
	s_add_nc_u64 s[34:35], s[0:1], s[34:35]
	s_add_co_u32 s30, s30, s34
	s_cselect_b32 s0, -1, 0
	v_mul_hi_u32 v54, v46, s30
	s_cmp_lg_u32 s0, 0
	s_add_co_ci_u32 s0, s31, s35
	s_and_b64 s[34:35], s[30:31], s[2:3]
	v_mul_u64_e32 v[48:49], s[0:1], v[46:47]
	v_mul_u64_e32 v[44:45], s[34:35], v[50:51]
	;; [unrolled: 1-line block ×3, first 2 shown]
	s_delay_alu instid0(VALU_DEP_3) | instskip(NEXT) | instid1(VALU_DEP_1)
	v_add_nc_u64_e32 v[48:49], v[54:55], v[48:49]
	v_add_co_u32 v9, vcc_lo, v48, v44
	s_delay_alu instid0(VALU_DEP_2) | instskip(NEXT) | instid1(VALU_DEP_4)
	v_add_co_ci_u32_e32 v54, vcc_lo, v49, v45, vcc_lo
	v_add_co_ci_u32_e32 v53, vcc_lo, 0, v53, vcc_lo
	s_delay_alu instid0(VALU_DEP_1) | instskip(NEXT) | instid1(VALU_DEP_1)
	v_add_nc_u64_e32 v[44:45], v[54:55], v[52:53]
	v_mul_u64_e32 v[48:49], s[22:23], v[44:45]
	s_delay_alu instid0(VALU_DEP_1) | instskip(NEXT) | instid1(VALU_DEP_2)
	v_sub_nc_u32_e32 v9, v50, v49
	v_sub_co_u32 v21, vcc_lo, v46, v48
	s_delay_alu instid0(VALU_DEP_1) | instskip(NEXT) | instid1(VALU_DEP_3)
	v_sub_co_ci_u32_e64 v31, null, v50, v49, vcc_lo
	v_subrev_co_ci_u32_e64 v9, null, s23, v9, vcc_lo
	s_delay_alu instid0(VALU_DEP_3) | instskip(SKIP_1) | instid1(VALU_DEP_3)
	v_sub_co_u32 v29, s0, v21, s22
	v_add_nc_u64_e32 v[48:49], 1, v[44:45]
	v_subrev_co_ci_u32_e64 v9, null, 0, v9, s0
	s_delay_alu instid0(VALU_DEP_3) | instskip(SKIP_1) | instid1(VALU_DEP_3)
	v_cmp_le_u32_e32 vcc_lo, s22, v29
	v_cndmask_b32_e64 v29, 0, -1, vcc_lo
	v_cmp_le_u32_e32 vcc_lo, s23, v9
	v_cndmask_b32_e64 v46, 0, -1, vcc_lo
	;; [unrolled: 2-line block ×4, first 2 shown]
	v_cmp_eq_u32_e32 vcc_lo, s23, v9
	v_cndmask_b32_e32 v9, v46, v29, vcc_lo
	v_cmp_eq_u32_e32 vcc_lo, s23, v31
	v_add_nc_u64_e32 v[46:47], 2, v[44:45]
	v_cndmask_b32_e32 v21, v50, v21, vcc_lo
	s_delay_alu instid0(VALU_DEP_4) | instskip(NEXT) | instid1(VALU_DEP_3)
	v_cmp_ne_u32_e32 vcc_lo, 0, v9
	v_cndmask_b32_e32 v9, v49, v47, vcc_lo
	s_delay_alu instid0(VALU_DEP_3) | instskip(SKIP_1) | instid1(VALU_DEP_2)
	v_cmp_ne_u32_e64 s0, 0, v21
	v_cndmask_b32_e32 v21, v48, v46, vcc_lo
	v_dual_cndmask_b32 v9, v45, v9, s0 :: v_dual_bitop2_b32 v30, s20, v30 bitop3:0x14
	s_delay_alu instid0(VALU_DEP_1) | instskip(NEXT) | instid1(VALU_DEP_2)
	v_dual_cndmask_b32 v21, v44, v21, s0 :: v_dual_mov_b32 v31, v30
	v_xor_b32_e32 v45, v9, v30
	s_delay_alu instid0(VALU_DEP_2) | instskip(NEXT) | instid1(VALU_DEP_1)
	v_xor_b32_e32 v44, v21, v30
	v_sub_nc_u64_e32 v[30:31], v[44:45], v[30:31]
.LBB170_15:                             ;   in Loop: Header=BB170_13 Depth=2
	s_and_not1_saveexec_b32 s0, s29
	s_cbranch_execz .LBB170_17
; %bb.16:                               ;   in Loop: Header=BB170_13 Depth=2
	v_cvt_f32_u32_e32 v9, s8
	v_mov_b32_e32 v31, v8
	s_delay_alu instid0(VALU_DEP_2) | instskip(SKIP_1) | instid1(TRANS32_DEP_1)
	v_rcp_iflag_f32_e32 v9, v9
	v_nop
	v_mul_f32_e32 v9, 0x4f7ffffe, v9
	s_delay_alu instid0(VALU_DEP_1) | instskip(NEXT) | instid1(VALU_DEP_1)
	v_cvt_u32_f32_e32 v9, v9
	v_mul_lo_u32 v21, s25, v9
	s_delay_alu instid0(VALU_DEP_1) | instskip(NEXT) | instid1(VALU_DEP_1)
	v_mul_hi_u32 v21, v9, v21
	v_add_nc_u32_e32 v9, v9, v21
	s_delay_alu instid0(VALU_DEP_1) | instskip(NEXT) | instid1(VALU_DEP_1)
	v_mul_hi_u32 v9, v28, v9
	v_mul_lo_u32 v21, v9, s8
	s_delay_alu instid0(VALU_DEP_1) | instskip(NEXT) | instid1(VALU_DEP_1)
	v_sub_nc_u32_e32 v21, v28, v21
	v_subrev_nc_u32_e32 v30, s8, v21
	v_cmp_le_u32_e32 vcc_lo, s8, v21
	s_delay_alu instid0(VALU_DEP_2) | instskip(NEXT) | instid1(VALU_DEP_1)
	v_dual_add_nc_u32 v29, 1, v9 :: v_dual_cndmask_b32 v21, v21, v30, vcc_lo
	v_cndmask_b32_e32 v9, v9, v29, vcc_lo
	s_delay_alu instid0(VALU_DEP_2) | instskip(NEXT) | instid1(VALU_DEP_2)
	v_cmp_le_u32_e32 vcc_lo, s8, v21
	v_add_nc_u32_e32 v29, 1, v9
	s_delay_alu instid0(VALU_DEP_1)
	v_cndmask_b32_e32 v30, v9, v29, vcc_lo
.LBB170_17:                             ;   in Loop: Header=BB170_13 Depth=2
	s_or_b32 exec_lo, exec_lo, s0
	s_delay_alu instid0(VALU_DEP_1) | instskip(SKIP_2) | instid1(SALU_CYCLE_1)
	v_cmp_ne_u64_e64 s0, v[30:31], v[14:15]
	v_cmp_eq_u64_e32 vcc_lo, v[30:31], v[14:15]
	s_and_saveexec_b32 s21, s0
	s_xor_b32 s0, exec_lo, s21
; %bb.18:                               ;   in Loop: Header=BB170_13 Depth=2
	v_min_i64 v[16:17], v[30:31], v[16:17]
                                        ; implicit-def: $vgpr28_vgpr29
                                        ; implicit-def: $vgpr26_vgpr27
; %bb.19:                               ;   in Loop: Header=BB170_13 Depth=2
	s_or_saveexec_b32 s0, s0
	v_mov_b64_e32 v[30:31], v[18:19]
	s_xor_b32 exec_lo, exec_lo, s0
	s_cbranch_execz .LBB170_12
; %bb.20:                               ;   in Loop: Header=BB170_13 Depth=2
	global_load_b128 v[44:47], v[22:23], off
	v_sub_nc_u32_e32 v9, v28, v20
	v_mov_b64_e32 v[30:31], v[26:27]
	s_delay_alu instid0(VALU_DEP_2)
	v_lshl_add_u32 v9, v9, 4, v33
	ds_store_b8 v32, v43 offset:4096
	s_wait_loadcnt 0x0
	ds_store_2addr_b64 v9, v[44:45], v[46:47] offset1:1
	s_branch .LBB170_12
.LBB170_21:                             ;   in Loop: Header=BB170_10 Depth=1
	s_or_b32 exec_lo, exec_lo, s28
.LBB170_22:                             ;   in Loop: Header=BB170_10 Depth=1
	s_delay_alu instid0(SALU_CYCLE_1)
	s_or_b32 exec_lo, exec_lo, s27
	ds_bpermute_b32 v18, v36, v30
	ds_bpermute_b32 v19, v36, v31
	s_wait_dscnt 0x0
	ds_load_u8 v9, v32 offset:4096
	s_mov_b32 s0, exec_lo
	v_min_i64 v[18:19], v[18:19], v[30:31]
	s_wait_dscnt 0x0
	v_and_b32_e32 v9, 1, v9
	ds_bpermute_b32 v20, v37, v18
	ds_bpermute_b32 v21, v37, v19
	s_wait_dscnt 0x0
	v_min_i64 v[18:19], v[20:21], v[18:19]
	ds_bpermute_b32 v20, v38, v18
	ds_bpermute_b32 v21, v38, v19
	s_wait_dscnt 0x0
	v_min_i64 v[18:19], v[20:21], v[18:19]
	v_mov_b64_e32 v[20:21], 0
	ds_bpermute_b32 v18, v34, v18
	ds_bpermute_b32 v19, v34, v19
	v_cmpx_eq_u32_e32 1, v9
	s_cbranch_execz .LBB170_9
; %bb.23:                               ;   in Loop: Header=BB170_10 Depth=1
	v_add_nc_u64_e32 v[14:15], s[12:13], v[14:15]
	v_lshl_add_u64 v[20:21], v[6:7], 3, s[4:5]
	global_store_b64 v[20:21], v[14:15], off
	s_wait_xcnt 0x0
	s_and_saveexec_b32 s21, s24
	s_cbranch_execz .LBB170_8
; %bb.24:                               ;   in Loop: Header=BB170_10 Depth=1
	v_mul_u64_e32 v[14:15], s[14:15], v[6:7]
	ds_load_2addr_b64 v[20:23], v35 offset1:1
	v_lshl_add_u64 v[14:15], v[14:15], 4, v[12:13]
	s_wait_dscnt 0x0
	global_store_b128 v[14:15], v[20:23], off
	s_branch .LBB170_8
.LBB170_25:
	s_endpgm
	.section	.rodata,"a",@progbits
	.p2align	6, 0x0
	.amdhsa_kernel _ZN9rocsparseL42csr2bsr_wavefront_per_row_multipass_kernelILj256ELj64ELj8E21rocsparse_complex_numIdEllEEv20rocsparse_direction_T4_S4_S4_S4_S4_21rocsparse_index_base_PKT2_PKT3_PKS4_S5_PS6_PS9_PS4_
		.amdhsa_group_segment_fixed_size 4104
		.amdhsa_private_segment_fixed_size 0
		.amdhsa_kernarg_size 112
		.amdhsa_user_sgpr_count 2
		.amdhsa_user_sgpr_dispatch_ptr 0
		.amdhsa_user_sgpr_queue_ptr 0
		.amdhsa_user_sgpr_kernarg_segment_ptr 1
		.amdhsa_user_sgpr_dispatch_id 0
		.amdhsa_user_sgpr_kernarg_preload_length 0
		.amdhsa_user_sgpr_kernarg_preload_offset 0
		.amdhsa_user_sgpr_private_segment_size 0
		.amdhsa_wavefront_size32 1
		.amdhsa_uses_dynamic_stack 0
		.amdhsa_enable_private_segment 0
		.amdhsa_system_sgpr_workgroup_id_x 1
		.amdhsa_system_sgpr_workgroup_id_y 0
		.amdhsa_system_sgpr_workgroup_id_z 0
		.amdhsa_system_sgpr_workgroup_info 0
		.amdhsa_system_vgpr_workitem_id 0
		.amdhsa_next_free_vgpr 56
		.amdhsa_next_free_sgpr 41
		.amdhsa_named_barrier_count 0
		.amdhsa_reserve_vcc 1
		.amdhsa_float_round_mode_32 0
		.amdhsa_float_round_mode_16_64 0
		.amdhsa_float_denorm_mode_32 3
		.amdhsa_float_denorm_mode_16_64 3
		.amdhsa_fp16_overflow 0
		.amdhsa_memory_ordered 1
		.amdhsa_forward_progress 1
		.amdhsa_inst_pref_size 18
		.amdhsa_round_robin_scheduling 0
		.amdhsa_exception_fp_ieee_invalid_op 0
		.amdhsa_exception_fp_denorm_src 0
		.amdhsa_exception_fp_ieee_div_zero 0
		.amdhsa_exception_fp_ieee_overflow 0
		.amdhsa_exception_fp_ieee_underflow 0
		.amdhsa_exception_fp_ieee_inexact 0
		.amdhsa_exception_int_div_zero 0
	.end_amdhsa_kernel
	.section	.text._ZN9rocsparseL42csr2bsr_wavefront_per_row_multipass_kernelILj256ELj64ELj8E21rocsparse_complex_numIdEllEEv20rocsparse_direction_T4_S4_S4_S4_S4_21rocsparse_index_base_PKT2_PKT3_PKS4_S5_PS6_PS9_PS4_,"axG",@progbits,_ZN9rocsparseL42csr2bsr_wavefront_per_row_multipass_kernelILj256ELj64ELj8E21rocsparse_complex_numIdEllEEv20rocsparse_direction_T4_S4_S4_S4_S4_21rocsparse_index_base_PKT2_PKT3_PKS4_S5_PS6_PS9_PS4_,comdat
.Lfunc_end170:
	.size	_ZN9rocsparseL42csr2bsr_wavefront_per_row_multipass_kernelILj256ELj64ELj8E21rocsparse_complex_numIdEllEEv20rocsparse_direction_T4_S4_S4_S4_S4_21rocsparse_index_base_PKT2_PKT3_PKS4_S5_PS6_PS9_PS4_, .Lfunc_end170-_ZN9rocsparseL42csr2bsr_wavefront_per_row_multipass_kernelILj256ELj64ELj8E21rocsparse_complex_numIdEllEEv20rocsparse_direction_T4_S4_S4_S4_S4_21rocsparse_index_base_PKT2_PKT3_PKS4_S5_PS6_PS9_PS4_
                                        ; -- End function
	.set _ZN9rocsparseL42csr2bsr_wavefront_per_row_multipass_kernelILj256ELj64ELj8E21rocsparse_complex_numIdEllEEv20rocsparse_direction_T4_S4_S4_S4_S4_21rocsparse_index_base_PKT2_PKT3_PKS4_S5_PS6_PS9_PS4_.num_vgpr, 56
	.set _ZN9rocsparseL42csr2bsr_wavefront_per_row_multipass_kernelILj256ELj64ELj8E21rocsparse_complex_numIdEllEEv20rocsparse_direction_T4_S4_S4_S4_S4_21rocsparse_index_base_PKT2_PKT3_PKS4_S5_PS6_PS9_PS4_.num_agpr, 0
	.set _ZN9rocsparseL42csr2bsr_wavefront_per_row_multipass_kernelILj256ELj64ELj8E21rocsparse_complex_numIdEllEEv20rocsparse_direction_T4_S4_S4_S4_S4_21rocsparse_index_base_PKT2_PKT3_PKS4_S5_PS6_PS9_PS4_.numbered_sgpr, 41
	.set _ZN9rocsparseL42csr2bsr_wavefront_per_row_multipass_kernelILj256ELj64ELj8E21rocsparse_complex_numIdEllEEv20rocsparse_direction_T4_S4_S4_S4_S4_21rocsparse_index_base_PKT2_PKT3_PKS4_S5_PS6_PS9_PS4_.num_named_barrier, 0
	.set _ZN9rocsparseL42csr2bsr_wavefront_per_row_multipass_kernelILj256ELj64ELj8E21rocsparse_complex_numIdEllEEv20rocsparse_direction_T4_S4_S4_S4_S4_21rocsparse_index_base_PKT2_PKT3_PKS4_S5_PS6_PS9_PS4_.private_seg_size, 0
	.set _ZN9rocsparseL42csr2bsr_wavefront_per_row_multipass_kernelILj256ELj64ELj8E21rocsparse_complex_numIdEllEEv20rocsparse_direction_T4_S4_S4_S4_S4_21rocsparse_index_base_PKT2_PKT3_PKS4_S5_PS6_PS9_PS4_.uses_vcc, 1
	.set _ZN9rocsparseL42csr2bsr_wavefront_per_row_multipass_kernelILj256ELj64ELj8E21rocsparse_complex_numIdEllEEv20rocsparse_direction_T4_S4_S4_S4_S4_21rocsparse_index_base_PKT2_PKT3_PKS4_S5_PS6_PS9_PS4_.uses_flat_scratch, 0
	.set _ZN9rocsparseL42csr2bsr_wavefront_per_row_multipass_kernelILj256ELj64ELj8E21rocsparse_complex_numIdEllEEv20rocsparse_direction_T4_S4_S4_S4_S4_21rocsparse_index_base_PKT2_PKT3_PKS4_S5_PS6_PS9_PS4_.has_dyn_sized_stack, 0
	.set _ZN9rocsparseL42csr2bsr_wavefront_per_row_multipass_kernelILj256ELj64ELj8E21rocsparse_complex_numIdEllEEv20rocsparse_direction_T4_S4_S4_S4_S4_21rocsparse_index_base_PKT2_PKT3_PKS4_S5_PS6_PS9_PS4_.has_recursion, 0
	.set _ZN9rocsparseL42csr2bsr_wavefront_per_row_multipass_kernelILj256ELj64ELj8E21rocsparse_complex_numIdEllEEv20rocsparse_direction_T4_S4_S4_S4_S4_21rocsparse_index_base_PKT2_PKT3_PKS4_S5_PS6_PS9_PS4_.has_indirect_call, 0
	.section	.AMDGPU.csdata,"",@progbits
; Kernel info:
; codeLenInByte = 2232
; TotalNumSgprs: 43
; NumVgprs: 56
; ScratchSize: 0
; MemoryBound: 0
; FloatMode: 240
; IeeeMode: 1
; LDSByteSize: 4104 bytes/workgroup (compile time only)
; SGPRBlocks: 0
; VGPRBlocks: 3
; NumSGPRsForWavesPerEU: 43
; NumVGPRsForWavesPerEU: 56
; NamedBarCnt: 0
; Occupancy: 16
; WaveLimiterHint : 0
; COMPUTE_PGM_RSRC2:SCRATCH_EN: 0
; COMPUTE_PGM_RSRC2:USER_SGPR: 2
; COMPUTE_PGM_RSRC2:TRAP_HANDLER: 0
; COMPUTE_PGM_RSRC2:TGID_X_EN: 1
; COMPUTE_PGM_RSRC2:TGID_Y_EN: 0
; COMPUTE_PGM_RSRC2:TGID_Z_EN: 0
; COMPUTE_PGM_RSRC2:TIDIG_COMP_CNT: 0
	.section	.text._ZN9rocsparseL42csr2bsr_wavefront_per_row_multipass_kernelILj256ELj32ELj8E21rocsparse_complex_numIdEllEEv20rocsparse_direction_T4_S4_S4_S4_S4_21rocsparse_index_base_PKT2_PKT3_PKS4_S5_PS6_PS9_PS4_,"axG",@progbits,_ZN9rocsparseL42csr2bsr_wavefront_per_row_multipass_kernelILj256ELj32ELj8E21rocsparse_complex_numIdEllEEv20rocsparse_direction_T4_S4_S4_S4_S4_21rocsparse_index_base_PKT2_PKT3_PKS4_S5_PS6_PS9_PS4_,comdat
	.globl	_ZN9rocsparseL42csr2bsr_wavefront_per_row_multipass_kernelILj256ELj32ELj8E21rocsparse_complex_numIdEllEEv20rocsparse_direction_T4_S4_S4_S4_S4_21rocsparse_index_base_PKT2_PKT3_PKS4_S5_PS6_PS9_PS4_ ; -- Begin function _ZN9rocsparseL42csr2bsr_wavefront_per_row_multipass_kernelILj256ELj32ELj8E21rocsparse_complex_numIdEllEEv20rocsparse_direction_T4_S4_S4_S4_S4_21rocsparse_index_base_PKT2_PKT3_PKS4_S5_PS6_PS9_PS4_
	.p2align	8
	.type	_ZN9rocsparseL42csr2bsr_wavefront_per_row_multipass_kernelILj256ELj32ELj8E21rocsparse_complex_numIdEllEEv20rocsparse_direction_T4_S4_S4_S4_S4_21rocsparse_index_base_PKT2_PKT3_PKS4_S5_PS6_PS9_PS4_,@function
_ZN9rocsparseL42csr2bsr_wavefront_per_row_multipass_kernelILj256ELj32ELj8E21rocsparse_complex_numIdEllEEv20rocsparse_direction_T4_S4_S4_S4_S4_21rocsparse_index_base_PKT2_PKT3_PKS4_S5_PS6_PS9_PS4_: ; @_ZN9rocsparseL42csr2bsr_wavefront_per_row_multipass_kernelILj256ELj32ELj8E21rocsparse_complex_numIdEllEEv20rocsparse_direction_T4_S4_S4_S4_S4_21rocsparse_index_base_PKT2_PKT3_PKS4_S5_PS6_PS9_PS4_
; %bb.0:
	s_bfe_u32 s2, ttmp6, 0x4000c
	s_clause 0x1
	s_load_b96 s[12:14], s[0:1], 0x28
	s_load_b64 s[10:11], s[0:1], 0x40
	s_add_co_i32 s2, s2, 1
	s_and_b32 s3, ttmp6, 15
	s_mul_i32 s2, ttmp9, s2
	s_getreg_b32 s4, hwreg(HW_REG_IB_STS2, 6, 4)
	s_add_co_i32 s3, s3, s2
	s_cmp_eq_u32 s4, 0
	v_dual_mov_b32 v3, 0 :: v_dual_lshrrev_b32 v38, 5, v0
	s_cselect_b32 s8, ttmp9, s3
	v_bfe_u32 v2, v0, 2, 3
	s_ashr_i32 s9, s8, 31
	v_mov_b64_e32 v[24:25], 0
	s_lshl_b64 s[2:3], s[8:9], 3
	s_mov_b32 s15, 0
	v_or_b32_e32 v1, s2, v38
	s_load_b128 s[4:7], s[0:1], 0x18
	s_wait_kmcnt 0x0
	s_delay_alu instid0(VALU_DEP_1) | instskip(NEXT) | instid1(VALU_DEP_1)
	v_mad_nc_u64_u32 v[6:7], v1, s12, v[2:3]
	v_mad_u32 v4, s3, s12, v7
	s_load_b64 s[2:3], s[0:1], 0x8
	s_delay_alu instid0(VALU_DEP_1) | instskip(SKIP_2) | instid1(VALU_DEP_2)
	v_mad_u32 v7, v1, s13, v4
	v_mov_b64_e32 v[4:5], 0
	s_wait_kmcnt 0x0
	v_cmp_gt_i64_e32 vcc_lo, s[2:3], v[6:7]
	v_cmp_gt_i64_e64 s2, s[12:13], v[2:3]
	s_and_b32 s3, s2, vcc_lo
	s_delay_alu instid0(SALU_CYCLE_1)
	s_and_saveexec_b32 s9, s3
	s_cbranch_execz .LBB171_2
; %bb.1:
	v_lshl_add_u64 v[8:9], v[6:7], 3, s[10:11]
	global_load_b64 v[8:9], v[8:9], off
	s_wait_loadcnt 0x0
	v_sub_nc_u64_e64 v[24:25], v[8:9], s[14:15]
.LBB171_2:
	s_or_b32 exec_lo, exec_lo, s9
	s_and_saveexec_b32 s9, s3
	s_cbranch_execz .LBB171_4
; %bb.3:
	v_lshl_add_u64 v[4:5], v[6:7], 3, s[10:11]
	global_load_b64 v[4:5], v[4:5], off offset:8
	s_wait_loadcnt 0x0
	v_sub_nc_u64_e64 v[4:5], v[4:5], s[14:15]
.LBB171_4:
	s_or_b32 exec_lo, exec_lo, s9
	s_load_b32 s16, s[0:1], 0x50
	v_mov_b64_e32 v[6:7], 0
	v_lshl_or_b32 v8, s8, 3, v38
	v_mov_b32_e32 v9, 0
	s_mov_b32 s3, exec_lo
	s_delay_alu instid0(VALU_DEP_1)
	v_cmpx_gt_i64_e64 s[4:5], v[8:9]
	s_cbranch_execz .LBB171_6
; %bb.5:
	s_load_b64 s[4:5], s[0:1], 0x60
	s_mov_b32 s17, 0
	s_wait_kmcnt 0x0
	v_lshl_add_u64 v[6:7], v[8:9], 3, s[4:5]
	global_load_b64 v[6:7], v[6:7], off
	s_wait_loadcnt 0x0
	v_sub_nc_u64_e64 v[6:7], v[6:7], s[16:17]
.LBB171_6:
	s_or_b32 exec_lo, exec_lo, s3
	v_cmp_lt_i64_e64 s3, s[6:7], 1
	s_and_b32 vcc_lo, exec_lo, s3
	s_cbranch_vccnz .LBB171_30
; %bb.7:
	v_mbcnt_lo_u32_b32 v9, -1, 0
	v_dual_lshlrev_b32 v12, 4, v2 :: v_dual_lshlrev_b32 v1, 7, v2
	v_dual_mov_b32 v8, 0 :: v_dual_bitop2_b32 v10, 3, v0 bitop3:0x40
	s_delay_alu instid0(VALU_DEP_3) | instskip(SKIP_1) | instid1(VALU_DEP_4)
	v_xor_b32_e32 v11, 2, v9
	v_cvt_f32_u32_e32 v14, s12
	v_lshl_or_b32 v39, v38, 10, v1
	v_mul_u64_e32 v[0:1], s[12:13], v[2:3]
	v_mov_b32_e32 v13, v8
	v_cmp_gt_i32_e32 vcc_lo, 32, v11
	v_xor_b32_e32 v2, 1, v9
	s_clause 0x4
	s_load_b64 s[10:11], s[0:1], 0x58
	s_load_b64 s[4:5], s[0:1], 0x68
	;; [unrolled: 1-line block ×4, first 2 shown]
	s_load_b32 s3, s[0:1], 0x0
	v_dual_cndmask_b32 v3, v9, v11, vcc_lo :: v_dual_bitop2_b32 v18, 16, v9 bitop3:0x14
	v_cmp_gt_i32_e32 vcc_lo, 32, v2
	v_xor_b32_e32 v20, 4, v9
	v_lshl_or_b32 v43, v9, 2, 12
	s_mov_b32 s9, 0
	v_dual_mov_b32 v11, v8 :: v_dual_cndmask_b32 v2, v9, v2
	v_lshlrev_b32_e32 v41, 2, v3
	v_rcp_iflag_f32_e32 v3, v14
	v_lshl_or_b32 v40, v10, 4, v39
	s_delay_alu instid0(VALU_DEP_3) | instskip(SKIP_2) | instid1(VALU_DEP_3)
	v_mul_u64_e32 v[14:15], s[12:13], v[10:11]
	v_lshlrev_b32_e32 v42, 2, v2
	s_mov_b32 s8, s9
	v_dual_mov_b32 v49, 1 :: v_dual_bitop2_b32 v48, 64, v40 bitop3:0x54
	s_delay_alu instid0(TRANS32_DEP_1)
	v_dual_mul_f32 v16, 0x4f7ffffe, v3 :: v_dual_mov_b32 v3, v8
	v_cmp_gt_i32_e32 vcc_lo, 32, v18
	v_xor_b32_e32 v19, 8, v9
	s_wait_kmcnt 0x0
	s_cmp_eq_u32 s3, 0
	v_add_nc_u64_e32 v[12:13], s[10:11], v[12:13]
	s_cselect_b32 s0, -1, 0
	v_cndmask_b32_e32 v22, v9, v18, vcc_lo
	v_cmp_gt_i32_e32 vcc_lo, 32, v19
	v_or_b32_e32 v2, 4, v10
	s_cmp_lg_u32 s3, 0
	s_mul_u64 s[18:19], s[12:13], s[12:13]
	v_dual_lshlrev_b32 v44, 2, v22 :: v_dual_cndmask_b32 v26, v9, v19, vcc_lo
	v_cmp_gt_i32_e32 vcc_lo, 32, v20
	s_cselect_b32 s26, -1, 0
	s_sub_co_i32 s1, 0, s12
	v_lshl_add_u64 v[18:19], v[0:1], 4, s[10:11]
	s_mov_b32 s10, s9
	v_cndmask_b32_e32 v9, v9, v20, vcc_lo
	v_cvt_u32_f32_e32 v21, v16
	v_mul_u64_e32 v[16:17], s[12:13], v[2:3]
	v_lshlrev_b32_e32 v45, 2, v26
	v_cmp_gt_u64_e32 vcc_lo, s[12:13], v[10:11]
	v_lshlrev_b32_e32 v46, 2, v9
	v_mul_lo_u32 v23, s1, v21
	v_cmp_gt_u64_e64 s1, s[12:13], v[2:3]
	s_mov_b32 s11, s9
	v_mov_b64_e32 v[0:1], s[8:9]
	v_mov_b64_e32 v[2:3], s[10:11]
	s_mov_b32 s15, s9
	s_mov_b32 s17, s9
	s_and_b32 s27, s2, vcc_lo
	s_mov_b64 s[10:11], 0xffffffff
	s_and_b32 s28, s2, s1
	s_ashr_i32 s2, s13, 31
	v_mul_hi_u32 v9, v21, v23
	v_mov_b64_e32 v[22:23], 0
	v_mov_b32_e32 v47, 0x7c
	s_mov_b32 s29, 0
	s_delay_alu instid0(VALU_DEP_3)
	v_add_nc_u32_e32 v50, v21, v9
	s_branch .LBB171_10
.LBB171_8:                              ;   in Loop: Header=BB171_10 Depth=1
	s_wait_xcnt 0x0
	s_or_b32 exec_lo, exec_lo, s3
	v_mov_b64_e32 v[26:27], 1
.LBB171_9:                              ;   in Loop: Header=BB171_10 Depth=1
	s_or_b32 exec_lo, exec_lo, s1
	ds_bpermute_b32 v22, v44, v20
	ds_bpermute_b32 v23, v44, v21
	v_add_nc_u64_e32 v[6:7], v[26:27], v[6:7]
	s_wait_storecnt_dscnt 0x0
	v_min_i64 v[20:21], v[22:23], v[20:21]
	ds_bpermute_b32 v22, v45, v20
	ds_bpermute_b32 v23, v45, v21
	s_wait_dscnt 0x0
	v_min_i64 v[20:21], v[22:23], v[20:21]
	ds_bpermute_b32 v22, v46, v20
	ds_bpermute_b32 v23, v46, v21
	s_wait_dscnt 0x0
	;; [unrolled: 4-line block ×5, first 2 shown]
	v_cmp_le_i64_e32 vcc_lo, s[6:7], v[22:23]
	s_or_b32 s29, vcc_lo, s29
	s_delay_alu instid0(SALU_CYCLE_1)
	s_and_not1_b32 exec_lo, exec_lo, s29
	s_cbranch_execz .LBB171_30
.LBB171_10:                             ; =>This Loop Header: Depth=1
                                        ;     Child Loop BB171_13 Depth 2
	v_add_nc_u64_e32 v[24:25], v[24:25], v[10:11]
	v_mov_b64_e32 v[20:21], s[6:7]
	v_mov_b64_e32 v[36:37], v[4:5]
	s_mov_b32 s30, exec_lo
	ds_store_b8 v38, v8 offset:8192
	ds_store_b128 v40, v[0:3]
	ds_store_b128 v40, v[0:3] offset:64
	s_wait_dscnt 0x0
	v_cmpx_lt_i64_e64 v[24:25], v[4:5]
	s_cbranch_execz .LBB171_22
; %bb.11:                               ;   in Loop: Header=BB171_10 Depth=1
	v_mul_u64_e32 v[26:27], s[12:13], v[22:23]
	v_mov_b64_e32 v[20:21], s[6:7]
	v_mov_b64_e32 v[32:33], v[4:5]
	v_lshl_add_u64 v[28:29], v[24:25], 4, s[22:23]
	v_lshl_add_u64 v[30:31], v[24:25], 3, s[20:21]
	s_mov_b32 s31, 0
	s_branch .LBB171_13
.LBB171_12:                             ;   in Loop: Header=BB171_13 Depth=2
	s_wait_xcnt 0x0
	s_or_b32 exec_lo, exec_lo, s1
	v_add_nc_u64_e32 v[24:25], 4, v[24:25]
	s_xor_b32 s3, vcc_lo, -1
	v_add_nc_u64_e32 v[28:29], 64, v[28:29]
	v_add_nc_u64_e32 v[30:31], 32, v[30:31]
	v_mov_b64_e32 v[32:33], v[36:37]
	s_delay_alu instid0(VALU_DEP_4) | instskip(SKIP_1) | instid1(SALU_CYCLE_1)
	v_cmp_ge_i64_e64 s1, v[24:25], v[4:5]
	s_or_b32 s1, s3, s1
	s_and_b32 s1, exec_lo, s1
	s_delay_alu instid0(SALU_CYCLE_1) | instskip(NEXT) | instid1(SALU_CYCLE_1)
	s_or_b32 s31, s1, s31
	s_and_not1_b32 exec_lo, exec_lo, s31
	s_cbranch_execz .LBB171_21
.LBB171_13:                             ;   Parent Loop BB171_10 Depth=1
                                        ; =>  This Inner Loop Header: Depth=2
	global_load_b64 v[34:35], v[30:31], off
                                        ; implicit-def: $vgpr36_vgpr37
	s_mov_b32 s1, exec_lo
	s_wait_loadcnt 0x0
	v_sub_nc_u64_e64 v[34:35], v[34:35], s[14:15]
	s_delay_alu instid0(VALU_DEP_1) | instskip(SKIP_1) | instid1(VALU_DEP_1)
	v_or_b32_e32 v9, s13, v35
	s_wait_xcnt 0x0
	v_cmpx_ne_u64_e32 0, v[8:9]
	s_xor_b32 s33, exec_lo, s1
	s_cbranch_execz .LBB171_15
; %bb.14:                               ;   in Loop: Header=BB171_13 Depth=2
	s_mov_b32 s3, s2
	v_dual_mov_b32 v55, v8 :: v_dual_ashrrev_i32 v36, 31, v35
	s_add_nc_u64 s[24:25], s[12:13], s[2:3]
	v_mov_b32_e32 v59, v8
	s_xor_b64 s[24:25], s[24:25], s[2:3]
	s_delay_alu instid0(VALU_DEP_2)
	v_mov_b32_e32 v37, v36
	s_cvt_f32_u32 s1, s24
	s_cvt_f32_u32 s3, s25
	s_sub_nc_u64 s[36:37], 0, s[24:25]
	v_mov_b32_e32 v63, v8
	v_add_nc_u64_e32 v[52:53], v[34:35], v[36:37]
	s_fmamk_f32 s1, s3, 0x4f800000, s1
	s_delay_alu instid0(SALU_CYCLE_3) | instskip(NEXT) | instid1(VALU_DEP_1)
	v_s_rcp_f32 s1, s1
	v_xor_b32_e32 v58, v53, v36
	s_delay_alu instid0(VALU_DEP_2) | instskip(SKIP_1) | instid1(TRANS32_DEP_1)
	v_xor_b32_e32 v54, v52, v36
	v_xor_b32_e32 v36, s2, v36
	s_mul_f32 s1, s1, 0x5f7ffffc
	s_delay_alu instid0(SALU_CYCLE_3) | instskip(NEXT) | instid1(SALU_CYCLE_3)
	s_mul_f32 s3, s1, 0x2f800000
	s_trunc_f32 s3, s3
	s_delay_alu instid0(SALU_CYCLE_3) | instskip(SKIP_1) | instid1(SALU_CYCLE_2)
	s_fmamk_f32 s1, s3, 0xcf800000, s1
	s_cvt_u32_f32 s35, s3
	s_cvt_u32_f32 s34, s1
	s_delay_alu instid0(SALU_CYCLE_3) | instskip(NEXT) | instid1(SALU_CYCLE_1)
	s_mul_u64 s[38:39], s[36:37], s[34:35]
	s_mul_hi_u32 s41, s34, s39
	s_mul_i32 s40, s34, s39
	s_mul_hi_u32 s8, s34, s38
	s_mul_i32 s3, s35, s38
	s_add_nc_u64 s[40:41], s[8:9], s[40:41]
	s_mul_hi_u32 s1, s35, s38
	s_mul_hi_u32 s42, s35, s39
	s_add_co_u32 s3, s40, s3
	s_add_co_ci_u32 s8, s41, s1
	s_mul_i32 s38, s35, s39
	s_add_co_ci_u32 s39, s42, 0
	s_delay_alu instid0(SALU_CYCLE_1) | instskip(NEXT) | instid1(SALU_CYCLE_1)
	s_add_nc_u64 s[38:39], s[8:9], s[38:39]
	s_add_co_u32 s34, s34, s38
	s_cselect_b32 s1, -1, 0
	s_delay_alu instid0(SALU_CYCLE_1) | instskip(SKIP_1) | instid1(SALU_CYCLE_1)
	s_cmp_lg_u32 s1, 0
	s_add_co_ci_u32 s35, s35, s39
	s_mul_u64 s[36:37], s[36:37], s[34:35]
	s_delay_alu instid0(SALU_CYCLE_1)
	s_mul_hi_u32 s39, s34, s37
	s_mul_i32 s38, s34, s37
	s_mul_hi_u32 s8, s34, s36
	s_mul_i32 s3, s35, s36
	s_add_nc_u64 s[38:39], s[8:9], s[38:39]
	s_mul_hi_u32 s1, s35, s36
	s_mul_hi_u32 s40, s35, s37
	s_add_co_u32 s3, s38, s3
	s_add_co_ci_u32 s8, s39, s1
	s_mul_i32 s36, s35, s37
	s_add_co_ci_u32 s37, s40, 0
	s_delay_alu instid0(SALU_CYCLE_1) | instskip(NEXT) | instid1(SALU_CYCLE_1)
	s_add_nc_u64 s[36:37], s[8:9], s[36:37]
	s_add_co_u32 s34, s34, s36
	s_cselect_b32 s1, -1, 0
	v_mul_hi_u32 v62, v54, s34
	s_cmp_lg_u32 s1, 0
	s_add_co_ci_u32 s8, s35, s37
	s_and_b64 s[36:37], s[34:35], s[10:11]
	v_mul_u64_e32 v[56:57], s[8:9], v[54:55]
	v_mul_u64_e32 v[52:53], s[36:37], v[58:59]
	;; [unrolled: 1-line block ×3, first 2 shown]
	s_delay_alu instid0(VALU_DEP_3) | instskip(NEXT) | instid1(VALU_DEP_1)
	v_add_nc_u64_e32 v[56:57], v[62:63], v[56:57]
	v_add_co_u32 v9, vcc_lo, v56, v52
	s_delay_alu instid0(VALU_DEP_2) | instskip(NEXT) | instid1(VALU_DEP_4)
	v_add_co_ci_u32_e32 v62, vcc_lo, v57, v53, vcc_lo
	v_add_co_ci_u32_e32 v61, vcc_lo, 0, v61, vcc_lo
	s_delay_alu instid0(VALU_DEP_1) | instskip(NEXT) | instid1(VALU_DEP_1)
	v_add_nc_u64_e32 v[52:53], v[62:63], v[60:61]
	v_mul_u64_e32 v[56:57], s[24:25], v[52:53]
	s_delay_alu instid0(VALU_DEP_1) | instskip(NEXT) | instid1(VALU_DEP_2)
	v_sub_nc_u32_e32 v9, v58, v57
	v_sub_co_u32 v27, vcc_lo, v54, v56
	s_delay_alu instid0(VALU_DEP_1) | instskip(NEXT) | instid1(VALU_DEP_3)
	v_sub_co_ci_u32_e64 v37, null, v58, v57, vcc_lo
	v_subrev_co_ci_u32_e64 v9, null, s25, v9, vcc_lo
	s_delay_alu instid0(VALU_DEP_3) | instskip(SKIP_1) | instid1(VALU_DEP_3)
	v_sub_co_u32 v35, s1, v27, s24
	v_add_nc_u64_e32 v[54:55], 2, v[52:53]
	v_subrev_co_ci_u32_e64 v9, null, 0, v9, s1
	s_delay_alu instid0(VALU_DEP_3) | instskip(SKIP_2) | instid1(VALU_DEP_4)
	v_cmp_le_u32_e32 vcc_lo, s24, v35
	v_add_nc_u64_e32 v[56:57], 1, v[52:53]
	v_cndmask_b32_e64 v35, 0, -1, vcc_lo
	v_cmp_le_u32_e32 vcc_lo, s25, v9
	v_cndmask_b32_e64 v51, 0, -1, vcc_lo
	v_cmp_le_u32_e32 vcc_lo, s24, v27
	;; [unrolled: 2-line block ×3, first 2 shown]
	v_cndmask_b32_e64 v58, 0, -1, vcc_lo
	v_cmp_eq_u32_e32 vcc_lo, s25, v9
	v_cndmask_b32_e32 v9, v51, v35, vcc_lo
	v_cmp_eq_u32_e32 vcc_lo, s25, v37
	s_delay_alu instid0(VALU_DEP_4) | instskip(NEXT) | instid1(VALU_DEP_3)
	v_dual_mov_b32 v37, v36 :: v_dual_cndmask_b32 v27, v58, v27, vcc_lo
	v_cmp_ne_u32_e32 vcc_lo, 0, v9
	s_delay_alu instid0(VALU_DEP_2) | instskip(SKIP_1) | instid1(VALU_DEP_1)
	v_cmp_ne_u32_e64 s1, 0, v27
	v_dual_cndmask_b32 v9, v57, v55, vcc_lo :: v_dual_cndmask_b32 v27, v56, v54, vcc_lo
	v_dual_cndmask_b32 v9, v53, v9, s1 :: v_dual_cndmask_b32 v27, v52, v27, s1
	s_delay_alu instid0(VALU_DEP_1) | instskip(NEXT) | instid1(VALU_DEP_2)
	v_xor_b32_e32 v53, v9, v36
	v_xor_b32_e32 v52, v27, v36
	s_delay_alu instid0(VALU_DEP_1)
	v_sub_nc_u64_e32 v[36:37], v[52:53], v[36:37]
.LBB171_15:                             ;   in Loop: Header=BB171_13 Depth=2
	s_and_not1_saveexec_b32 s1, s33
	s_cbranch_execz .LBB171_17
; %bb.16:                               ;   in Loop: Header=BB171_13 Depth=2
	v_mul_hi_u32 v9, v34, v50
	v_mov_b32_e32 v37, v8
	s_delay_alu instid0(VALU_DEP_2) | instskip(NEXT) | instid1(VALU_DEP_1)
	v_mul_lo_u32 v27, v9, s12
	v_dual_add_nc_u32 v35, 1, v9 :: v_dual_sub_nc_u32 v27, v34, v27
	s_delay_alu instid0(VALU_DEP_1) | instskip(SKIP_1) | instid1(VALU_DEP_2)
	v_subrev_nc_u32_e32 v36, s12, v27
	v_cmp_le_u32_e32 vcc_lo, s12, v27
	v_dual_cndmask_b32 v27, v27, v36, vcc_lo :: v_dual_cndmask_b32 v9, v9, v35, vcc_lo
	s_delay_alu instid0(VALU_DEP_1) | instskip(NEXT) | instid1(VALU_DEP_2)
	v_cmp_le_u32_e32 vcc_lo, s12, v27
	v_add_nc_u32_e32 v35, 1, v9
	s_delay_alu instid0(VALU_DEP_1)
	v_cndmask_b32_e32 v36, v9, v35, vcc_lo
.LBB171_17:                             ;   in Loop: Header=BB171_13 Depth=2
	s_or_b32 exec_lo, exec_lo, s1
	s_delay_alu instid0(VALU_DEP_1) | instskip(SKIP_2) | instid1(SALU_CYCLE_1)
	v_cmp_ne_u64_e64 s1, v[36:37], v[22:23]
	v_cmp_eq_u64_e32 vcc_lo, v[36:37], v[22:23]
	s_and_saveexec_b32 s3, s1
	s_xor_b32 s1, exec_lo, s3
; %bb.18:                               ;   in Loop: Header=BB171_13 Depth=2
	v_min_i64 v[20:21], v[36:37], v[20:21]
                                        ; implicit-def: $vgpr34_vgpr35
                                        ; implicit-def: $vgpr32_vgpr33
; %bb.19:                               ;   in Loop: Header=BB171_13 Depth=2
	s_or_saveexec_b32 s1, s1
	v_mov_b64_e32 v[36:37], v[24:25]
	s_xor_b32 exec_lo, exec_lo, s1
	s_cbranch_execz .LBB171_12
; %bb.20:                               ;   in Loop: Header=BB171_13 Depth=2
	global_load_b128 v[52:55], v[28:29], off
	v_sub_nc_u32_e32 v9, v34, v26
	v_mov_b64_e32 v[36:37], v[32:33]
	s_delay_alu instid0(VALU_DEP_2)
	v_lshl_add_u32 v9, v9, 4, v39
	ds_store_b8 v38, v49 offset:8192
	s_wait_loadcnt 0x0
	ds_store_2addr_b64 v9, v[52:53], v[54:55] offset1:1
	s_branch .LBB171_12
.LBB171_21:                             ;   in Loop: Header=BB171_10 Depth=1
	s_or_b32 exec_lo, exec_lo, s31
.LBB171_22:                             ;   in Loop: Header=BB171_10 Depth=1
	s_delay_alu instid0(SALU_CYCLE_1)
	s_or_b32 exec_lo, exec_lo, s30
	ds_bpermute_b32 v24, v41, v36
	ds_bpermute_b32 v25, v41, v37
	s_wait_dscnt 0x0
	ds_load_u8 v9, v38 offset:8192
	s_mov_b32 s1, exec_lo
	v_min_i64 v[24:25], v[24:25], v[36:37]
	s_wait_dscnt 0x0
	v_and_b32_e32 v9, 1, v9
	ds_bpermute_b32 v26, v42, v24
	ds_bpermute_b32 v27, v42, v25
	s_wait_dscnt 0x0
	v_min_i64 v[24:25], v[26:27], v[24:25]
	v_mov_b64_e32 v[26:27], 0
	ds_bpermute_b32 v24, v43, v24
	ds_bpermute_b32 v25, v43, v25
	v_cmpx_eq_u32_e32 1, v9
	s_cbranch_execz .LBB171_9
; %bb.23:                               ;   in Loop: Header=BB171_10 Depth=1
	v_mul_u64_e32 v[26:27], s[18:19], v[6:7]
	v_add_nc_u64_e32 v[30:31], s[16:17], v[22:23]
	s_delay_alu instid0(VALU_DEP_2) | instskip(NEXT) | instid1(VALU_DEP_1)
	v_lshlrev_b64_e32 v[28:29], 4, v[26:27]
	v_add_nc_u64_e32 v[26:27], v[12:13], v[28:29]
	v_add_nc_u64_e32 v[22:23], v[18:19], v[28:29]
	v_lshl_add_u64 v[28:29], v[6:7], 3, s[4:5]
	global_store_b64 v[28:29], v[30:31], off
	s_wait_xcnt 0x0
	s_and_saveexec_b32 s3, s27
	s_cbranch_execz .LBB171_25
; %bb.24:                               ;   in Loop: Header=BB171_10 Depth=1
	ds_load_2addr_b64 v[28:31], v40 offset1:1
	v_dual_mov_b32 v33, v8 :: v_dual_lshlrev_b32 v32, 4, v10
	v_lshl_add_u64 v[34:35], v[14:15], 4, v[26:27]
	s_delay_alu instid0(VALU_DEP_2) | instskip(NEXT) | instid1(VALU_DEP_1)
	v_add_nc_u64_e32 v[32:33], v[22:23], v[32:33]
	v_dual_cndmask_b32 v33, v35, v33, s0 :: v_dual_cndmask_b32 v32, v34, v32, s0
	s_wait_dscnt 0x0
	global_store_b128 v[32:33], v[28:31], off
.LBB171_25:                             ;   in Loop: Header=BB171_10 Depth=1
	s_wait_xcnt 0x0
	s_or_b32 exec_lo, exec_lo, s3
	s_and_saveexec_b32 s3, s28
	s_cbranch_execz .LBB171_8
; %bb.26:                               ;   in Loop: Header=BB171_10 Depth=1
	s_and_not1_b32 vcc_lo, exec_lo, s26
	s_mov_b32 s8, -1
	s_cbranch_vccnz .LBB171_28
; %bb.27:                               ;   in Loop: Header=BB171_10 Depth=1
	ds_load_2addr_b64 v[28:31], v48 offset1:1
	v_lshl_add_u64 v[26:27], v[16:17], 4, v[26:27]
	s_mov_b32 s8, 0
	s_wait_dscnt 0x0
	global_store_b128 v[26:27], v[28:31], off
.LBB171_28:                             ;   in Loop: Header=BB171_10 Depth=1
	s_and_not1_b32 vcc_lo, exec_lo, s8
	s_cbranch_vccnz .LBB171_8
; %bb.29:                               ;   in Loop: Header=BB171_10 Depth=1
	s_wait_xcnt 0x0
	ds_load_2addr_b64 v[26:29], v48 offset1:1
	v_dual_mov_b32 v31, v8 :: v_dual_lshlrev_b32 v30, 4, v10
	s_delay_alu instid0(VALU_DEP_1)
	v_add_nc_u64_e32 v[22:23], v[22:23], v[30:31]
	s_wait_dscnt 0x0
	global_store_b128 v[22:23], v[26:29], off offset:64
	s_branch .LBB171_8
.LBB171_30:
	s_endpgm
	.section	.rodata,"a",@progbits
	.p2align	6, 0x0
	.amdhsa_kernel _ZN9rocsparseL42csr2bsr_wavefront_per_row_multipass_kernelILj256ELj32ELj8E21rocsparse_complex_numIdEllEEv20rocsparse_direction_T4_S4_S4_S4_S4_21rocsparse_index_base_PKT2_PKT3_PKS4_S5_PS6_PS9_PS4_
		.amdhsa_group_segment_fixed_size 8200
		.amdhsa_private_segment_fixed_size 0
		.amdhsa_kernarg_size 112
		.amdhsa_user_sgpr_count 2
		.amdhsa_user_sgpr_dispatch_ptr 0
		.amdhsa_user_sgpr_queue_ptr 0
		.amdhsa_user_sgpr_kernarg_segment_ptr 1
		.amdhsa_user_sgpr_dispatch_id 0
		.amdhsa_user_sgpr_kernarg_preload_length 0
		.amdhsa_user_sgpr_kernarg_preload_offset 0
		.amdhsa_user_sgpr_private_segment_size 0
		.amdhsa_wavefront_size32 1
		.amdhsa_uses_dynamic_stack 0
		.amdhsa_enable_private_segment 0
		.amdhsa_system_sgpr_workgroup_id_x 1
		.amdhsa_system_sgpr_workgroup_id_y 0
		.amdhsa_system_sgpr_workgroup_id_z 0
		.amdhsa_system_sgpr_workgroup_info 0
		.amdhsa_system_vgpr_workitem_id 0
		.amdhsa_next_free_vgpr 64
		.amdhsa_next_free_sgpr 43
		.amdhsa_named_barrier_count 0
		.amdhsa_reserve_vcc 1
		.amdhsa_float_round_mode_32 0
		.amdhsa_float_round_mode_16_64 0
		.amdhsa_float_denorm_mode_32 3
		.amdhsa_float_denorm_mode_16_64 3
		.amdhsa_fp16_overflow 0
		.amdhsa_memory_ordered 1
		.amdhsa_forward_progress 1
		.amdhsa_inst_pref_size 18
		.amdhsa_round_robin_scheduling 0
		.amdhsa_exception_fp_ieee_invalid_op 0
		.amdhsa_exception_fp_denorm_src 0
		.amdhsa_exception_fp_ieee_div_zero 0
		.amdhsa_exception_fp_ieee_overflow 0
		.amdhsa_exception_fp_ieee_underflow 0
		.amdhsa_exception_fp_ieee_inexact 0
		.amdhsa_exception_int_div_zero 0
	.end_amdhsa_kernel
	.section	.text._ZN9rocsparseL42csr2bsr_wavefront_per_row_multipass_kernelILj256ELj32ELj8E21rocsparse_complex_numIdEllEEv20rocsparse_direction_T4_S4_S4_S4_S4_21rocsparse_index_base_PKT2_PKT3_PKS4_S5_PS6_PS9_PS4_,"axG",@progbits,_ZN9rocsparseL42csr2bsr_wavefront_per_row_multipass_kernelILj256ELj32ELj8E21rocsparse_complex_numIdEllEEv20rocsparse_direction_T4_S4_S4_S4_S4_21rocsparse_index_base_PKT2_PKT3_PKS4_S5_PS6_PS9_PS4_,comdat
.Lfunc_end171:
	.size	_ZN9rocsparseL42csr2bsr_wavefront_per_row_multipass_kernelILj256ELj32ELj8E21rocsparse_complex_numIdEllEEv20rocsparse_direction_T4_S4_S4_S4_S4_21rocsparse_index_base_PKT2_PKT3_PKS4_S5_PS6_PS9_PS4_, .Lfunc_end171-_ZN9rocsparseL42csr2bsr_wavefront_per_row_multipass_kernelILj256ELj32ELj8E21rocsparse_complex_numIdEllEEv20rocsparse_direction_T4_S4_S4_S4_S4_21rocsparse_index_base_PKT2_PKT3_PKS4_S5_PS6_PS9_PS4_
                                        ; -- End function
	.set _ZN9rocsparseL42csr2bsr_wavefront_per_row_multipass_kernelILj256ELj32ELj8E21rocsparse_complex_numIdEllEEv20rocsparse_direction_T4_S4_S4_S4_S4_21rocsparse_index_base_PKT2_PKT3_PKS4_S5_PS6_PS9_PS4_.num_vgpr, 64
	.set _ZN9rocsparseL42csr2bsr_wavefront_per_row_multipass_kernelILj256ELj32ELj8E21rocsparse_complex_numIdEllEEv20rocsparse_direction_T4_S4_S4_S4_S4_21rocsparse_index_base_PKT2_PKT3_PKS4_S5_PS6_PS9_PS4_.num_agpr, 0
	.set _ZN9rocsparseL42csr2bsr_wavefront_per_row_multipass_kernelILj256ELj32ELj8E21rocsparse_complex_numIdEllEEv20rocsparse_direction_T4_S4_S4_S4_S4_21rocsparse_index_base_PKT2_PKT3_PKS4_S5_PS6_PS9_PS4_.numbered_sgpr, 43
	.set _ZN9rocsparseL42csr2bsr_wavefront_per_row_multipass_kernelILj256ELj32ELj8E21rocsparse_complex_numIdEllEEv20rocsparse_direction_T4_S4_S4_S4_S4_21rocsparse_index_base_PKT2_PKT3_PKS4_S5_PS6_PS9_PS4_.num_named_barrier, 0
	.set _ZN9rocsparseL42csr2bsr_wavefront_per_row_multipass_kernelILj256ELj32ELj8E21rocsparse_complex_numIdEllEEv20rocsparse_direction_T4_S4_S4_S4_S4_21rocsparse_index_base_PKT2_PKT3_PKS4_S5_PS6_PS9_PS4_.private_seg_size, 0
	.set _ZN9rocsparseL42csr2bsr_wavefront_per_row_multipass_kernelILj256ELj32ELj8E21rocsparse_complex_numIdEllEEv20rocsparse_direction_T4_S4_S4_S4_S4_21rocsparse_index_base_PKT2_PKT3_PKS4_S5_PS6_PS9_PS4_.uses_vcc, 1
	.set _ZN9rocsparseL42csr2bsr_wavefront_per_row_multipass_kernelILj256ELj32ELj8E21rocsparse_complex_numIdEllEEv20rocsparse_direction_T4_S4_S4_S4_S4_21rocsparse_index_base_PKT2_PKT3_PKS4_S5_PS6_PS9_PS4_.uses_flat_scratch, 0
	.set _ZN9rocsparseL42csr2bsr_wavefront_per_row_multipass_kernelILj256ELj32ELj8E21rocsparse_complex_numIdEllEEv20rocsparse_direction_T4_S4_S4_S4_S4_21rocsparse_index_base_PKT2_PKT3_PKS4_S5_PS6_PS9_PS4_.has_dyn_sized_stack, 0
	.set _ZN9rocsparseL42csr2bsr_wavefront_per_row_multipass_kernelILj256ELj32ELj8E21rocsparse_complex_numIdEllEEv20rocsparse_direction_T4_S4_S4_S4_S4_21rocsparse_index_base_PKT2_PKT3_PKS4_S5_PS6_PS9_PS4_.has_recursion, 0
	.set _ZN9rocsparseL42csr2bsr_wavefront_per_row_multipass_kernelILj256ELj32ELj8E21rocsparse_complex_numIdEllEEv20rocsparse_direction_T4_S4_S4_S4_S4_21rocsparse_index_base_PKT2_PKT3_PKS4_S5_PS6_PS9_PS4_.has_indirect_call, 0
	.section	.AMDGPU.csdata,"",@progbits
; Kernel info:
; codeLenInByte = 2296
; TotalNumSgprs: 45
; NumVgprs: 64
; ScratchSize: 0
; MemoryBound: 0
; FloatMode: 240
; IeeeMode: 1
; LDSByteSize: 8200 bytes/workgroup (compile time only)
; SGPRBlocks: 0
; VGPRBlocks: 3
; NumSGPRsForWavesPerEU: 45
; NumVGPRsForWavesPerEU: 64
; NamedBarCnt: 0
; Occupancy: 16
; WaveLimiterHint : 0
; COMPUTE_PGM_RSRC2:SCRATCH_EN: 0
; COMPUTE_PGM_RSRC2:USER_SGPR: 2
; COMPUTE_PGM_RSRC2:TRAP_HANDLER: 0
; COMPUTE_PGM_RSRC2:TGID_X_EN: 1
; COMPUTE_PGM_RSRC2:TGID_Y_EN: 0
; COMPUTE_PGM_RSRC2:TGID_Z_EN: 0
; COMPUTE_PGM_RSRC2:TIDIG_COMP_CNT: 0
	.section	.text._ZN9rocsparseL42csr2bsr_wavefront_per_row_multipass_kernelILj256ELj64ELj16E21rocsparse_complex_numIdEllEEv20rocsparse_direction_T4_S4_S4_S4_S4_21rocsparse_index_base_PKT2_PKT3_PKS4_S5_PS6_PS9_PS4_,"axG",@progbits,_ZN9rocsparseL42csr2bsr_wavefront_per_row_multipass_kernelILj256ELj64ELj16E21rocsparse_complex_numIdEllEEv20rocsparse_direction_T4_S4_S4_S4_S4_21rocsparse_index_base_PKT2_PKT3_PKS4_S5_PS6_PS9_PS4_,comdat
	.globl	_ZN9rocsparseL42csr2bsr_wavefront_per_row_multipass_kernelILj256ELj64ELj16E21rocsparse_complex_numIdEllEEv20rocsparse_direction_T4_S4_S4_S4_S4_21rocsparse_index_base_PKT2_PKT3_PKS4_S5_PS6_PS9_PS4_ ; -- Begin function _ZN9rocsparseL42csr2bsr_wavefront_per_row_multipass_kernelILj256ELj64ELj16E21rocsparse_complex_numIdEllEEv20rocsparse_direction_T4_S4_S4_S4_S4_21rocsparse_index_base_PKT2_PKT3_PKS4_S5_PS6_PS9_PS4_
	.p2align	8
	.type	_ZN9rocsparseL42csr2bsr_wavefront_per_row_multipass_kernelILj256ELj64ELj16E21rocsparse_complex_numIdEllEEv20rocsparse_direction_T4_S4_S4_S4_S4_21rocsparse_index_base_PKT2_PKT3_PKS4_S5_PS6_PS9_PS4_,@function
_ZN9rocsparseL42csr2bsr_wavefront_per_row_multipass_kernelILj256ELj64ELj16E21rocsparse_complex_numIdEllEEv20rocsparse_direction_T4_S4_S4_S4_S4_21rocsparse_index_base_PKT2_PKT3_PKS4_S5_PS6_PS9_PS4_: ; @_ZN9rocsparseL42csr2bsr_wavefront_per_row_multipass_kernelILj256ELj64ELj16E21rocsparse_complex_numIdEllEEv20rocsparse_direction_T4_S4_S4_S4_S4_21rocsparse_index_base_PKT2_PKT3_PKS4_S5_PS6_PS9_PS4_
; %bb.0:
	s_bfe_u32 s2, ttmp6, 0x4000c
	s_clause 0x1
	s_load_b96 s[12:14], s[0:1], 0x28
	s_load_b64 s[10:11], s[0:1], 0x40
	s_add_co_i32 s2, s2, 1
	s_and_b32 s3, ttmp6, 15
	s_mul_i32 s2, ttmp9, s2
	s_getreg_b32 s4, hwreg(HW_REG_IB_STS2, 6, 4)
	s_add_co_i32 s3, s3, s2
	s_cmp_eq_u32 s4, 0
	v_dual_mov_b32 v3, 0 :: v_dual_lshrrev_b32 v40, 6, v0
	s_cselect_b32 s8, ttmp9, s3
	v_bfe_u32 v2, v0, 2, 4
	s_ashr_i32 s9, s8, 31
	v_mov_b64_e32 v[26:27], 0
	s_lshl_b64 s[2:3], s[8:9], 2
	s_mov_b32 s15, 0
	v_or_b32_e32 v1, s2, v40
	s_load_b128 s[4:7], s[0:1], 0x18
	s_wait_kmcnt 0x0
	s_delay_alu instid0(VALU_DEP_1) | instskip(NEXT) | instid1(VALU_DEP_1)
	v_mad_nc_u64_u32 v[6:7], v1, s12, v[2:3]
	v_mad_u32 v4, s3, s12, v7
	s_load_b64 s[2:3], s[0:1], 0x8
	s_delay_alu instid0(VALU_DEP_1) | instskip(SKIP_2) | instid1(VALU_DEP_2)
	v_mad_u32 v7, v1, s13, v4
	v_mov_b64_e32 v[4:5], 0
	s_wait_kmcnt 0x0
	v_cmp_gt_i64_e32 vcc_lo, s[2:3], v[6:7]
	v_cmp_gt_i64_e64 s2, s[12:13], v[2:3]
	s_and_b32 s3, s2, vcc_lo
	s_delay_alu instid0(SALU_CYCLE_1)
	s_and_saveexec_b32 s9, s3
	s_cbranch_execz .LBB172_2
; %bb.1:
	v_lshl_add_u64 v[8:9], v[6:7], 3, s[10:11]
	global_load_b64 v[8:9], v[8:9], off
	s_wait_loadcnt 0x0
	v_sub_nc_u64_e64 v[26:27], v[8:9], s[14:15]
.LBB172_2:
	s_or_b32 exec_lo, exec_lo, s9
	s_and_saveexec_b32 s9, s3
	s_cbranch_execz .LBB172_4
; %bb.3:
	v_lshl_add_u64 v[4:5], v[6:7], 3, s[10:11]
	global_load_b64 v[4:5], v[4:5], off offset:8
	s_wait_loadcnt 0x0
	v_sub_nc_u64_e64 v[4:5], v[4:5], s[14:15]
.LBB172_4:
	s_or_b32 exec_lo, exec_lo, s9
	s_load_b32 s16, s[0:1], 0x50
	v_mov_b64_e32 v[6:7], 0
	v_lshl_or_b32 v8, s8, 2, v40
	v_mov_b32_e32 v9, 0
	s_mov_b32 s3, exec_lo
	s_delay_alu instid0(VALU_DEP_1)
	v_cmpx_gt_i64_e64 s[4:5], v[8:9]
	s_cbranch_execz .LBB172_6
; %bb.5:
	s_load_b64 s[4:5], s[0:1], 0x60
	s_mov_b32 s17, 0
	s_wait_kmcnt 0x0
	v_lshl_add_u64 v[6:7], v[8:9], 3, s[4:5]
	global_load_b64 v[6:7], v[6:7], off
	s_wait_loadcnt 0x0
	v_sub_nc_u64_e64 v[6:7], v[6:7], s[16:17]
.LBB172_6:
	s_or_b32 exec_lo, exec_lo, s3
	v_cmp_lt_i64_e64 s3, s[6:7], 1
	s_and_b32 vcc_lo, exec_lo, s3
	s_cbranch_vccnz .LBB172_40
; %bb.7:
	v_mbcnt_lo_u32_b32 v9, -1, 0
	v_dual_lshlrev_b32 v12, 4, v2 :: v_dual_mov_b32 v8, 0
	v_mul_u64_e32 v[14:15], s[12:13], v[2:3]
	s_delay_alu instid0(VALU_DEP_3) | instskip(NEXT) | instid1(VALU_DEP_3)
	v_dual_lshlrev_b32 v1, 8, v2 :: v_dual_bitop2_b32 v2, 2, v9 bitop3:0x14
	v_dual_mov_b32 v13, v8 :: v_dual_bitop2_b32 v10, 3, v0 bitop3:0x40
	s_clause 0x1
	s_load_b64 s[4:5], s[0:1], 0x58
	s_load_b64 s[18:19], s[0:1], 0x68
	v_lshl_or_b32 v41, v40, 12, v1
	v_cmp_gt_i32_e32 vcc_lo, 32, v2
	v_xor_b32_e32 v0, 1, v9
	s_clause 0x2
	s_load_b64 s[22:23], s[0:1], 0x48
	s_load_b64 s[24:25], s[0:1], 0x38
	s_load_b32 s3, s[0:1], 0x0
	v_cvt_f32_u32_e32 v3, s12
	v_dual_cndmask_b32 v1, v9, v2, vcc_lo :: v_dual_bitop2_b32 v16, 4, v9 bitop3:0x14
	v_cmp_gt_i32_e32 vcc_lo, 32, v0
	v_xor_b32_e32 v2, 8, v9
	s_delay_alu instid0(VALU_DEP_4)
	v_rcp_iflag_f32_e32 v17, v3
	v_dual_mov_b32 v23, v8 :: v_dual_bitop2_b32 v22, 12, v10 bitop3:0x54
	v_dual_cndmask_b32 v0, v9, v0 :: v_dual_mov_b32 v11, v8
	v_lshlrev_b32_e32 v43, 2, v1
	v_lshl_or_b32 v45, v9, 2, 12
	v_lshl_or_b32 v42, v10, 4, v41
	s_delay_alu instid0(VALU_DEP_4)
	v_dual_lshlrev_b32 v44, 2, v0 :: v_dual_bitop2_b32 v0, 32, v9 bitop3:0x54
	s_mov_b32 s9, 0
	s_wait_kmcnt 0x0
	v_add_nc_u64_e32 v[12:13], s[4:5], v[12:13]
	s_mov_b32 s8, s9
	s_mov_b32 s10, s9
	v_cmp_gt_i32_e32 vcc_lo, 32, v0
	v_xor_b32_e32 v1, 16, v9
	s_cmp_eq_u32 s3, 0
	v_lshl_add_u64 v[14:15], v[14:15], 4, s[4:5]
	s_cselect_b32 s0, -1, 0
	v_cndmask_b32_e32 v0, v9, v0, vcc_lo
	v_cmp_gt_i32_e32 vcc_lo, 32, v1
	s_cmp_lg_u32 s3, 0
	v_cmp_gt_u64_e64 s4, s[12:13], v[22:23]
	s_cselect_b32 s26, -1, 0
	v_dual_lshlrev_b32 v46, 2, v0 :: v_dual_cndmask_b32 v24, v9, v1, vcc_lo
	v_or_b32_e32 v0, 4, v10
	v_cmp_gt_i32_e32 vcc_lo, 32, v2
	v_dual_mov_b32 v1, v8 :: v_dual_mov_b32 v3, v8
	s_sub_co_i32 s1, 0, s12
	s_mov_b32 s11, s9
	v_cndmask_b32_e32 v25, v9, v2, vcc_lo
	v_or_b32_e32 v2, 8, v10
	v_cmp_gt_i32_e32 vcc_lo, 32, v16
	v_dual_mul_f32 v20, 0x4f7ffffe, v17 :: v_dual_lshlrev_b32 v47, 2, v24
	s_delay_alu instid0(VALU_DEP_4) | instskip(NEXT) | instid1(VALU_DEP_4)
	v_lshlrev_b32_e32 v48, 2, v25
	v_mul_u64_e32 v[18:19], s[12:13], v[2:3]
	v_cndmask_b32_e32 v9, v9, v16, vcc_lo
	v_mul_u64_e32 v[16:17], s[12:13], v[0:1]
	v_cvt_u32_f32_e32 v30, v20
	v_mul_u64_e32 v[20:21], s[12:13], v[22:23]
	v_cmp_gt_u64_e32 vcc_lo, s[12:13], v[10:11]
	v_dual_lshlrev_b32 v49, 2, v9 :: v_dual_bitop2_b32 v51, 64, v42 bitop3:0x54
	s_delay_alu instid0(VALU_DEP_4)
	v_mul_lo_u32 v24, s1, v30
	v_cmp_gt_u64_e64 s1, s[12:13], v[0:1]
	v_cmp_gt_u64_e64 s3, s[12:13], v[2:3]
	v_mov_b64_e32 v[0:1], s[8:9]
	v_mov_b64_e32 v[28:29], 0
	;; [unrolled: 1-line block ×3, first 2 shown]
	v_bfrev_b32_e32 v50, 0.5
	v_or_b32_e32 v52, 0x80, v42
	v_or_b32_e32 v53, 0xc0, v42
	s_mul_u64 s[20:21], s[12:13], s[12:13]
	s_mov_b32 s15, s9
	v_mul_hi_u32 v9, v30, v24
	s_mov_b32 s17, s9
	v_lshlrev_b32_e32 v22, 4, v10
	s_and_b32 s27, s2, vcc_lo
	s_and_b32 s28, s2, s1
	s_and_b32 s29, s2, s3
	s_mov_b64 s[10:11], 0xffffffff
	s_and_b32 s30, s2, s4
	s_ashr_i32 s2, s13, 31
	s_mov_b32 s31, 0
	s_delay_alu instid0(VALU_DEP_2)
	v_add_nc_u32_e32 v54, v30, v9
	s_branch .LBB172_10
.LBB172_8:                              ;   in Loop: Header=BB172_10 Depth=1
	s_wait_xcnt 0x0
	s_or_b32 exec_lo, exec_lo, s3
	v_mov_b64_e32 v[30:31], 1
.LBB172_9:                              ;   in Loop: Header=BB172_10 Depth=1
	s_or_b32 exec_lo, exec_lo, s1
	ds_bpermute_b32 v28, v46, v24
	ds_bpermute_b32 v29, v46, v25
	v_add_nc_u64_e32 v[6:7], v[30:31], v[6:7]
	s_wait_storecnt_dscnt 0x0
	v_min_i64 v[24:25], v[28:29], v[24:25]
	ds_bpermute_b32 v28, v47, v24
	ds_bpermute_b32 v29, v47, v25
	s_wait_dscnt 0x0
	v_min_i64 v[24:25], v[28:29], v[24:25]
	ds_bpermute_b32 v28, v48, v24
	ds_bpermute_b32 v29, v48, v25
	s_wait_dscnt 0x0
	;; [unrolled: 4-line block ×6, first 2 shown]
	v_cmp_le_i64_e32 vcc_lo, s[6:7], v[28:29]
	s_or_b32 s31, vcc_lo, s31
	s_delay_alu instid0(SALU_CYCLE_1)
	s_and_not1_b32 exec_lo, exec_lo, s31
	s_cbranch_execz .LBB172_40
.LBB172_10:                             ; =>This Loop Header: Depth=1
                                        ;     Child Loop BB172_13 Depth 2
	v_add_nc_u64_e32 v[26:27], v[26:27], v[10:11]
	v_mov_b64_e32 v[24:25], s[6:7]
	v_mov_b64_e32 v[38:39], v[4:5]
	s_mov_b32 s33, exec_lo
	ds_store_b8 v40, v8 offset:16384
	ds_store_b128 v42, v[0:3]
	ds_store_b128 v42, v[0:3] offset:64
	ds_store_b128 v42, v[0:3] offset:128
	;; [unrolled: 1-line block ×3, first 2 shown]
	s_wait_dscnt 0x0
	v_cmpx_lt_i64_e64 v[26:27], v[4:5]
	s_cbranch_execz .LBB172_22
; %bb.11:                               ;   in Loop: Header=BB172_10 Depth=1
	v_mov_b64_e32 v[24:25], s[6:7]
	v_mov_b64_e32 v[34:35], v[4:5]
	v_lshl_add_u64 v[30:31], v[26:27], 4, s[24:25]
	v_lshl_add_u64 v[32:33], v[26:27], 3, s[22:23]
	s_mov_b32 s34, 0
	s_branch .LBB172_13
.LBB172_12:                             ;   in Loop: Header=BB172_13 Depth=2
	s_wait_xcnt 0x0
	s_or_b32 exec_lo, exec_lo, s1
	v_add_nc_u64_e32 v[26:27], 4, v[26:27]
	s_xor_b32 s3, vcc_lo, -1
	v_add_nc_u64_e32 v[30:31], 64, v[30:31]
	v_add_nc_u64_e32 v[32:33], 32, v[32:33]
	v_mov_b64_e32 v[34:35], v[38:39]
	s_delay_alu instid0(VALU_DEP_4) | instskip(SKIP_1) | instid1(SALU_CYCLE_1)
	v_cmp_ge_i64_e64 s1, v[26:27], v[4:5]
	s_or_b32 s1, s3, s1
	s_and_b32 s1, exec_lo, s1
	s_delay_alu instid0(SALU_CYCLE_1) | instskip(NEXT) | instid1(SALU_CYCLE_1)
	s_or_b32 s34, s1, s34
	s_and_not1_b32 exec_lo, exec_lo, s34
	s_cbranch_execz .LBB172_21
.LBB172_13:                             ;   Parent Loop BB172_10 Depth=1
                                        ; =>  This Inner Loop Header: Depth=2
	global_load_b64 v[36:37], v[32:33], off
                                        ; implicit-def: $vgpr38_vgpr39
	s_mov_b32 s1, exec_lo
	s_wait_loadcnt 0x0
	v_sub_nc_u64_e64 v[36:37], v[36:37], s[14:15]
	s_delay_alu instid0(VALU_DEP_1) | instskip(SKIP_1) | instid1(VALU_DEP_1)
	v_or_b32_e32 v9, s13, v37
	s_wait_xcnt 0x0
	v_cmpx_ne_u64_e32 0, v[8:9]
	s_xor_b32 s35, exec_lo, s1
	s_cbranch_execz .LBB172_15
; %bb.14:                               ;   in Loop: Header=BB172_13 Depth=2
	s_mov_b32 s3, s2
	v_dual_mov_b32 v59, v8 :: v_dual_ashrrev_i32 v38, 31, v37
	s_add_nc_u64 s[4:5], s[12:13], s[2:3]
	s_delay_alu instid0(SALU_CYCLE_1) | instskip(NEXT) | instid1(VALU_DEP_1)
	s_xor_b64 s[4:5], s[4:5], s[2:3]
	v_mov_b32_e32 v39, v38
	s_cvt_f32_u32 s1, s4
	s_cvt_f32_u32 s3, s5
	s_sub_nc_u64 s[38:39], 0, s[4:5]
	s_delay_alu instid0(VALU_DEP_1) | instskip(NEXT) | instid1(SALU_CYCLE_1)
	v_add_nc_u64_e32 v[56:57], v[36:37], v[38:39]
	s_fmamk_f32 s1, s3, 0x4f800000, s1
	v_mov_b32_e32 v63, v8
	s_delay_alu instid0(SALU_CYCLE_2) | instskip(NEXT) | instid1(VALU_DEP_2)
	v_s_rcp_f32 s1, s1
	v_xor_b32_e32 v58, v56, v38
	s_delay_alu instid0(VALU_DEP_3) | instskip(NEXT) | instid1(TRANS32_DEP_1)
	v_dual_mov_b32 v67, v8 :: v_dual_bitop2_b32 v62, v57, v38 bitop3:0x14
	s_mul_f32 s1, s1, 0x5f7ffffc
	s_delay_alu instid0(SALU_CYCLE_3) | instskip(NEXT) | instid1(SALU_CYCLE_3)
	s_mul_f32 s3, s1, 0x2f800000
	s_trunc_f32 s3, s3
	s_delay_alu instid0(SALU_CYCLE_3) | instskip(SKIP_1) | instid1(SALU_CYCLE_2)
	s_fmamk_f32 s1, s3, 0xcf800000, s1
	s_cvt_u32_f32 s37, s3
	s_cvt_u32_f32 s36, s1
	s_delay_alu instid0(SALU_CYCLE_3) | instskip(NEXT) | instid1(SALU_CYCLE_1)
	s_mul_u64 s[40:41], s[38:39], s[36:37]
	s_mul_hi_u32 s43, s36, s41
	s_mul_i32 s42, s36, s41
	s_mul_hi_u32 s8, s36, s40
	s_mul_i32 s3, s37, s40
	s_add_nc_u64 s[42:43], s[8:9], s[42:43]
	s_mul_hi_u32 s1, s37, s40
	s_mul_hi_u32 s44, s37, s41
	s_add_co_u32 s3, s42, s3
	s_add_co_ci_u32 s8, s43, s1
	s_mul_i32 s40, s37, s41
	s_add_co_ci_u32 s41, s44, 0
	s_delay_alu instid0(SALU_CYCLE_1) | instskip(NEXT) | instid1(SALU_CYCLE_1)
	s_add_nc_u64 s[40:41], s[8:9], s[40:41]
	s_add_co_u32 s36, s36, s40
	s_cselect_b32 s1, -1, 0
	s_delay_alu instid0(SALU_CYCLE_1) | instskip(SKIP_1) | instid1(SALU_CYCLE_1)
	s_cmp_lg_u32 s1, 0
	s_add_co_ci_u32 s37, s37, s41
	s_mul_u64 s[38:39], s[38:39], s[36:37]
	s_delay_alu instid0(SALU_CYCLE_1)
	s_mul_hi_u32 s41, s36, s39
	s_mul_i32 s40, s36, s39
	s_mul_hi_u32 s8, s36, s38
	s_mul_i32 s3, s37, s38
	s_add_nc_u64 s[40:41], s[8:9], s[40:41]
	s_mul_hi_u32 s1, s37, s38
	s_mul_hi_u32 s42, s37, s39
	s_add_co_u32 s3, s40, s3
	s_add_co_ci_u32 s8, s41, s1
	s_mul_i32 s38, s37, s39
	s_add_co_ci_u32 s39, s42, 0
	s_delay_alu instid0(SALU_CYCLE_1) | instskip(NEXT) | instid1(SALU_CYCLE_1)
	s_add_nc_u64 s[38:39], s[8:9], s[38:39]
	s_add_co_u32 s36, s36, s38
	s_cselect_b32 s1, -1, 0
	v_mul_hi_u32 v66, v58, s36
	s_cmp_lg_u32 s1, 0
	s_add_co_ci_u32 s8, s37, s39
	s_and_b64 s[38:39], s[36:37], s[10:11]
	v_mul_u64_e32 v[60:61], s[8:9], v[58:59]
	v_mul_u64_e32 v[56:57], s[38:39], v[62:63]
	;; [unrolled: 1-line block ×3, first 2 shown]
	s_delay_alu instid0(VALU_DEP_3) | instskip(NEXT) | instid1(VALU_DEP_1)
	v_add_nc_u64_e32 v[60:61], v[66:67], v[60:61]
	v_add_co_u32 v9, vcc_lo, v60, v56
	s_delay_alu instid0(VALU_DEP_2) | instskip(NEXT) | instid1(VALU_DEP_4)
	v_add_co_ci_u32_e32 v66, vcc_lo, v61, v57, vcc_lo
	v_add_co_ci_u32_e32 v65, vcc_lo, 0, v65, vcc_lo
	s_delay_alu instid0(VALU_DEP_1) | instskip(NEXT) | instid1(VALU_DEP_1)
	v_add_nc_u64_e32 v[56:57], v[66:67], v[64:65]
	v_mul_u64_e32 v[60:61], s[4:5], v[56:57]
	s_delay_alu instid0(VALU_DEP_1) | instskip(NEXT) | instid1(VALU_DEP_2)
	v_sub_nc_u32_e32 v9, v62, v61
	v_sub_co_u32 v23, vcc_lo, v58, v60
	s_delay_alu instid0(VALU_DEP_1) | instskip(NEXT) | instid1(VALU_DEP_3)
	v_sub_co_ci_u32_e64 v39, null, v62, v61, vcc_lo
	v_subrev_co_ci_u32_e64 v9, null, s5, v9, vcc_lo
	s_delay_alu instid0(VALU_DEP_3) | instskip(SKIP_1) | instid1(VALU_DEP_3)
	v_sub_co_u32 v37, s1, v23, s4
	v_add_nc_u64_e32 v[58:59], 2, v[56:57]
	v_subrev_co_ci_u32_e64 v9, null, 0, v9, s1
	s_delay_alu instid0(VALU_DEP_3) | instskip(SKIP_2) | instid1(VALU_DEP_4)
	v_cmp_le_u32_e32 vcc_lo, s4, v37
	v_add_nc_u64_e32 v[60:61], 1, v[56:57]
	v_cndmask_b32_e64 v37, 0, -1, vcc_lo
	v_cmp_le_u32_e32 vcc_lo, s5, v9
	v_cndmask_b32_e64 v55, 0, -1, vcc_lo
	v_cmp_le_u32_e32 vcc_lo, s4, v23
	;; [unrolled: 2-line block ×3, first 2 shown]
	v_cndmask_b32_e64 v62, 0, -1, vcc_lo
	v_cmp_eq_u32_e32 vcc_lo, s5, v9
	v_cndmask_b32_e32 v9, v55, v37, vcc_lo
	v_cmp_eq_u32_e32 vcc_lo, s5, v39
	s_delay_alu instid0(VALU_DEP_4) | instskip(NEXT) | instid1(VALU_DEP_3)
	v_cndmask_b32_e32 v23, v62, v23, vcc_lo
	v_cmp_ne_u32_e32 vcc_lo, 0, v9
	s_delay_alu instid0(VALU_DEP_2) | instskip(SKIP_1) | instid1(VALU_DEP_1)
	v_cmp_ne_u32_e64 s1, 0, v23
	v_dual_cndmask_b32 v9, v61, v59, vcc_lo :: v_dual_cndmask_b32 v23, v60, v58, vcc_lo
	v_dual_cndmask_b32 v9, v57, v9, s1 :: v_dual_bitop2_b32 v38, s2, v38 bitop3:0x14
	s_delay_alu instid0(VALU_DEP_1) | instskip(NEXT) | instid1(VALU_DEP_2)
	v_dual_cndmask_b32 v23, v56, v23, s1 :: v_dual_mov_b32 v39, v38
	v_xor_b32_e32 v57, v9, v38
	s_delay_alu instid0(VALU_DEP_2) | instskip(NEXT) | instid1(VALU_DEP_1)
	v_xor_b32_e32 v56, v23, v38
	v_sub_nc_u64_e32 v[38:39], v[56:57], v[38:39]
.LBB172_15:                             ;   in Loop: Header=BB172_13 Depth=2
	s_and_not1_saveexec_b32 s1, s35
	s_cbranch_execz .LBB172_17
; %bb.16:                               ;   in Loop: Header=BB172_13 Depth=2
	v_mul_hi_u32 v9, v36, v54
	v_mov_b32_e32 v39, v8
	s_delay_alu instid0(VALU_DEP_2) | instskip(NEXT) | instid1(VALU_DEP_1)
	v_mul_lo_u32 v23, v9, s12
	v_dual_add_nc_u32 v37, 1, v9 :: v_dual_sub_nc_u32 v23, v36, v23
	s_delay_alu instid0(VALU_DEP_1) | instskip(SKIP_1) | instid1(VALU_DEP_2)
	v_subrev_nc_u32_e32 v38, s12, v23
	v_cmp_le_u32_e32 vcc_lo, s12, v23
	v_dual_cndmask_b32 v23, v23, v38, vcc_lo :: v_dual_cndmask_b32 v9, v9, v37, vcc_lo
	s_delay_alu instid0(VALU_DEP_1) | instskip(NEXT) | instid1(VALU_DEP_2)
	v_cmp_le_u32_e32 vcc_lo, s12, v23
	v_add_nc_u32_e32 v37, 1, v9
	s_delay_alu instid0(VALU_DEP_1)
	v_cndmask_b32_e32 v38, v9, v37, vcc_lo
.LBB172_17:                             ;   in Loop: Header=BB172_13 Depth=2
	s_or_b32 exec_lo, exec_lo, s1
	s_delay_alu instid0(VALU_DEP_1) | instskip(SKIP_2) | instid1(SALU_CYCLE_1)
	v_cmp_ne_u64_e64 s1, v[38:39], v[28:29]
	v_cmp_eq_u64_e32 vcc_lo, v[38:39], v[28:29]
	s_and_saveexec_b32 s3, s1
	s_xor_b32 s1, exec_lo, s3
; %bb.18:                               ;   in Loop: Header=BB172_13 Depth=2
	v_min_i64 v[24:25], v[38:39], v[24:25]
                                        ; implicit-def: $vgpr36_vgpr37
                                        ; implicit-def: $vgpr34_vgpr35
; %bb.19:                               ;   in Loop: Header=BB172_13 Depth=2
	s_or_saveexec_b32 s1, s1
	v_mov_b64_e32 v[38:39], v[26:27]
	s_xor_b32 exec_lo, exec_lo, s1
	s_cbranch_execz .LBB172_12
; %bb.20:                               ;   in Loop: Header=BB172_13 Depth=2
	global_load_b128 v[56:59], v[30:31], off
	v_mul_u64_e32 v[38:39], s[12:13], v[28:29]
	s_delay_alu instid0(VALU_DEP_1) | instskip(SKIP_1) | instid1(VALU_DEP_2)
	v_dual_mov_b32 v23, 1 :: v_dual_sub_nc_u32 v9, v36, v38
	v_mov_b64_e32 v[38:39], v[34:35]
	v_lshl_add_u32 v9, v9, 4, v41
	ds_store_b8 v40, v23 offset:16384
	s_wait_loadcnt 0x0
	ds_store_2addr_b64 v9, v[56:57], v[58:59] offset1:1
	s_branch .LBB172_12
.LBB172_21:                             ;   in Loop: Header=BB172_10 Depth=1
	s_or_b32 exec_lo, exec_lo, s34
.LBB172_22:                             ;   in Loop: Header=BB172_10 Depth=1
	s_delay_alu instid0(SALU_CYCLE_1)
	s_or_b32 exec_lo, exec_lo, s33
	ds_bpermute_b32 v26, v43, v38
	ds_bpermute_b32 v27, v43, v39
	s_wait_dscnt 0x0
	ds_load_u8 v9, v40 offset:16384
	s_mov_b32 s1, exec_lo
	v_min_i64 v[26:27], v[26:27], v[38:39]
	s_wait_dscnt 0x0
	v_and_b32_e32 v9, 1, v9
	ds_bpermute_b32 v30, v44, v26
	ds_bpermute_b32 v31, v44, v27
	s_wait_dscnt 0x0
	v_min_i64 v[26:27], v[30:31], v[26:27]
	v_mov_b64_e32 v[30:31], 0
	ds_bpermute_b32 v26, v45, v26
	ds_bpermute_b32 v27, v45, v27
	v_cmpx_eq_u32_e32 1, v9
	s_cbranch_execz .LBB172_9
; %bb.23:                               ;   in Loop: Header=BB172_10 Depth=1
	v_mul_u64_e32 v[30:31], s[20:21], v[6:7]
	v_add_nc_u64_e32 v[34:35], s[16:17], v[28:29]
	s_delay_alu instid0(VALU_DEP_2) | instskip(NEXT) | instid1(VALU_DEP_1)
	v_lshlrev_b64_e32 v[32:33], 4, v[30:31]
	v_add_nc_u64_e32 v[30:31], v[12:13], v[32:33]
	v_add_nc_u64_e32 v[28:29], v[14:15], v[32:33]
	v_lshl_add_u64 v[32:33], v[6:7], 3, s[18:19]
	global_store_b64 v[32:33], v[34:35], off
	s_wait_xcnt 0x0
	s_and_saveexec_b32 s3, s27
	s_cbranch_execz .LBB172_25
; %bb.24:                               ;   in Loop: Header=BB172_10 Depth=1
	v_mul_u64_e32 v[36:37], s[12:13], v[10:11]
	ds_load_2addr_b64 v[32:35], v42 offset1:1
	v_lshl_add_u64 v[36:37], v[36:37], 4, v[30:31]
	v_mov_b32_e32 v23, v8
	s_delay_alu instid0(VALU_DEP_1) | instskip(NEXT) | instid1(VALU_DEP_1)
	v_add_nc_u64_e32 v[38:39], v[28:29], v[22:23]
	v_dual_cndmask_b32 v37, v37, v39, s0 :: v_dual_cndmask_b32 v36, v36, v38, s0
	s_wait_dscnt 0x0
	global_store_b128 v[36:37], v[32:35], off
.LBB172_25:                             ;   in Loop: Header=BB172_10 Depth=1
	s_wait_xcnt 0x0
	s_or_b32 exec_lo, exec_lo, s3
	s_and_saveexec_b32 s3, s28
	s_cbranch_execz .LBB172_30
; %bb.26:                               ;   in Loop: Header=BB172_10 Depth=1
	s_and_not1_b32 vcc_lo, exec_lo, s26
	s_mov_b32 s4, -1
	s_cbranch_vccnz .LBB172_28
; %bb.27:                               ;   in Loop: Header=BB172_10 Depth=1
	ds_load_2addr_b64 v[32:35], v51 offset1:1
	v_lshl_add_u64 v[36:37], v[16:17], 4, v[30:31]
	s_mov_b32 s4, 0
	s_wait_dscnt 0x0
	global_store_b128 v[36:37], v[32:35], off
.LBB172_28:                             ;   in Loop: Header=BB172_10 Depth=1
	s_and_not1_b32 vcc_lo, exec_lo, s4
	s_cbranch_vccnz .LBB172_30
; %bb.29:                               ;   in Loop: Header=BB172_10 Depth=1
	s_wait_xcnt 0x0
	ds_load_2addr_b64 v[32:35], v51 offset1:1
	v_mov_b32_e32 v23, v8
	s_delay_alu instid0(VALU_DEP_1)
	v_add_nc_u64_e32 v[36:37], v[28:29], v[22:23]
	s_wait_dscnt 0x0
	global_store_b128 v[36:37], v[32:35], off offset:64
.LBB172_30:                             ;   in Loop: Header=BB172_10 Depth=1
	s_wait_xcnt 0x0
	s_or_b32 exec_lo, exec_lo, s3
	s_and_saveexec_b32 s3, s29
	s_cbranch_execz .LBB172_35
; %bb.31:                               ;   in Loop: Header=BB172_10 Depth=1
	s_and_not1_b32 vcc_lo, exec_lo, s26
	s_mov_b32 s4, -1
	s_cbranch_vccnz .LBB172_33
; %bb.32:                               ;   in Loop: Header=BB172_10 Depth=1
	ds_load_2addr_b64 v[32:35], v52 offset1:1
	v_lshl_add_u64 v[36:37], v[18:19], 4, v[30:31]
	s_mov_b32 s4, 0
	s_wait_dscnt 0x0
	global_store_b128 v[36:37], v[32:35], off
.LBB172_33:                             ;   in Loop: Header=BB172_10 Depth=1
	s_and_not1_b32 vcc_lo, exec_lo, s4
	s_cbranch_vccnz .LBB172_35
; %bb.34:                               ;   in Loop: Header=BB172_10 Depth=1
	s_wait_xcnt 0x0
	ds_load_2addr_b64 v[32:35], v52 offset1:1
	v_mov_b32_e32 v23, v8
	s_delay_alu instid0(VALU_DEP_1)
	v_add_nc_u64_e32 v[36:37], v[28:29], v[22:23]
	s_wait_dscnt 0x0
	global_store_b128 v[36:37], v[32:35], off offset:128
.LBB172_35:                             ;   in Loop: Header=BB172_10 Depth=1
	s_wait_xcnt 0x0
	s_or_b32 exec_lo, exec_lo, s3
	s_and_saveexec_b32 s3, s30
	s_cbranch_execz .LBB172_8
; %bb.36:                               ;   in Loop: Header=BB172_10 Depth=1
	s_and_not1_b32 vcc_lo, exec_lo, s26
	s_mov_b32 s4, -1
	s_cbranch_vccnz .LBB172_38
; %bb.37:                               ;   in Loop: Header=BB172_10 Depth=1
	ds_load_2addr_b64 v[32:35], v53 offset1:1
	v_lshl_add_u64 v[30:31], v[20:21], 4, v[30:31]
	s_mov_b32 s4, 0
	s_wait_dscnt 0x0
	global_store_b128 v[30:31], v[32:35], off
.LBB172_38:                             ;   in Loop: Header=BB172_10 Depth=1
	s_and_not1_b32 vcc_lo, exec_lo, s4
	s_cbranch_vccnz .LBB172_8
; %bb.39:                               ;   in Loop: Header=BB172_10 Depth=1
	s_wait_xcnt 0x0
	ds_load_2addr_b64 v[30:33], v53 offset1:1
	v_mov_b32_e32 v23, v8
	s_delay_alu instid0(VALU_DEP_1)
	v_add_nc_u64_e32 v[28:29], v[28:29], v[22:23]
	s_wait_dscnt 0x0
	global_store_b128 v[28:29], v[30:33], off offset:192
	s_branch .LBB172_8
.LBB172_40:
	s_endpgm
	.section	.rodata,"a",@progbits
	.p2align	6, 0x0
	.amdhsa_kernel _ZN9rocsparseL42csr2bsr_wavefront_per_row_multipass_kernelILj256ELj64ELj16E21rocsparse_complex_numIdEllEEv20rocsparse_direction_T4_S4_S4_S4_S4_21rocsparse_index_base_PKT2_PKT3_PKS4_S5_PS6_PS9_PS4_
		.amdhsa_group_segment_fixed_size 16392
		.amdhsa_private_segment_fixed_size 0
		.amdhsa_kernarg_size 112
		.amdhsa_user_sgpr_count 2
		.amdhsa_user_sgpr_dispatch_ptr 0
		.amdhsa_user_sgpr_queue_ptr 0
		.amdhsa_user_sgpr_kernarg_segment_ptr 1
		.amdhsa_user_sgpr_dispatch_id 0
		.amdhsa_user_sgpr_kernarg_preload_length 0
		.amdhsa_user_sgpr_kernarg_preload_offset 0
		.amdhsa_user_sgpr_private_segment_size 0
		.amdhsa_wavefront_size32 1
		.amdhsa_uses_dynamic_stack 0
		.amdhsa_enable_private_segment 0
		.amdhsa_system_sgpr_workgroup_id_x 1
		.amdhsa_system_sgpr_workgroup_id_y 0
		.amdhsa_system_sgpr_workgroup_id_z 0
		.amdhsa_system_sgpr_workgroup_info 0
		.amdhsa_system_vgpr_workitem_id 0
		.amdhsa_next_free_vgpr 68
		.amdhsa_next_free_sgpr 45
		.amdhsa_named_barrier_count 0
		.amdhsa_reserve_vcc 1
		.amdhsa_float_round_mode_32 0
		.amdhsa_float_round_mode_16_64 0
		.amdhsa_float_denorm_mode_32 3
		.amdhsa_float_denorm_mode_16_64 3
		.amdhsa_fp16_overflow 0
		.amdhsa_memory_ordered 1
		.amdhsa_forward_progress 1
		.amdhsa_inst_pref_size 21
		.amdhsa_round_robin_scheduling 0
		.amdhsa_exception_fp_ieee_invalid_op 0
		.amdhsa_exception_fp_denorm_src 0
		.amdhsa_exception_fp_ieee_div_zero 0
		.amdhsa_exception_fp_ieee_overflow 0
		.amdhsa_exception_fp_ieee_underflow 0
		.amdhsa_exception_fp_ieee_inexact 0
		.amdhsa_exception_int_div_zero 0
	.end_amdhsa_kernel
	.section	.text._ZN9rocsparseL42csr2bsr_wavefront_per_row_multipass_kernelILj256ELj64ELj16E21rocsparse_complex_numIdEllEEv20rocsparse_direction_T4_S4_S4_S4_S4_21rocsparse_index_base_PKT2_PKT3_PKS4_S5_PS6_PS9_PS4_,"axG",@progbits,_ZN9rocsparseL42csr2bsr_wavefront_per_row_multipass_kernelILj256ELj64ELj16E21rocsparse_complex_numIdEllEEv20rocsparse_direction_T4_S4_S4_S4_S4_21rocsparse_index_base_PKT2_PKT3_PKS4_S5_PS6_PS9_PS4_,comdat
.Lfunc_end172:
	.size	_ZN9rocsparseL42csr2bsr_wavefront_per_row_multipass_kernelILj256ELj64ELj16E21rocsparse_complex_numIdEllEEv20rocsparse_direction_T4_S4_S4_S4_S4_21rocsparse_index_base_PKT2_PKT3_PKS4_S5_PS6_PS9_PS4_, .Lfunc_end172-_ZN9rocsparseL42csr2bsr_wavefront_per_row_multipass_kernelILj256ELj64ELj16E21rocsparse_complex_numIdEllEEv20rocsparse_direction_T4_S4_S4_S4_S4_21rocsparse_index_base_PKT2_PKT3_PKS4_S5_PS6_PS9_PS4_
                                        ; -- End function
	.set _ZN9rocsparseL42csr2bsr_wavefront_per_row_multipass_kernelILj256ELj64ELj16E21rocsparse_complex_numIdEllEEv20rocsparse_direction_T4_S4_S4_S4_S4_21rocsparse_index_base_PKT2_PKT3_PKS4_S5_PS6_PS9_PS4_.num_vgpr, 68
	.set _ZN9rocsparseL42csr2bsr_wavefront_per_row_multipass_kernelILj256ELj64ELj16E21rocsparse_complex_numIdEllEEv20rocsparse_direction_T4_S4_S4_S4_S4_21rocsparse_index_base_PKT2_PKT3_PKS4_S5_PS6_PS9_PS4_.num_agpr, 0
	.set _ZN9rocsparseL42csr2bsr_wavefront_per_row_multipass_kernelILj256ELj64ELj16E21rocsparse_complex_numIdEllEEv20rocsparse_direction_T4_S4_S4_S4_S4_21rocsparse_index_base_PKT2_PKT3_PKS4_S5_PS6_PS9_PS4_.numbered_sgpr, 45
	.set _ZN9rocsparseL42csr2bsr_wavefront_per_row_multipass_kernelILj256ELj64ELj16E21rocsparse_complex_numIdEllEEv20rocsparse_direction_T4_S4_S4_S4_S4_21rocsparse_index_base_PKT2_PKT3_PKS4_S5_PS6_PS9_PS4_.num_named_barrier, 0
	.set _ZN9rocsparseL42csr2bsr_wavefront_per_row_multipass_kernelILj256ELj64ELj16E21rocsparse_complex_numIdEllEEv20rocsparse_direction_T4_S4_S4_S4_S4_21rocsparse_index_base_PKT2_PKT3_PKS4_S5_PS6_PS9_PS4_.private_seg_size, 0
	.set _ZN9rocsparseL42csr2bsr_wavefront_per_row_multipass_kernelILj256ELj64ELj16E21rocsparse_complex_numIdEllEEv20rocsparse_direction_T4_S4_S4_S4_S4_21rocsparse_index_base_PKT2_PKT3_PKS4_S5_PS6_PS9_PS4_.uses_vcc, 1
	.set _ZN9rocsparseL42csr2bsr_wavefront_per_row_multipass_kernelILj256ELj64ELj16E21rocsparse_complex_numIdEllEEv20rocsparse_direction_T4_S4_S4_S4_S4_21rocsparse_index_base_PKT2_PKT3_PKS4_S5_PS6_PS9_PS4_.uses_flat_scratch, 0
	.set _ZN9rocsparseL42csr2bsr_wavefront_per_row_multipass_kernelILj256ELj64ELj16E21rocsparse_complex_numIdEllEEv20rocsparse_direction_T4_S4_S4_S4_S4_21rocsparse_index_base_PKT2_PKT3_PKS4_S5_PS6_PS9_PS4_.has_dyn_sized_stack, 0
	.set _ZN9rocsparseL42csr2bsr_wavefront_per_row_multipass_kernelILj256ELj64ELj16E21rocsparse_complex_numIdEllEEv20rocsparse_direction_T4_S4_S4_S4_S4_21rocsparse_index_base_PKT2_PKT3_PKS4_S5_PS6_PS9_PS4_.has_recursion, 0
	.set _ZN9rocsparseL42csr2bsr_wavefront_per_row_multipass_kernelILj256ELj64ELj16E21rocsparse_complex_numIdEllEEv20rocsparse_direction_T4_S4_S4_S4_S4_21rocsparse_index_base_PKT2_PKT3_PKS4_S5_PS6_PS9_PS4_.has_indirect_call, 0
	.section	.AMDGPU.csdata,"",@progbits
; Kernel info:
; codeLenInByte = 2676
; TotalNumSgprs: 47
; NumVgprs: 68
; ScratchSize: 0
; MemoryBound: 0
; FloatMode: 240
; IeeeMode: 1
; LDSByteSize: 16392 bytes/workgroup (compile time only)
; SGPRBlocks: 0
; VGPRBlocks: 4
; NumSGPRsForWavesPerEU: 47
; NumVGPRsForWavesPerEU: 68
; NamedBarCnt: 0
; Occupancy: 12
; WaveLimiterHint : 0
; COMPUTE_PGM_RSRC2:SCRATCH_EN: 0
; COMPUTE_PGM_RSRC2:USER_SGPR: 2
; COMPUTE_PGM_RSRC2:TRAP_HANDLER: 0
; COMPUTE_PGM_RSRC2:TGID_X_EN: 1
; COMPUTE_PGM_RSRC2:TGID_Y_EN: 0
; COMPUTE_PGM_RSRC2:TGID_Z_EN: 0
; COMPUTE_PGM_RSRC2:TIDIG_COMP_CNT: 0
	.section	.text._ZN9rocsparseL42csr2bsr_wavefront_per_row_multipass_kernelILj256ELj32ELj16E21rocsparse_complex_numIdEllEEv20rocsparse_direction_T4_S4_S4_S4_S4_21rocsparse_index_base_PKT2_PKT3_PKS4_S5_PS6_PS9_PS4_,"axG",@progbits,_ZN9rocsparseL42csr2bsr_wavefront_per_row_multipass_kernelILj256ELj32ELj16E21rocsparse_complex_numIdEllEEv20rocsparse_direction_T4_S4_S4_S4_S4_21rocsparse_index_base_PKT2_PKT3_PKS4_S5_PS6_PS9_PS4_,comdat
	.globl	_ZN9rocsparseL42csr2bsr_wavefront_per_row_multipass_kernelILj256ELj32ELj16E21rocsparse_complex_numIdEllEEv20rocsparse_direction_T4_S4_S4_S4_S4_21rocsparse_index_base_PKT2_PKT3_PKS4_S5_PS6_PS9_PS4_ ; -- Begin function _ZN9rocsparseL42csr2bsr_wavefront_per_row_multipass_kernelILj256ELj32ELj16E21rocsparse_complex_numIdEllEEv20rocsparse_direction_T4_S4_S4_S4_S4_21rocsparse_index_base_PKT2_PKT3_PKS4_S5_PS6_PS9_PS4_
	.p2align	8
	.type	_ZN9rocsparseL42csr2bsr_wavefront_per_row_multipass_kernelILj256ELj32ELj16E21rocsparse_complex_numIdEllEEv20rocsparse_direction_T4_S4_S4_S4_S4_21rocsparse_index_base_PKT2_PKT3_PKS4_S5_PS6_PS9_PS4_,@function
_ZN9rocsparseL42csr2bsr_wavefront_per_row_multipass_kernelILj256ELj32ELj16E21rocsparse_complex_numIdEllEEv20rocsparse_direction_T4_S4_S4_S4_S4_21rocsparse_index_base_PKT2_PKT3_PKS4_S5_PS6_PS9_PS4_: ; @_ZN9rocsparseL42csr2bsr_wavefront_per_row_multipass_kernelILj256ELj32ELj16E21rocsparse_complex_numIdEllEEv20rocsparse_direction_T4_S4_S4_S4_S4_21rocsparse_index_base_PKT2_PKT3_PKS4_S5_PS6_PS9_PS4_
; %bb.0:
	s_bfe_u32 s2, ttmp6, 0x4000c
	s_clause 0x1
	s_load_b96 s[16:18], s[0:1], 0x28
	s_load_b64 s[6:7], s[0:1], 0x40
	s_add_co_i32 s2, s2, 1
	s_and_b32 s3, ttmp6, 15
	s_mul_i32 s2, ttmp9, s2
	s_getreg_b32 s4, hwreg(HW_REG_IB_STS2, 6, 4)
	s_add_co_i32 s3, s3, s2
	s_cmp_eq_u32 s4, 0
	v_dual_mov_b32 v3, 0 :: v_dual_lshrrev_b32 v52, 5, v0
	s_cselect_b32 s4, ttmp9, s3
	v_bfe_u32 v2, v0, 1, 4
	s_ashr_i32 s5, s4, 31
	v_mov_b64_e32 v[36:37], 0
	s_lshl_b64 s[2:3], s[4:5], 3
	s_mov_b32 s19, 0
	v_or_b32_e32 v1, s2, v52
	s_load_b128 s[8:11], s[0:1], 0x18
	s_wait_kmcnt 0x0
	s_delay_alu instid0(VALU_DEP_1) | instskip(NEXT) | instid1(VALU_DEP_1)
	v_mad_nc_u64_u32 v[6:7], v1, s16, v[2:3]
	v_mad_u32 v4, s3, s16, v7
	s_load_b64 s[2:3], s[0:1], 0x8
	s_delay_alu instid0(VALU_DEP_1) | instskip(SKIP_2) | instid1(VALU_DEP_2)
	v_mad_u32 v7, v1, s17, v4
	v_mov_b64_e32 v[4:5], 0
	s_wait_kmcnt 0x0
	v_cmp_gt_i64_e32 vcc_lo, s[2:3], v[6:7]
	v_cmp_gt_i64_e64 s2, s[16:17], v[2:3]
	s_and_b32 s3, s2, vcc_lo
	s_delay_alu instid0(SALU_CYCLE_1)
	s_and_saveexec_b32 s5, s3
	s_cbranch_execz .LBB173_2
; %bb.1:
	v_lshl_add_u64 v[8:9], v[6:7], 3, s[6:7]
	global_load_b64 v[8:9], v[8:9], off
	s_wait_loadcnt 0x0
	v_sub_nc_u64_e64 v[36:37], v[8:9], s[18:19]
.LBB173_2:
	s_or_b32 exec_lo, exec_lo, s5
	s_and_saveexec_b32 s5, s3
	s_cbranch_execz .LBB173_4
; %bb.3:
	v_lshl_add_u64 v[4:5], v[6:7], 3, s[6:7]
	global_load_b64 v[4:5], v[4:5], off offset:8
	s_wait_loadcnt 0x0
	v_sub_nc_u64_e64 v[4:5], v[4:5], s[18:19]
.LBB173_4:
	s_or_b32 exec_lo, exec_lo, s5
	s_load_b32 s20, s[0:1], 0x50
	v_mov_b64_e32 v[6:7], 0
	v_lshl_or_b32 v8, s4, 3, v52
	v_mov_b32_e32 v9, 0
	s_mov_b32 s3, exec_lo
	s_delay_alu instid0(VALU_DEP_1)
	v_cmpx_gt_i64_e64 s[8:9], v[8:9]
	s_cbranch_execz .LBB173_6
; %bb.5:
	s_load_b64 s[4:5], s[0:1], 0x60
	s_mov_b32 s21, 0
	s_wait_kmcnt 0x0
	v_lshl_add_u64 v[6:7], v[8:9], 3, s[4:5]
	global_load_b64 v[6:7], v[6:7], off
	s_wait_loadcnt 0x0
	v_sub_nc_u64_e64 v[6:7], v[6:7], s[20:21]
.LBB173_6:
	s_or_b32 exec_lo, exec_lo, s3
	v_cmp_lt_i64_e64 s3, s[10:11], 1
	s_and_b32 vcc_lo, exec_lo, s3
	s_cbranch_vccnz .LBB173_60
; %bb.7:
	v_mbcnt_lo_u32_b32 v1, -1, 0
	v_dual_mov_b32 v8, 0 :: v_dual_lshlrev_b32 v12, 4, v2
	v_lshlrev_b32_e32 v9, 8, v2
	v_mul_u64_e32 v[2:3], s[16:17], v[2:3]
	s_delay_alu instid0(VALU_DEP_4) | instskip(NEXT) | instid1(VALU_DEP_4)
	v_xor_b32_e32 v11, 1, v1
	v_dual_mov_b32 v13, v8 :: v_dual_bitop2_b32 v10, 1, v0 bitop3:0x40
	s_delay_alu instid0(VALU_DEP_4) | instskip(SKIP_1) | instid1(VALU_DEP_4)
	v_lshl_or_b32 v53, v52, 12, v9
	v_xor_b32_e32 v15, 2, v1
	v_cmp_gt_i32_e32 vcc_lo, 32, v11
	v_xor_b32_e32 v14, 4, v1
	s_clause 0x4
	s_load_b64 s[4:5], s[0:1], 0x58
	s_load_b64 s[22:23], s[0:1], 0x48
	;; [unrolled: 1-line block ×3, first 2 shown]
	s_load_b32 s3, s[0:1], 0x0
	s_load_b64 s[26:27], s[0:1], 0x68
	v_lshl_or_b32 v54, v10, 4, v53
	v_lshl_or_b32 v56, v1, 2, 4
	v_dual_cndmask_b32 v0, v1, v11 :: v_dual_mov_b32 v11, v8
	v_dual_mov_b32 v39, v8 :: v_dual_bitop2_b32 v32, 6, v10 bitop3:0x54
	s_delay_alu instid0(VALU_DEP_2) | instskip(SKIP_4) | instid1(VALU_DEP_4)
	v_dual_lshlrev_b32 v55, 2, v0 :: v_dual_bitop2_b32 v63, 64, v54 bitop3:0x54
	v_xor_b32_e32 v0, 16, v1
	v_or_b32_e32 v62, 32, v54
	v_dual_mov_b32 v69, 1 :: v_dual_bitop2_b32 v34, 10, v10 bitop3:0x54
	v_or_b32_e32 v40, 14, v10
	v_cmp_gt_i32_e32 vcc_lo, 32, v0
	v_xor_b32_e32 v9, 8, v1
	s_wait_kmcnt 0x0
	v_add_nc_u64_e32 v[12:13], s[4:5], v[12:13]
	s_mov_b32 s13, 0
	v_or_b32_e32 v64, 0x60, v54
	v_cndmask_b32_e32 v0, v1, v0, vcc_lo
	v_cmp_gt_i32_e32 vcc_lo, 32, v9
	s_cmp_eq_u32 s3, 0
	s_mov_b32 s12, s13
	s_cselect_b32 s0, -1, 0
	v_dual_lshlrev_b32 v57, 2, v0 :: v_dual_cndmask_b32 v9, v1, v9, vcc_lo
	v_cmp_gt_i32_e32 vcc_lo, 32, v14
	s_cmp_lg_u32 s3, 0
	v_dual_mov_b32 v33, v8 :: v_dual_bitop2_b32 v0, 2, v10 bitop3:0x54
	s_cselect_b32 s9, -1, 0
	v_dual_cndmask_b32 v16, v1, v14, vcc_lo :: v_dual_lshlrev_b32 v58, 2, v9
	v_cvt_f32_u32_e32 v9, s16
	v_cmp_gt_i32_e32 vcc_lo, 32, v15
	v_mov_b32_e32 v35, v8
	v_mul_u64_e32 v[22:23], s[16:17], v[32:33]
	v_lshlrev_b32_e32 v59, 2, v16
	v_rcp_iflag_f32_e32 v9, v9
	v_cndmask_b32_e32 v1, v1, v15, vcc_lo
	v_lshl_add_u64 v[14:15], v[2:3], 4, s[4:5]
	v_dual_mov_b32 v3, v8 :: v_dual_bitop2_b32 v2, 4, v10 bitop3:0x54
	s_sub_co_i32 s5, 0, s16
	v_cmp_gt_u64_e64 s4, s[16:17], v[32:33]
	s_delay_alu instid0(TRANS32_DEP_1) | instskip(SKIP_3) | instid1(VALU_DEP_4)
	v_mul_f32_e32 v9, 0x4f7ffffe, v9
	v_dual_mov_b32 v61, 0x7c :: v_dual_lshlrev_b32 v60, 2, v1
	v_mul_u64_e32 v[20:21], s[16:17], v[2:3]
	v_cmp_gt_u64_e64 s3, s[16:17], v[2:3]
	v_cvt_u32_f32_e32 v9, v9
	v_dual_mov_b32 v1, v8 :: v_dual_mov_b32 v41, v8
	v_mul_u64_e32 v[16:17], s[16:17], v[10:11]
	v_mul_u64_e32 v[26:27], s[16:17], v[34:35]
	s_delay_alu instid0(VALU_DEP_4) | instskip(NEXT) | instid1(VALU_DEP_4)
	v_mul_lo_u32 v2, s5, v9
	v_cmp_gt_u64_e64 s1, s[16:17], v[0:1]
	v_mul_u64_e32 v[18:19], s[16:17], v[0:1]
	v_or_b32_e32 v0, 8, v10
	v_cmp_gt_u64_e32 vcc_lo, s[16:17], v[10:11]
	v_cmp_gt_u64_e64 s6, s[16:17], v[34:35]
	s_mov_b32 s14, s13
	s_mov_b32 s15, s13
	v_mul_u64_e32 v[24:25], s[16:17], v[0:1]
	v_cmp_gt_u64_e64 s5, s[16:17], v[0:1]
	v_or_b32_e32 v65, 0x80, v54
	v_mul_hi_u32 v32, v9, v2
	v_or_b32_e32 v38, 12, v10
	v_mov_b64_e32 v[0:1], s[12:13]
	v_mov_b64_e32 v[2:3], s[14:15]
	v_or_b32_e32 v66, 0xa0, v54
	v_or_b32_e32 v67, 0xc0, v54
	;; [unrolled: 1-line block ×3, first 2 shown]
	s_mul_u64 s[28:29], s[16:17], s[16:17]
	s_mov_b32 s19, s13
	s_mov_b32 s21, s13
	s_and_b32 s30, s2, vcc_lo
	v_add_nc_u32_e32 v70, v9, v32
	v_mul_u64_e32 v[28:29], s[16:17], v[38:39]
	v_lshlrev_b32_e32 v32, 4, v10
	v_mul_u64_e32 v[30:31], s[16:17], v[40:41]
	v_cmp_gt_u64_e64 s7, s[16:17], v[38:39]
	v_cmp_gt_u64_e64 s8, s[16:17], v[40:41]
	v_mov_b64_e32 v[38:39], 0
	s_and_b32 s31, s2, s1
	s_and_b32 s33, s2, s3
	;; [unrolled: 1-line block ×6, first 2 shown]
	s_mov_b64 s[4:5], 0xffffffff
	s_and_b32 s8, s2, s8
	s_ashr_i32 s2, s17, 31
	s_mov_b32 s14, 0
	s_branch .LBB173_10
.LBB173_8:                              ;   in Loop: Header=BB173_10 Depth=1
	s_wait_xcnt 0x0
	s_or_b32 exec_lo, exec_lo, s3
	v_mov_b64_e32 v[40:41], 1
.LBB173_9:                              ;   in Loop: Header=BB173_10 Depth=1
	s_or_b32 exec_lo, exec_lo, s1
	ds_bpermute_b32 v38, v57, v34
	ds_bpermute_b32 v39, v57, v35
	v_add_nc_u64_e32 v[6:7], v[40:41], v[6:7]
	s_wait_storecnt_dscnt 0x0
	v_min_i64 v[34:35], v[38:39], v[34:35]
	ds_bpermute_b32 v38, v58, v34
	ds_bpermute_b32 v39, v58, v35
	s_wait_dscnt 0x0
	v_min_i64 v[34:35], v[38:39], v[34:35]
	ds_bpermute_b32 v38, v59, v34
	ds_bpermute_b32 v39, v59, v35
	s_wait_dscnt 0x0
	;; [unrolled: 4-line block ×5, first 2 shown]
	v_cmp_le_i64_e32 vcc_lo, s[10:11], v[38:39]
	s_or_b32 s14, vcc_lo, s14
	s_delay_alu instid0(SALU_CYCLE_1)
	s_and_not1_b32 exec_lo, exec_lo, s14
	s_cbranch_execz .LBB173_60
.LBB173_10:                             ; =>This Loop Header: Depth=1
                                        ;     Child Loop BB173_13 Depth 2
	v_add_nc_u64_e32 v[36:37], v[36:37], v[10:11]
	v_mov_b64_e32 v[34:35], s[10:11]
	v_mov_b64_e32 v[50:51], v[4:5]
	s_mov_b32 s15, exec_lo
	ds_store_b8 v52, v8 offset:32768
	ds_store_b128 v54, v[0:3]
	ds_store_b128 v54, v[0:3] offset:32
	ds_store_b128 v54, v[0:3] offset:64
	;; [unrolled: 1-line block ×7, first 2 shown]
	s_wait_dscnt 0x0
	v_cmpx_lt_i64_e64 v[36:37], v[4:5]
	s_cbranch_execz .LBB173_22
; %bb.11:                               ;   in Loop: Header=BB173_10 Depth=1
	v_mul_u64_e32 v[40:41], s[16:17], v[38:39]
	v_mov_b64_e32 v[34:35], s[10:11]
	v_mov_b64_e32 v[46:47], v[4:5]
	v_lshl_add_u64 v[42:43], v[36:37], 4, s[24:25]
	v_lshl_add_u64 v[44:45], v[36:37], 3, s[22:23]
	s_mov_b32 s38, 0
	s_branch .LBB173_13
.LBB173_12:                             ;   in Loop: Header=BB173_13 Depth=2
	s_wait_xcnt 0x0
	s_or_b32 exec_lo, exec_lo, s1
	v_add_nc_u64_e32 v[36:37], 2, v[36:37]
	s_xor_b32 s3, vcc_lo, -1
	v_add_nc_u64_e32 v[42:43], 32, v[42:43]
	v_add_nc_u64_e32 v[44:45], 16, v[44:45]
	v_mov_b64_e32 v[46:47], v[50:51]
	s_delay_alu instid0(VALU_DEP_4) | instskip(SKIP_1) | instid1(SALU_CYCLE_1)
	v_cmp_ge_i64_e64 s1, v[36:37], v[4:5]
	s_or_b32 s1, s3, s1
	s_and_b32 s1, exec_lo, s1
	s_delay_alu instid0(SALU_CYCLE_1) | instskip(NEXT) | instid1(SALU_CYCLE_1)
	s_or_b32 s38, s1, s38
	s_and_not1_b32 exec_lo, exec_lo, s38
	s_cbranch_execz .LBB173_21
.LBB173_13:                             ;   Parent Loop BB173_10 Depth=1
                                        ; =>  This Inner Loop Header: Depth=2
	global_load_b64 v[48:49], v[44:45], off
                                        ; implicit-def: $vgpr50_vgpr51
	s_mov_b32 s1, exec_lo
	s_wait_loadcnt 0x0
	v_sub_nc_u64_e64 v[48:49], v[48:49], s[18:19]
	s_delay_alu instid0(VALU_DEP_1) | instskip(SKIP_1) | instid1(VALU_DEP_1)
	v_or_b32_e32 v9, s17, v49
	s_wait_xcnt 0x0
	v_cmpx_ne_u64_e32 0, v[8:9]
	s_xor_b32 s39, exec_lo, s1
	s_cbranch_execz .LBB173_15
; %bb.14:                               ;   in Loop: Header=BB173_13 Depth=2
	s_mov_b32 s3, s2
	v_dual_mov_b32 v75, v8 :: v_dual_ashrrev_i32 v50, 31, v49
	s_add_nc_u64 s[6:7], s[16:17], s[2:3]
	s_delay_alu instid0(SALU_CYCLE_1) | instskip(NEXT) | instid1(VALU_DEP_1)
	s_xor_b64 s[6:7], s[6:7], s[2:3]
	v_mov_b32_e32 v51, v50
	s_cvt_f32_u32 s1, s6
	s_cvt_f32_u32 s3, s7
	s_sub_nc_u64 s[42:43], 0, s[6:7]
	s_delay_alu instid0(VALU_DEP_1) | instskip(NEXT) | instid1(SALU_CYCLE_1)
	v_add_nc_u64_e32 v[72:73], v[48:49], v[50:51]
	s_fmamk_f32 s1, s3, 0x4f800000, s1
	v_mov_b32_e32 v79, v8
	s_delay_alu instid0(SALU_CYCLE_2) | instskip(NEXT) | instid1(VALU_DEP_2)
	v_s_rcp_f32 s1, s1
	v_xor_b32_e32 v74, v72, v50
	s_delay_alu instid0(VALU_DEP_3) | instskip(NEXT) | instid1(TRANS32_DEP_1)
	v_dual_mov_b32 v83, v8 :: v_dual_bitop2_b32 v78, v73, v50 bitop3:0x14
	s_mul_f32 s1, s1, 0x5f7ffffc
	s_delay_alu instid0(SALU_CYCLE_3) | instskip(NEXT) | instid1(SALU_CYCLE_3)
	s_mul_f32 s3, s1, 0x2f800000
	s_trunc_f32 s3, s3
	s_delay_alu instid0(SALU_CYCLE_3) | instskip(SKIP_1) | instid1(SALU_CYCLE_2)
	s_fmamk_f32 s1, s3, 0xcf800000, s1
	s_cvt_u32_f32 s41, s3
	s_cvt_u32_f32 s40, s1
	s_delay_alu instid0(SALU_CYCLE_3) | instskip(NEXT) | instid1(SALU_CYCLE_1)
	s_mul_u64 s[44:45], s[42:43], s[40:41]
	s_mul_hi_u32 s47, s40, s45
	s_mul_i32 s46, s40, s45
	s_mul_hi_u32 s12, s40, s44
	s_mul_i32 s3, s41, s44
	s_add_nc_u64 s[46:47], s[12:13], s[46:47]
	s_mul_hi_u32 s1, s41, s44
	s_mul_hi_u32 s48, s41, s45
	s_add_co_u32 s3, s46, s3
	s_add_co_ci_u32 s12, s47, s1
	s_mul_i32 s44, s41, s45
	s_add_co_ci_u32 s45, s48, 0
	s_delay_alu instid0(SALU_CYCLE_1) | instskip(NEXT) | instid1(SALU_CYCLE_1)
	s_add_nc_u64 s[44:45], s[12:13], s[44:45]
	s_add_co_u32 s40, s40, s44
	s_cselect_b32 s1, -1, 0
	s_delay_alu instid0(SALU_CYCLE_1) | instskip(SKIP_1) | instid1(SALU_CYCLE_1)
	s_cmp_lg_u32 s1, 0
	s_add_co_ci_u32 s41, s41, s45
	s_mul_u64 s[42:43], s[42:43], s[40:41]
	s_delay_alu instid0(SALU_CYCLE_1)
	s_mul_hi_u32 s45, s40, s43
	s_mul_i32 s44, s40, s43
	s_mul_hi_u32 s12, s40, s42
	s_mul_i32 s3, s41, s42
	s_add_nc_u64 s[44:45], s[12:13], s[44:45]
	s_mul_hi_u32 s1, s41, s42
	s_mul_hi_u32 s46, s41, s43
	s_add_co_u32 s3, s44, s3
	s_add_co_ci_u32 s12, s45, s1
	s_mul_i32 s42, s41, s43
	s_add_co_ci_u32 s43, s46, 0
	s_delay_alu instid0(SALU_CYCLE_1) | instskip(NEXT) | instid1(SALU_CYCLE_1)
	s_add_nc_u64 s[42:43], s[12:13], s[42:43]
	s_add_co_u32 s40, s40, s42
	s_cselect_b32 s1, -1, 0
	v_mul_hi_u32 v82, v74, s40
	s_cmp_lg_u32 s1, 0
	s_add_co_ci_u32 s12, s41, s43
	s_and_b64 s[42:43], s[40:41], s[4:5]
	v_mul_u64_e32 v[76:77], s[12:13], v[74:75]
	v_mul_u64_e32 v[72:73], s[42:43], v[78:79]
	;; [unrolled: 1-line block ×3, first 2 shown]
	s_delay_alu instid0(VALU_DEP_3) | instskip(NEXT) | instid1(VALU_DEP_1)
	v_add_nc_u64_e32 v[76:77], v[82:83], v[76:77]
	v_add_co_u32 v9, vcc_lo, v76, v72
	s_delay_alu instid0(VALU_DEP_2) | instskip(NEXT) | instid1(VALU_DEP_4)
	v_add_co_ci_u32_e32 v82, vcc_lo, v77, v73, vcc_lo
	v_add_co_ci_u32_e32 v81, vcc_lo, 0, v81, vcc_lo
	s_delay_alu instid0(VALU_DEP_1) | instskip(NEXT) | instid1(VALU_DEP_1)
	v_add_nc_u64_e32 v[72:73], v[82:83], v[80:81]
	v_mul_u64_e32 v[76:77], s[6:7], v[72:73]
	s_delay_alu instid0(VALU_DEP_1) | instskip(NEXT) | instid1(VALU_DEP_2)
	v_sub_nc_u32_e32 v9, v78, v77
	v_sub_co_u32 v33, vcc_lo, v74, v76
	s_delay_alu instid0(VALU_DEP_1) | instskip(NEXT) | instid1(VALU_DEP_3)
	v_sub_co_ci_u32_e64 v49, null, v78, v77, vcc_lo
	v_subrev_co_ci_u32_e64 v9, null, s7, v9, vcc_lo
	s_delay_alu instid0(VALU_DEP_3) | instskip(SKIP_1) | instid1(VALU_DEP_3)
	v_sub_co_u32 v41, s1, v33, s6
	v_add_nc_u64_e32 v[74:75], 2, v[72:73]
	v_subrev_co_ci_u32_e64 v9, null, 0, v9, s1
	s_delay_alu instid0(VALU_DEP_3) | instskip(SKIP_2) | instid1(VALU_DEP_4)
	v_cmp_le_u32_e32 vcc_lo, s6, v41
	v_add_nc_u64_e32 v[76:77], 1, v[72:73]
	v_cndmask_b32_e64 v41, 0, -1, vcc_lo
	v_cmp_le_u32_e32 vcc_lo, s7, v9
	v_cndmask_b32_e64 v51, 0, -1, vcc_lo
	v_cmp_le_u32_e32 vcc_lo, s6, v33
	;; [unrolled: 2-line block ×3, first 2 shown]
	v_cndmask_b32_e64 v71, 0, -1, vcc_lo
	v_cmp_eq_u32_e32 vcc_lo, s7, v9
	v_cndmask_b32_e32 v9, v51, v41, vcc_lo
	v_cmp_eq_u32_e32 vcc_lo, s7, v49
	s_delay_alu instid0(VALU_DEP_4) | instskip(NEXT) | instid1(VALU_DEP_3)
	v_cndmask_b32_e32 v33, v71, v33, vcc_lo
	v_cmp_ne_u32_e32 vcc_lo, 0, v9
	v_cndmask_b32_e32 v9, v77, v75, vcc_lo
	s_delay_alu instid0(VALU_DEP_3) | instskip(SKIP_1) | instid1(VALU_DEP_2)
	v_cmp_ne_u32_e64 s1, 0, v33
	v_cndmask_b32_e32 v33, v76, v74, vcc_lo
	v_dual_cndmask_b32 v9, v73, v9, s1 :: v_dual_bitop2_b32 v50, s2, v50 bitop3:0x14
	s_delay_alu instid0(VALU_DEP_1) | instskip(NEXT) | instid1(VALU_DEP_2)
	v_dual_cndmask_b32 v33, v72, v33, s1 :: v_dual_mov_b32 v51, v50
	v_xor_b32_e32 v73, v9, v50
	s_delay_alu instid0(VALU_DEP_2) | instskip(NEXT) | instid1(VALU_DEP_1)
	v_xor_b32_e32 v72, v33, v50
	v_sub_nc_u64_e32 v[50:51], v[72:73], v[50:51]
.LBB173_15:                             ;   in Loop: Header=BB173_13 Depth=2
	s_and_not1_saveexec_b32 s1, s39
	s_cbranch_execz .LBB173_17
; %bb.16:                               ;   in Loop: Header=BB173_13 Depth=2
	v_mul_hi_u32 v9, v48, v70
	s_delay_alu instid0(VALU_DEP_1) | instskip(SKIP_1) | instid1(VALU_DEP_1)
	v_dual_mov_b32 v51, v8 :: v_dual_add_nc_u32 v41, 1, v9
	v_mul_lo_u32 v33, v9, s16
	v_sub_nc_u32_e32 v33, v48, v33
	s_delay_alu instid0(VALU_DEP_1) | instskip(SKIP_1) | instid1(VALU_DEP_2)
	v_subrev_nc_u32_e32 v49, s16, v33
	v_cmp_le_u32_e32 vcc_lo, s16, v33
	v_cndmask_b32_e32 v33, v33, v49, vcc_lo
	v_cndmask_b32_e32 v9, v9, v41, vcc_lo
	s_delay_alu instid0(VALU_DEP_2) | instskip(NEXT) | instid1(VALU_DEP_2)
	v_cmp_le_u32_e32 vcc_lo, s16, v33
	v_add_nc_u32_e32 v41, 1, v9
	s_delay_alu instid0(VALU_DEP_1)
	v_cndmask_b32_e32 v50, v9, v41, vcc_lo
.LBB173_17:                             ;   in Loop: Header=BB173_13 Depth=2
	s_or_b32 exec_lo, exec_lo, s1
	s_delay_alu instid0(VALU_DEP_1) | instskip(SKIP_2) | instid1(SALU_CYCLE_1)
	v_cmp_ne_u64_e64 s1, v[50:51], v[38:39]
	v_cmp_eq_u64_e32 vcc_lo, v[50:51], v[38:39]
	s_and_saveexec_b32 s3, s1
	s_xor_b32 s1, exec_lo, s3
; %bb.18:                               ;   in Loop: Header=BB173_13 Depth=2
	v_min_i64 v[34:35], v[50:51], v[34:35]
                                        ; implicit-def: $vgpr48_vgpr49
                                        ; implicit-def: $vgpr46_vgpr47
; %bb.19:                               ;   in Loop: Header=BB173_13 Depth=2
	s_or_saveexec_b32 s1, s1
	v_mov_b64_e32 v[50:51], v[36:37]
	s_xor_b32 exec_lo, exec_lo, s1
	s_cbranch_execz .LBB173_12
; %bb.20:                               ;   in Loop: Header=BB173_13 Depth=2
	global_load_b128 v[72:75], v[42:43], off
	v_sub_nc_u32_e32 v9, v48, v40
	v_mov_b64_e32 v[50:51], v[46:47]
	s_delay_alu instid0(VALU_DEP_2)
	v_lshl_add_u32 v9, v9, 4, v53
	ds_store_b8 v52, v69 offset:32768
	s_wait_loadcnt 0x0
	ds_store_2addr_b64 v9, v[72:73], v[74:75] offset1:1
	s_branch .LBB173_12
.LBB173_21:                             ;   in Loop: Header=BB173_10 Depth=1
	s_or_b32 exec_lo, exec_lo, s38
.LBB173_22:                             ;   in Loop: Header=BB173_10 Depth=1
	s_delay_alu instid0(SALU_CYCLE_1)
	s_or_b32 exec_lo, exec_lo, s15
	ds_bpermute_b32 v36, v55, v50
	ds_bpermute_b32 v37, v55, v51
	s_wait_dscnt 0x0
	ds_load_u8 v9, v52 offset:32768
	v_mov_b64_e32 v[40:41], 0
	s_mov_b32 s1, exec_lo
	v_min_i64 v[36:37], v[36:37], v[50:51]
	s_wait_dscnt 0x0
	v_and_b32_e32 v9, 1, v9
	ds_bpermute_b32 v36, v56, v36
	ds_bpermute_b32 v37, v56, v37
	v_cmpx_eq_u32_e32 1, v9
	s_cbranch_execz .LBB173_9
; %bb.23:                               ;   in Loop: Header=BB173_10 Depth=1
	v_mul_u64_e32 v[40:41], s[28:29], v[6:7]
	v_add_nc_u64_e32 v[44:45], s[20:21], v[38:39]
	s_delay_alu instid0(VALU_DEP_2) | instskip(NEXT) | instid1(VALU_DEP_1)
	v_lshlrev_b64_e32 v[42:43], 4, v[40:41]
	v_add_nc_u64_e32 v[40:41], v[12:13], v[42:43]
	v_add_nc_u64_e32 v[38:39], v[14:15], v[42:43]
	v_lshl_add_u64 v[42:43], v[6:7], 3, s[26:27]
	global_store_b64 v[42:43], v[44:45], off
	s_wait_xcnt 0x0
	s_and_saveexec_b32 s3, s30
	s_cbranch_execz .LBB173_25
; %bb.24:                               ;   in Loop: Header=BB173_10 Depth=1
	ds_load_2addr_b64 v[42:45], v54 offset1:1
	v_lshl_add_u64 v[48:49], v[16:17], 4, v[40:41]
	v_mov_b32_e32 v33, v8
	s_delay_alu instid0(VALU_DEP_1) | instskip(NEXT) | instid1(VALU_DEP_1)
	v_add_nc_u64_e32 v[46:47], v[38:39], v[32:33]
	v_dual_cndmask_b32 v47, v49, v47, s0 :: v_dual_cndmask_b32 v46, v48, v46, s0
	s_wait_dscnt 0x0
	global_store_b128 v[46:47], v[42:45], off
.LBB173_25:                             ;   in Loop: Header=BB173_10 Depth=1
	s_wait_xcnt 0x0
	s_or_b32 exec_lo, exec_lo, s3
	s_and_saveexec_b32 s3, s31
	s_cbranch_execz .LBB173_30
; %bb.26:                               ;   in Loop: Header=BB173_10 Depth=1
	s_and_not1_b32 vcc_lo, exec_lo, s9
	s_mov_b32 s6, -1
	s_cbranch_vccnz .LBB173_28
; %bb.27:                               ;   in Loop: Header=BB173_10 Depth=1
	ds_load_2addr_b64 v[42:45], v62 offset1:1
	v_lshl_add_u64 v[46:47], v[18:19], 4, v[40:41]
	s_mov_b32 s6, 0
	s_wait_dscnt 0x0
	global_store_b128 v[46:47], v[42:45], off
.LBB173_28:                             ;   in Loop: Header=BB173_10 Depth=1
	s_and_not1_b32 vcc_lo, exec_lo, s6
	s_cbranch_vccnz .LBB173_30
; %bb.29:                               ;   in Loop: Header=BB173_10 Depth=1
	s_wait_xcnt 0x0
	ds_load_2addr_b64 v[42:45], v62 offset1:1
	v_mov_b32_e32 v33, v8
	s_delay_alu instid0(VALU_DEP_1)
	v_add_nc_u64_e32 v[46:47], v[38:39], v[32:33]
	s_wait_dscnt 0x0
	global_store_b128 v[46:47], v[42:45], off offset:32
.LBB173_30:                             ;   in Loop: Header=BB173_10 Depth=1
	s_wait_xcnt 0x0
	s_or_b32 exec_lo, exec_lo, s3
	s_and_saveexec_b32 s3, s33
	s_cbranch_execz .LBB173_35
; %bb.31:                               ;   in Loop: Header=BB173_10 Depth=1
	s_and_not1_b32 vcc_lo, exec_lo, s9
	s_mov_b32 s6, -1
	s_cbranch_vccnz .LBB173_33
; %bb.32:                               ;   in Loop: Header=BB173_10 Depth=1
	ds_load_2addr_b64 v[42:45], v63 offset1:1
	v_lshl_add_u64 v[46:47], v[20:21], 4, v[40:41]
	s_mov_b32 s6, 0
	s_wait_dscnt 0x0
	global_store_b128 v[46:47], v[42:45], off
.LBB173_33:                             ;   in Loop: Header=BB173_10 Depth=1
	s_and_not1_b32 vcc_lo, exec_lo, s6
	s_cbranch_vccnz .LBB173_35
; %bb.34:                               ;   in Loop: Header=BB173_10 Depth=1
	s_wait_xcnt 0x0
	ds_load_2addr_b64 v[42:45], v63 offset1:1
	v_mov_b32_e32 v33, v8
	s_delay_alu instid0(VALU_DEP_1)
	v_add_nc_u64_e32 v[46:47], v[38:39], v[32:33]
	s_wait_dscnt 0x0
	global_store_b128 v[46:47], v[42:45], off offset:64
.LBB173_35:                             ;   in Loop: Header=BB173_10 Depth=1
	;; [unrolled: 26-line block ×6, first 2 shown]
	s_wait_xcnt 0x0
	s_or_b32 exec_lo, exec_lo, s3
	s_and_saveexec_b32 s3, s8
	s_cbranch_execz .LBB173_8
; %bb.56:                               ;   in Loop: Header=BB173_10 Depth=1
	s_and_not1_b32 vcc_lo, exec_lo, s9
	s_mov_b32 s6, -1
	s_cbranch_vccnz .LBB173_58
; %bb.57:                               ;   in Loop: Header=BB173_10 Depth=1
	ds_load_2addr_b64 v[42:45], v68 offset1:1
	v_lshl_add_u64 v[40:41], v[30:31], 4, v[40:41]
	s_mov_b32 s6, 0
	s_wait_dscnt 0x0
	global_store_b128 v[40:41], v[42:45], off
.LBB173_58:                             ;   in Loop: Header=BB173_10 Depth=1
	s_and_not1_b32 vcc_lo, exec_lo, s6
	s_cbranch_vccnz .LBB173_8
; %bb.59:                               ;   in Loop: Header=BB173_10 Depth=1
	s_wait_xcnt 0x0
	ds_load_2addr_b64 v[40:43], v68 offset1:1
	v_mov_b32_e32 v33, v8
	s_delay_alu instid0(VALU_DEP_1)
	v_add_nc_u64_e32 v[38:39], v[38:39], v[32:33]
	s_wait_dscnt 0x0
	global_store_b128 v[38:39], v[40:43], off offset:224
	s_branch .LBB173_8
.LBB173_60:
	s_endpgm
	.section	.rodata,"a",@progbits
	.p2align	6, 0x0
	.amdhsa_kernel _ZN9rocsparseL42csr2bsr_wavefront_per_row_multipass_kernelILj256ELj32ELj16E21rocsparse_complex_numIdEllEEv20rocsparse_direction_T4_S4_S4_S4_S4_21rocsparse_index_base_PKT2_PKT3_PKS4_S5_PS6_PS9_PS4_
		.amdhsa_group_segment_fixed_size 32776
		.amdhsa_private_segment_fixed_size 0
		.amdhsa_kernarg_size 112
		.amdhsa_user_sgpr_count 2
		.amdhsa_user_sgpr_dispatch_ptr 0
		.amdhsa_user_sgpr_queue_ptr 0
		.amdhsa_user_sgpr_kernarg_segment_ptr 1
		.amdhsa_user_sgpr_dispatch_id 0
		.amdhsa_user_sgpr_kernarg_preload_length 0
		.amdhsa_user_sgpr_kernarg_preload_offset 0
		.amdhsa_user_sgpr_private_segment_size 0
		.amdhsa_wavefront_size32 1
		.amdhsa_uses_dynamic_stack 0
		.amdhsa_enable_private_segment 0
		.amdhsa_system_sgpr_workgroup_id_x 1
		.amdhsa_system_sgpr_workgroup_id_y 0
		.amdhsa_system_sgpr_workgroup_id_z 0
		.amdhsa_system_sgpr_workgroup_info 0
		.amdhsa_system_vgpr_workitem_id 0
		.amdhsa_next_free_vgpr 84
		.amdhsa_next_free_sgpr 49
		.amdhsa_named_barrier_count 0
		.amdhsa_reserve_vcc 1
		.amdhsa_float_round_mode_32 0
		.amdhsa_float_round_mode_16_64 0
		.amdhsa_float_denorm_mode_32 3
		.amdhsa_float_denorm_mode_16_64 3
		.amdhsa_fp16_overflow 0
		.amdhsa_memory_ordered 1
		.amdhsa_forward_progress 1
		.amdhsa_inst_pref_size 25
		.amdhsa_round_robin_scheduling 0
		.amdhsa_exception_fp_ieee_invalid_op 0
		.amdhsa_exception_fp_denorm_src 0
		.amdhsa_exception_fp_ieee_div_zero 0
		.amdhsa_exception_fp_ieee_overflow 0
		.amdhsa_exception_fp_ieee_underflow 0
		.amdhsa_exception_fp_ieee_inexact 0
		.amdhsa_exception_int_div_zero 0
	.end_amdhsa_kernel
	.section	.text._ZN9rocsparseL42csr2bsr_wavefront_per_row_multipass_kernelILj256ELj32ELj16E21rocsparse_complex_numIdEllEEv20rocsparse_direction_T4_S4_S4_S4_S4_21rocsparse_index_base_PKT2_PKT3_PKS4_S5_PS6_PS9_PS4_,"axG",@progbits,_ZN9rocsparseL42csr2bsr_wavefront_per_row_multipass_kernelILj256ELj32ELj16E21rocsparse_complex_numIdEllEEv20rocsparse_direction_T4_S4_S4_S4_S4_21rocsparse_index_base_PKT2_PKT3_PKS4_S5_PS6_PS9_PS4_,comdat
.Lfunc_end173:
	.size	_ZN9rocsparseL42csr2bsr_wavefront_per_row_multipass_kernelILj256ELj32ELj16E21rocsparse_complex_numIdEllEEv20rocsparse_direction_T4_S4_S4_S4_S4_21rocsparse_index_base_PKT2_PKT3_PKS4_S5_PS6_PS9_PS4_, .Lfunc_end173-_ZN9rocsparseL42csr2bsr_wavefront_per_row_multipass_kernelILj256ELj32ELj16E21rocsparse_complex_numIdEllEEv20rocsparse_direction_T4_S4_S4_S4_S4_21rocsparse_index_base_PKT2_PKT3_PKS4_S5_PS6_PS9_PS4_
                                        ; -- End function
	.set _ZN9rocsparseL42csr2bsr_wavefront_per_row_multipass_kernelILj256ELj32ELj16E21rocsparse_complex_numIdEllEEv20rocsparse_direction_T4_S4_S4_S4_S4_21rocsparse_index_base_PKT2_PKT3_PKS4_S5_PS6_PS9_PS4_.num_vgpr, 84
	.set _ZN9rocsparseL42csr2bsr_wavefront_per_row_multipass_kernelILj256ELj32ELj16E21rocsparse_complex_numIdEllEEv20rocsparse_direction_T4_S4_S4_S4_S4_21rocsparse_index_base_PKT2_PKT3_PKS4_S5_PS6_PS9_PS4_.num_agpr, 0
	.set _ZN9rocsparseL42csr2bsr_wavefront_per_row_multipass_kernelILj256ELj32ELj16E21rocsparse_complex_numIdEllEEv20rocsparse_direction_T4_S4_S4_S4_S4_21rocsparse_index_base_PKT2_PKT3_PKS4_S5_PS6_PS9_PS4_.numbered_sgpr, 49
	.set _ZN9rocsparseL42csr2bsr_wavefront_per_row_multipass_kernelILj256ELj32ELj16E21rocsparse_complex_numIdEllEEv20rocsparse_direction_T4_S4_S4_S4_S4_21rocsparse_index_base_PKT2_PKT3_PKS4_S5_PS6_PS9_PS4_.num_named_barrier, 0
	.set _ZN9rocsparseL42csr2bsr_wavefront_per_row_multipass_kernelILj256ELj32ELj16E21rocsparse_complex_numIdEllEEv20rocsparse_direction_T4_S4_S4_S4_S4_21rocsparse_index_base_PKT2_PKT3_PKS4_S5_PS6_PS9_PS4_.private_seg_size, 0
	.set _ZN9rocsparseL42csr2bsr_wavefront_per_row_multipass_kernelILj256ELj32ELj16E21rocsparse_complex_numIdEllEEv20rocsparse_direction_T4_S4_S4_S4_S4_21rocsparse_index_base_PKT2_PKT3_PKS4_S5_PS6_PS9_PS4_.uses_vcc, 1
	.set _ZN9rocsparseL42csr2bsr_wavefront_per_row_multipass_kernelILj256ELj32ELj16E21rocsparse_complex_numIdEllEEv20rocsparse_direction_T4_S4_S4_S4_S4_21rocsparse_index_base_PKT2_PKT3_PKS4_S5_PS6_PS9_PS4_.uses_flat_scratch, 0
	.set _ZN9rocsparseL42csr2bsr_wavefront_per_row_multipass_kernelILj256ELj32ELj16E21rocsparse_complex_numIdEllEEv20rocsparse_direction_T4_S4_S4_S4_S4_21rocsparse_index_base_PKT2_PKT3_PKS4_S5_PS6_PS9_PS4_.has_dyn_sized_stack, 0
	.set _ZN9rocsparseL42csr2bsr_wavefront_per_row_multipass_kernelILj256ELj32ELj16E21rocsparse_complex_numIdEllEEv20rocsparse_direction_T4_S4_S4_S4_S4_21rocsparse_index_base_PKT2_PKT3_PKS4_S5_PS6_PS9_PS4_.has_recursion, 0
	.set _ZN9rocsparseL42csr2bsr_wavefront_per_row_multipass_kernelILj256ELj32ELj16E21rocsparse_complex_numIdEllEEv20rocsparse_direction_T4_S4_S4_S4_S4_21rocsparse_index_base_PKT2_PKT3_PKS4_S5_PS6_PS9_PS4_.has_indirect_call, 0
	.section	.AMDGPU.csdata,"",@progbits
; Kernel info:
; codeLenInByte = 3192
; TotalNumSgprs: 51
; NumVgprs: 84
; ScratchSize: 0
; MemoryBound: 0
; FloatMode: 240
; IeeeMode: 1
; LDSByteSize: 32776 bytes/workgroup (compile time only)
; SGPRBlocks: 0
; VGPRBlocks: 5
; NumSGPRsForWavesPerEU: 51
; NumVGPRsForWavesPerEU: 84
; NamedBarCnt: 0
; Occupancy: 10
; WaveLimiterHint : 0
; COMPUTE_PGM_RSRC2:SCRATCH_EN: 0
; COMPUTE_PGM_RSRC2:USER_SGPR: 2
; COMPUTE_PGM_RSRC2:TRAP_HANDLER: 0
; COMPUTE_PGM_RSRC2:TGID_X_EN: 1
; COMPUTE_PGM_RSRC2:TGID_Y_EN: 0
; COMPUTE_PGM_RSRC2:TGID_Z_EN: 0
; COMPUTE_PGM_RSRC2:TIDIG_COMP_CNT: 0
	.section	.text._ZN9rocsparseL38csr2bsr_block_per_row_multipass_kernelILj256ELj32E21rocsparse_complex_numIdEllEEv20rocsparse_direction_T3_S4_S4_S4_S4_21rocsparse_index_base_PKT1_PKT2_PKS4_S5_PS6_PS9_PS4_,"axG",@progbits,_ZN9rocsparseL38csr2bsr_block_per_row_multipass_kernelILj256ELj32E21rocsparse_complex_numIdEllEEv20rocsparse_direction_T3_S4_S4_S4_S4_21rocsparse_index_base_PKT1_PKT2_PKS4_S5_PS6_PS9_PS4_,comdat
	.globl	_ZN9rocsparseL38csr2bsr_block_per_row_multipass_kernelILj256ELj32E21rocsparse_complex_numIdEllEEv20rocsparse_direction_T3_S4_S4_S4_S4_21rocsparse_index_base_PKT1_PKT2_PKS4_S5_PS6_PS9_PS4_ ; -- Begin function _ZN9rocsparseL38csr2bsr_block_per_row_multipass_kernelILj256ELj32E21rocsparse_complex_numIdEllEEv20rocsparse_direction_T3_S4_S4_S4_S4_21rocsparse_index_base_PKT1_PKT2_PKS4_S5_PS6_PS9_PS4_
	.p2align	8
	.type	_ZN9rocsparseL38csr2bsr_block_per_row_multipass_kernelILj256ELj32E21rocsparse_complex_numIdEllEEv20rocsparse_direction_T3_S4_S4_S4_S4_21rocsparse_index_base_PKT1_PKT2_PKS4_S5_PS6_PS9_PS4_,@function
_ZN9rocsparseL38csr2bsr_block_per_row_multipass_kernelILj256ELj32E21rocsparse_complex_numIdEllEEv20rocsparse_direction_T3_S4_S4_S4_S4_21rocsparse_index_base_PKT1_PKT2_PKS4_S5_PS6_PS9_PS4_: ; @_ZN9rocsparseL38csr2bsr_block_per_row_multipass_kernelILj256ELj32E21rocsparse_complex_numIdEllEEv20rocsparse_direction_T3_S4_S4_S4_S4_21rocsparse_index_base_PKT1_PKT2_PKS4_S5_PS6_PS9_PS4_
; %bb.0:
	s_clause 0x1
	s_load_b128 s[12:15], s[0:1], 0x20
	s_load_b64 s[6:7], s[0:1], 0x8
	s_bfe_u32 s3, ttmp6, 0x4000c
	s_and_b32 s2, ttmp6, 15
	s_add_co_i32 s3, s3, 1
	s_getreg_b32 s4, hwreg(HW_REG_IB_STS2, 6, 4)
	s_mul_i32 s3, ttmp9, s3
	v_dual_mov_b32 v3, 0 :: v_dual_lshrrev_b32 v2, 3, v0
	s_add_co_i32 s2, s2, s3
	s_cmp_eq_u32 s4, 0
	s_clause 0x1
	s_load_b32 s24, s[0:1], 0x30
	s_load_b64 s[4:5], s[0:1], 0x40
	s_cselect_b32 s2, ttmp9, s2
	v_mov_b64_e32 v[4:5], 0
	s_ashr_i32 s3, s2, 31
	v_mov_b64_e32 v[22:23], 0
	s_mov_b32 s25, 0
	s_wait_kmcnt 0x0
	v_mad_nc_u64_u32 v[6:7], s14, s2, v[2:3]
	s_mul_i32 s8, s14, s3
	s_mul_i32 s9, s15, s2
	s_delay_alu instid0(VALU_DEP_1) | instid1(SALU_CYCLE_1)
	v_add3_u32 v7, s8, s9, v7
	v_cmp_gt_i64_e64 s9, s[14:15], v[2:3]
	s_delay_alu instid0(VALU_DEP_2) | instskip(SKIP_1) | instid1(SALU_CYCLE_1)
	v_cmp_gt_i64_e32 vcc_lo, s[6:7], v[6:7]
	s_and_b32 s6, s9, vcc_lo
	s_and_saveexec_b32 s7, s6
	s_cbranch_execnz .LBB174_3
; %bb.1:
	s_or_b32 exec_lo, exec_lo, s7
	s_and_saveexec_b32 s7, s6
	s_cbranch_execnz .LBB174_4
.LBB174_2:
	s_or_b32 exec_lo, exec_lo, s7
	v_cmp_lt_i64_e64 s4, s[12:13], 1
	s_and_b32 vcc_lo, exec_lo, s4
	s_cbranch_vccz .LBB174_5
	s_branch .LBB174_45
.LBB174_3:
	v_lshl_add_u64 v[8:9], v[6:7], 3, s[4:5]
	global_load_b64 v[8:9], v[8:9], off
	s_wait_loadcnt 0x0
	v_sub_nc_u64_e64 v[22:23], v[8:9], s[24:25]
	s_or_b32 exec_lo, exec_lo, s7
	s_and_saveexec_b32 s7, s6
	s_cbranch_execz .LBB174_2
.LBB174_4:
	v_lshl_add_u64 v[4:5], v[6:7], 3, s[4:5]
	global_load_b64 v[4:5], v[4:5], off offset:8
	s_wait_loadcnt 0x0
	v_sub_nc_u64_e64 v[4:5], v[4:5], s[24:25]
	s_or_b32 exec_lo, exec_lo, s7
	v_cmp_lt_i64_e64 s4, s[12:13], 1
	s_and_b32 vcc_lo, exec_lo, s4
	s_cbranch_vccnz .LBB174_45
.LBB174_5:
	v_dual_lshlrev_b32 v10, 4, v2 :: v_dual_mov_b32 v6, 0
	v_mul_u64_e32 v[12:13], s[14:15], v[2:3]
	v_mbcnt_lo_u32_b32 v1, -1, 0
	s_clause 0x4
	s_load_b128 s[4:7], s[0:1], 0x58
	s_load_b64 s[26:27], s[0:1], 0x68
	s_load_b96 s[20:22], s[0:1], 0x48
	s_load_b64 s[30:31], s[0:1], 0x38
	s_load_b32 s8, s[0:1], 0x0
	v_mov_b32_e32 v9, v6
	v_cvt_f32_u32_e32 v7, s14
	v_xor_b32_e32 v3, 4, v1
	v_lshl_or_b32 v41, v1, 2, 28
	v_dual_lshlrev_b32 v40, 9, v2 :: v_dual_bitop2_b32 v8, 7, v0 bitop3:0x40
	v_mov_b32_e32 v11, v6
	s_delay_alu instid0(VALU_DEP_4) | instskip(NEXT) | instid1(VALU_DEP_3)
	v_cmp_gt_i32_e32 vcc_lo, 32, v3
	v_dual_lshlrev_b32 v2, 4, v8 :: v_dual_bitop2_b32 v14, 2, v1 bitop3:0x14
	v_dual_mov_b32 v25, v6 :: v_dual_lshlrev_b32 v46, 3, v0
	v_cndmask_b32_e32 v16, v1, v3, vcc_lo
	s_delay_alu instid0(VALU_DEP_3) | instskip(SKIP_4) | instid1(VALU_DEP_4)
	v_cmp_gt_i32_e32 vcc_lo, 32, v14
	v_xor_b32_e32 v15, 1, v1
	v_or_b32_e32 v42, v40, v2
	v_dual_mov_b32 v50, 1 :: v_dual_bitop2_b32 v24, 16, v8 bitop3:0x54
	v_cndmask_b32_e32 v14, v1, v14, vcc_lo
	v_cmp_gt_i32_e32 vcc_lo, 32, v15
	v_dual_mov_b32 v3, v6 :: v_dual_bitop2_b32 v26, 24, v8 bitop3:0x54
	s_wait_xcnt 0x0
	s_lshl_b64 s[0:1], s[2:3], 3
	v_dual_lshlrev_b32 v43, 2, v16 :: v_dual_cndmask_b32 v1, v1, v15, vcc_lo
	v_lshlrev_b32_e32 v44, 2, v14
	v_mul_u64_e32 v[14:15], s[14:15], v[8:9]
	v_mul_u64_e32 v[18:19], s[14:15], v[24:25]
	s_wait_kmcnt 0x0
	v_lshl_add_u64 v[12:13], v[12:13], 4, s[4:5]
	v_lshlrev_b32_e32 v45, 2, v1
	v_rcp_iflag_f32_e32 v1, v7
	v_mov_b32_e32 v27, v6
	s_add_nc_u64 s[0:1], s[6:7], s[0:1]
	v_add_nc_u64_e32 v[12:13], v[12:13], v[2:3]
	v_or_b32_e32 v2, 8, v8
	s_cmp_eq_u32 s8, 0
	v_mul_u64_e32 v[20:21], s[14:15], v[26:27]
	v_mul_f32_e32 v1, 0x4f7ffffe, v1
	s_load_b64 s[2:3], s[0:1], 0x0
	v_mul_u64_e32 v[16:17], s[14:15], v[2:3]
	s_wait_xcnt 0x0
	s_cselect_b32 s0, -1, 0
	s_sub_co_i32 s6, 0, s14
	v_cvt_u32_f32_e32 v7, v1
	v_cmp_gt_i64_e32 vcc_lo, s[14:15], v[8:9]
	v_cmp_gt_i64_e64 s10, s[14:15], v[2:3]
	s_mov_b32 s17, 0
	v_add_nc_u64_e32 v[10:11], s[4:5], v[10:11]
	v_mul_lo_u32 v1, s6, v7
	s_mov_b32 s23, s17
	s_mov_b32 s16, s17
	s_and_b32 s33, s9, vcc_lo
	s_and_b32 s38, s9, s10
	v_cmp_gt_i64_e32 vcc_lo, s[14:15], v[24:25]
	v_cmp_gt_i64_e64 s10, s[14:15], v[26:27]
	s_mov_b32 s18, s17
	s_mov_b32 s19, s17
	v_cmp_gt_u32_e64 s1, 0x80, v0
	v_cmp_gt_u32_e64 s4, 16, v0
	v_mul_hi_u32 v28, v7, v1
	s_wait_kmcnt 0x0
	s_sub_nc_u64 s[34:35], s[2:3], s[22:23]
	v_cmp_gt_u32_e64 s2, 64, v0
	v_cmp_gt_u32_e64 s3, 32, v0
	;; [unrolled: 1-line block ×5, first 2 shown]
	v_cmp_eq_u32_e64 s8, 0, v0
	v_mov_b64_e32 v[0:1], s[16:17]
	v_mov_b64_e32 v[26:27], 0
	;; [unrolled: 1-line block ×3, first 2 shown]
	v_or_b32_e32 v47, 0x80, v42
	v_or_b32_e32 v48, 0x100, v42
	;; [unrolled: 1-line block ×3, first 2 shown]
	v_add_nc_u32_e32 v51, v7, v28
	s_mul_u64 s[28:29], s[14:15], s[14:15]
	s_mov_b32 s25, s17
	s_mov_b64 s[18:19], 0xffffffff
	s_and_b32 s39, s9, vcc_lo
	s_and_b32 s40, s9, s10
	s_ashr_i32 s10, s15, 31
	s_branch .LBB174_7
.LBB174_6:                              ;   in Loop: Header=BB174_7 Depth=1
	s_or_b32 exec_lo, exec_lo, s9
	s_wait_dscnt 0x0
	s_barrier_signal -1
	s_barrier_wait -1
	ds_load_b64 v[26:27], v6
	s_add_nc_u64 s[34:35], s[36:37], s[34:35]
	s_wait_dscnt 0x0
	s_barrier_signal -1
	s_barrier_wait -1
	v_cmp_gt_i64_e32 vcc_lo, s[12:13], v[26:27]
	s_cbranch_vccz .LBB174_45
.LBB174_7:                              ; =>This Loop Header: Depth=1
                                        ;     Child Loop BB174_10 Depth 2
	v_add_nc_u64_e32 v[22:23], v[22:23], v[8:9]
	v_mov_b64_e32 v[24:25], s[12:13]
	v_mov_b64_e32 v[38:39], v[4:5]
	s_mov_b32 s41, exec_lo
	ds_store_b8 v6, v6 offset:16384
	ds_store_b128 v42, v[0:3]
	ds_store_b128 v42, v[0:3] offset:128
	ds_store_b128 v42, v[0:3] offset:256
	;; [unrolled: 1-line block ×3, first 2 shown]
	s_wait_dscnt 0x0
	s_barrier_signal -1
	s_barrier_wait -1
	v_cmpx_lt_i64_e64 v[22:23], v[4:5]
	s_cbranch_execz .LBB174_19
; %bb.8:                                ;   in Loop: Header=BB174_7 Depth=1
	v_mul_u64_e32 v[28:29], s[14:15], v[26:27]
	v_mov_b64_e32 v[24:25], s[12:13]
	v_mov_b64_e32 v[34:35], v[4:5]
	v_lshl_add_u64 v[30:31], v[22:23], 4, s[30:31]
	v_lshl_add_u64 v[32:33], v[22:23], 3, s[20:21]
	s_mov_b32 s42, 0
	s_branch .LBB174_10
.LBB174_9:                              ;   in Loop: Header=BB174_10 Depth=2
	s_wait_xcnt 0x0
	s_or_b32 exec_lo, exec_lo, s9
	v_add_nc_u64_e32 v[22:23], 8, v[22:23]
	s_xor_b32 s11, vcc_lo, -1
	v_add_nc_u64_e32 v[30:31], 0x80, v[30:31]
	v_add_nc_u64_e32 v[32:33], 64, v[32:33]
	v_mov_b64_e32 v[34:35], v[38:39]
	s_delay_alu instid0(VALU_DEP_4) | instskip(SKIP_1) | instid1(SALU_CYCLE_1)
	v_cmp_ge_i64_e64 s9, v[22:23], v[4:5]
	s_or_b32 s9, s11, s9
	s_and_b32 s9, exec_lo, s9
	s_delay_alu instid0(SALU_CYCLE_1) | instskip(NEXT) | instid1(SALU_CYCLE_1)
	s_or_b32 s42, s9, s42
	s_and_not1_b32 exec_lo, exec_lo, s42
	s_cbranch_execz .LBB174_18
.LBB174_10:                             ;   Parent Loop BB174_7 Depth=1
                                        ; =>  This Inner Loop Header: Depth=2
	global_load_b64 v[36:37], v[32:33], off
                                        ; implicit-def: $vgpr38_vgpr39
	s_mov_b32 s9, exec_lo
	s_wait_loadcnt 0x0
	v_sub_nc_u64_e64 v[36:37], v[36:37], s[24:25]
	s_delay_alu instid0(VALU_DEP_1) | instskip(SKIP_1) | instid1(VALU_DEP_1)
	v_or_b32_e32 v7, s15, v37
	s_wait_xcnt 0x0
	v_cmpx_ne_u64_e32 0, v[6:7]
	s_xor_b32 s43, exec_lo, s9
	s_cbranch_execz .LBB174_12
; %bb.11:                               ;   in Loop: Header=BB174_10 Depth=2
	s_mov_b32 s11, s10
	v_dual_mov_b32 v55, v6 :: v_dual_ashrrev_i32 v38, 31, v37
	s_add_nc_u64 s[36:37], s[14:15], s[10:11]
	v_mov_b32_e32 v63, v6
	s_xor_b64 s[36:37], s[36:37], s[10:11]
	s_delay_alu instid0(VALU_DEP_2) | instskip(SKIP_3) | instid1(VALU_DEP_1)
	v_mov_b32_e32 v39, v38
	s_cvt_f32_u32 s9, s36
	s_cvt_f32_u32 s11, s37
	s_sub_nc_u64 s[46:47], 0, s[36:37]
	v_add_nc_u64_e32 v[52:53], v[36:37], v[38:39]
	s_delay_alu instid0(SALU_CYCLE_1) | instskip(SKIP_1) | instid1(SALU_CYCLE_2)
	s_fmamk_f32 s9, s11, 0x4f800000, s9
	v_mov_b32_e32 v59, v6
	v_s_rcp_f32 s9, s9
	s_delay_alu instid0(VALU_DEP_2) | instskip(NEXT) | instid1(VALU_DEP_3)
	v_xor_b32_e32 v54, v52, v38
	v_xor_b32_e32 v58, v53, v38
	v_xor_b32_e32 v38, s10, v38
	s_delay_alu instid0(TRANS32_DEP_1) | instskip(NEXT) | instid1(SALU_CYCLE_3)
	s_mul_f32 s9, s9, 0x5f7ffffc
	s_mul_f32 s11, s9, 0x2f800000
	s_delay_alu instid0(SALU_CYCLE_3) | instskip(NEXT) | instid1(SALU_CYCLE_3)
	s_trunc_f32 s11, s11
	s_fmamk_f32 s9, s11, 0xcf800000, s9
	s_cvt_u32_f32 s45, s11
	s_delay_alu instid0(SALU_CYCLE_2) | instskip(NEXT) | instid1(SALU_CYCLE_3)
	s_cvt_u32_f32 s44, s9
	s_mul_u64 s[48:49], s[46:47], s[44:45]
	s_delay_alu instid0(SALU_CYCLE_1)
	s_mul_hi_u32 s51, s44, s49
	s_mul_i32 s50, s44, s49
	s_mul_hi_u32 s16, s44, s48
	s_mul_i32 s11, s45, s48
	s_add_nc_u64 s[50:51], s[16:17], s[50:51]
	s_mul_hi_u32 s9, s45, s48
	s_mul_hi_u32 s52, s45, s49
	s_add_co_u32 s11, s50, s11
	s_add_co_ci_u32 s16, s51, s9
	s_mul_i32 s48, s45, s49
	s_add_co_ci_u32 s49, s52, 0
	s_delay_alu instid0(SALU_CYCLE_1) | instskip(NEXT) | instid1(SALU_CYCLE_1)
	s_add_nc_u64 s[48:49], s[16:17], s[48:49]
	s_add_co_u32 s44, s44, s48
	s_cselect_b32 s9, -1, 0
	s_delay_alu instid0(SALU_CYCLE_1) | instskip(SKIP_1) | instid1(SALU_CYCLE_1)
	s_cmp_lg_u32 s9, 0
	s_add_co_ci_u32 s45, s45, s49
	s_mul_u64 s[46:47], s[46:47], s[44:45]
	s_delay_alu instid0(SALU_CYCLE_1)
	s_mul_hi_u32 s49, s44, s47
	s_mul_i32 s48, s44, s47
	s_mul_hi_u32 s16, s44, s46
	s_mul_i32 s11, s45, s46
	s_add_nc_u64 s[48:49], s[16:17], s[48:49]
	s_mul_hi_u32 s9, s45, s46
	s_mul_hi_u32 s50, s45, s47
	s_add_co_u32 s11, s48, s11
	s_add_co_ci_u32 s16, s49, s9
	s_mul_i32 s46, s45, s47
	s_add_co_ci_u32 s47, s50, 0
	s_delay_alu instid0(SALU_CYCLE_1) | instskip(NEXT) | instid1(SALU_CYCLE_1)
	s_add_nc_u64 s[46:47], s[16:17], s[46:47]
	s_add_co_u32 s44, s44, s46
	s_cselect_b32 s9, -1, 0
	v_mul_hi_u32 v62, v54, s44
	s_cmp_lg_u32 s9, 0
	s_add_co_ci_u32 s16, s45, s47
	s_and_b64 s[46:47], s[44:45], s[18:19]
	v_mul_u64_e32 v[56:57], s[16:17], v[54:55]
	v_mul_u64_e32 v[52:53], s[46:47], v[58:59]
	;; [unrolled: 1-line block ×3, first 2 shown]
	s_delay_alu instid0(VALU_DEP_3) | instskip(NEXT) | instid1(VALU_DEP_1)
	v_add_nc_u64_e32 v[56:57], v[62:63], v[56:57]
	v_add_co_u32 v7, vcc_lo, v56, v52
	s_delay_alu instid0(VALU_DEP_2) | instskip(NEXT) | instid1(VALU_DEP_4)
	v_add_co_ci_u32_e32 v62, vcc_lo, v57, v53, vcc_lo
	v_add_co_ci_u32_e32 v61, vcc_lo, 0, v61, vcc_lo
	s_delay_alu instid0(VALU_DEP_1) | instskip(NEXT) | instid1(VALU_DEP_1)
	v_add_nc_u64_e32 v[52:53], v[62:63], v[60:61]
	v_mul_u64_e32 v[56:57], s[36:37], v[52:53]
	s_delay_alu instid0(VALU_DEP_1) | instskip(NEXT) | instid1(VALU_DEP_2)
	v_sub_nc_u32_e32 v7, v58, v57
	v_sub_co_u32 v29, vcc_lo, v54, v56
	s_delay_alu instid0(VALU_DEP_1) | instskip(NEXT) | instid1(VALU_DEP_3)
	v_sub_co_ci_u32_e64 v39, null, v58, v57, vcc_lo
	v_subrev_co_ci_u32_e64 v7, null, s37, v7, vcc_lo
	s_delay_alu instid0(VALU_DEP_3) | instskip(SKIP_1) | instid1(VALU_DEP_3)
	v_sub_co_u32 v37, s9, v29, s36
	v_add_nc_u64_e32 v[56:57], 1, v[52:53]
	v_subrev_co_ci_u32_e64 v7, null, 0, v7, s9
	s_delay_alu instid0(VALU_DEP_3) | instskip(SKIP_1) | instid1(VALU_DEP_3)
	v_cmp_le_u32_e32 vcc_lo, s36, v37
	v_cndmask_b32_e64 v37, 0, -1, vcc_lo
	v_cmp_le_u32_e32 vcc_lo, s37, v7
	v_cndmask_b32_e64 v54, 0, -1, vcc_lo
	;; [unrolled: 2-line block ×4, first 2 shown]
	v_cmp_eq_u32_e32 vcc_lo, s37, v7
	v_cndmask_b32_e32 v7, v54, v37, vcc_lo
	v_cmp_eq_u32_e32 vcc_lo, s37, v39
	v_add_nc_u64_e32 v[54:55], 2, v[52:53]
	v_mov_b32_e32 v39, v38
	v_cndmask_b32_e32 v29, v58, v29, vcc_lo
	v_cmp_ne_u32_e32 vcc_lo, 0, v7
	s_delay_alu instid0(VALU_DEP_2) | instskip(SKIP_1) | instid1(VALU_DEP_1)
	v_cmp_ne_u32_e64 s9, 0, v29
	v_dual_cndmask_b32 v7, v57, v55, vcc_lo :: v_dual_cndmask_b32 v29, v56, v54, vcc_lo
	v_dual_cndmask_b32 v7, v53, v7, s9 :: v_dual_cndmask_b32 v29, v52, v29, s9
	s_delay_alu instid0(VALU_DEP_1) | instskip(NEXT) | instid1(VALU_DEP_2)
	v_xor_b32_e32 v53, v7, v38
	v_xor_b32_e32 v52, v29, v38
	s_delay_alu instid0(VALU_DEP_1)
	v_sub_nc_u64_e32 v[38:39], v[52:53], v[38:39]
.LBB174_12:                             ;   in Loop: Header=BB174_10 Depth=2
	s_and_not1_saveexec_b32 s9, s43
	s_cbranch_execz .LBB174_14
; %bb.13:                               ;   in Loop: Header=BB174_10 Depth=2
	v_mul_hi_u32 v7, v36, v51
	v_mov_b32_e32 v39, v6
	s_delay_alu instid0(VALU_DEP_2) | instskip(NEXT) | instid1(VALU_DEP_1)
	v_mul_lo_u32 v29, v7, s14
	v_dual_add_nc_u32 v37, 1, v7 :: v_dual_sub_nc_u32 v29, v36, v29
	s_delay_alu instid0(VALU_DEP_1) | instskip(SKIP_1) | instid1(VALU_DEP_2)
	v_subrev_nc_u32_e32 v38, s14, v29
	v_cmp_le_u32_e32 vcc_lo, s14, v29
	v_dual_cndmask_b32 v29, v29, v38, vcc_lo :: v_dual_cndmask_b32 v7, v7, v37, vcc_lo
	s_delay_alu instid0(VALU_DEP_1) | instskip(NEXT) | instid1(VALU_DEP_2)
	v_cmp_le_u32_e32 vcc_lo, s14, v29
	v_add_nc_u32_e32 v37, 1, v7
	s_delay_alu instid0(VALU_DEP_1)
	v_cndmask_b32_e32 v38, v7, v37, vcc_lo
.LBB174_14:                             ;   in Loop: Header=BB174_10 Depth=2
	s_or_b32 exec_lo, exec_lo, s9
	s_delay_alu instid0(VALU_DEP_1) | instskip(SKIP_2) | instid1(SALU_CYCLE_1)
	v_cmp_ne_u64_e64 s9, v[38:39], v[26:27]
	v_cmp_eq_u64_e32 vcc_lo, v[38:39], v[26:27]
	s_and_saveexec_b32 s11, s9
	s_xor_b32 s9, exec_lo, s11
; %bb.15:                               ;   in Loop: Header=BB174_10 Depth=2
	v_min_i64 v[24:25], v[38:39], v[24:25]
                                        ; implicit-def: $vgpr36_vgpr37
                                        ; implicit-def: $vgpr34_vgpr35
; %bb.16:                               ;   in Loop: Header=BB174_10 Depth=2
	s_or_saveexec_b32 s9, s9
	v_mov_b64_e32 v[38:39], v[22:23]
	s_xor_b32 exec_lo, exec_lo, s9
	s_cbranch_execz .LBB174_9
; %bb.17:                               ;   in Loop: Header=BB174_10 Depth=2
	global_load_b128 v[52:55], v[30:31], off
	v_sub_nc_u32_e32 v7, v36, v28
	v_mov_b64_e32 v[38:39], v[34:35]
	s_delay_alu instid0(VALU_DEP_2)
	v_lshl_add_u32 v7, v7, 4, v40
	ds_store_b8 v6, v50 offset:16384
	s_wait_loadcnt 0x0
	ds_store_2addr_b64 v7, v[52:53], v[54:55] offset1:1
	s_branch .LBB174_9
.LBB174_18:                             ;   in Loop: Header=BB174_7 Depth=1
	s_or_b32 exec_lo, exec_lo, s42
.LBB174_19:                             ;   in Loop: Header=BB174_7 Depth=1
	s_delay_alu instid0(SALU_CYCLE_1)
	s_or_b32 exec_lo, exec_lo, s41
	ds_bpermute_b32 v22, v43, v38
	ds_bpermute_b32 v23, v43, v39
	s_wait_dscnt 0x0
	s_barrier_signal -1
	s_barrier_wait -1
	ds_load_u8 v7, v6 offset:16384
	s_mov_b64 s[36:37], 0
	v_min_i64 v[22:23], v[22:23], v[38:39]
	s_wait_dscnt 0x0
	v_and_b32_e32 v7, 1, v7
	s_delay_alu instid0(VALU_DEP_1)
	v_cmp_eq_u32_e32 vcc_lo, 0, v7
	s_and_b32 vcc_lo, exec_lo, vcc_lo
	ds_bpermute_b32 v28, v44, v22
	ds_bpermute_b32 v29, v44, v23
	s_wait_dscnt 0x0
	v_min_i64 v[22:23], v[28:29], v[22:23]
	ds_bpermute_b32 v28, v45, v22
	ds_bpermute_b32 v29, v45, v23
	s_wait_dscnt 0x0
	v_min_i64 v[22:23], v[28:29], v[22:23]
	ds_bpermute_b32 v22, v41, v22
	ds_bpermute_b32 v23, v41, v23
	s_cbranch_vccnz .LBB174_26
; %bb.20:                               ;   in Loop: Header=BB174_7 Depth=1
	s_mul_u64 s[36:37], s[28:29], s[34:35]
	v_add_nc_u64_e32 v[30:31], s[22:23], v[26:27]
	s_lshl_b64 s[36:37], s[36:37], 4
	s_delay_alu instid0(SALU_CYCLE_1) | instskip(SKIP_2) | instid1(SALU_CYCLE_1)
	v_add_nc_u64_e32 v[26:27], s[36:37], v[10:11]
	v_add_nc_u64_e32 v[28:29], s[36:37], v[12:13]
	s_lshl_b64 s[36:37], s[34:35], 3
	s_add_nc_u64 s[36:37], s[26:27], s[36:37]
	global_store_b64 v6, v[30:31], s[36:37]
	s_wait_xcnt 0x0
	s_and_saveexec_b32 s9, s33
	s_cbranch_execnz .LBB174_42
; %bb.21:                               ;   in Loop: Header=BB174_7 Depth=1
	s_or_b32 exec_lo, exec_lo, s9
	s_and_saveexec_b32 s9, s38
	s_cbranch_execnz .LBB174_43
.LBB174_22:                             ;   in Loop: Header=BB174_7 Depth=1
	s_or_b32 exec_lo, exec_lo, s9
	s_and_saveexec_b32 s9, s39
	s_cbranch_execnz .LBB174_44
.LBB174_23:                             ;   in Loop: Header=BB174_7 Depth=1
	s_or_b32 exec_lo, exec_lo, s9
	s_and_saveexec_b32 s9, s40
	s_cbranch_execz .LBB174_25
.LBB174_24:                             ;   in Loop: Header=BB174_7 Depth=1
	ds_load_2addr_b64 v[30:33], v49 offset1:1
	v_add_nc_u64_e32 v[28:29], 0x180, v[28:29]
	v_lshl_add_u64 v[26:27], v[20:21], 4, v[26:27]
	s_delay_alu instid0(VALU_DEP_1)
	v_dual_cndmask_b32 v27, v27, v29, s0 :: v_dual_cndmask_b32 v26, v26, v28, s0
	s_wait_dscnt 0x0
	global_store_b128 v[26:27], v[30:33], off
.LBB174_25:                             ;   in Loop: Header=BB174_7 Depth=1
	s_wait_xcnt 0x0
	s_or_b32 exec_lo, exec_lo, s9
	s_mov_b64 s[36:37], 1
.LBB174_26:                             ;   in Loop: Header=BB174_7 Depth=1
	s_wait_storecnt_dscnt 0x0
	s_barrier_signal -1
	s_barrier_wait -1
	ds_store_b64 v46, v[24:25]
	s_wait_dscnt 0x0
	s_barrier_signal -1
	s_barrier_wait -1
	s_and_saveexec_b32 s9, s1
	s_cbranch_execz .LBB174_28
; %bb.27:                               ;   in Loop: Header=BB174_7 Depth=1
	ds_load_2addr_stride64_b64 v[24:27], v46 offset1:2
	s_wait_dscnt 0x0
	v_min_i64 v[24:25], v[26:27], v[24:25]
	ds_store_b64 v46, v[24:25]
.LBB174_28:                             ;   in Loop: Header=BB174_7 Depth=1
	s_or_b32 exec_lo, exec_lo, s9
	s_wait_dscnt 0x0
	s_barrier_signal -1
	s_barrier_wait -1
	s_and_saveexec_b32 s9, s2
	s_cbranch_execz .LBB174_30
; %bb.29:                               ;   in Loop: Header=BB174_7 Depth=1
	ds_load_2addr_stride64_b64 v[24:27], v46 offset1:1
	s_wait_dscnt 0x0
	v_min_i64 v[24:25], v[26:27], v[24:25]
	ds_store_b64 v46, v[24:25]
.LBB174_30:                             ;   in Loop: Header=BB174_7 Depth=1
	s_or_b32 exec_lo, exec_lo, s9
	s_wait_dscnt 0x0
	s_barrier_signal -1
	s_barrier_wait -1
	s_and_saveexec_b32 s9, s3
	s_cbranch_execz .LBB174_32
; %bb.31:                               ;   in Loop: Header=BB174_7 Depth=1
	ds_load_2addr_b64 v[24:27], v46 offset1:32
	s_wait_dscnt 0x0
	v_min_i64 v[24:25], v[26:27], v[24:25]
	ds_store_b64 v46, v[24:25]
.LBB174_32:                             ;   in Loop: Header=BB174_7 Depth=1
	s_or_b32 exec_lo, exec_lo, s9
	s_wait_dscnt 0x0
	s_barrier_signal -1
	s_barrier_wait -1
	s_and_saveexec_b32 s9, s4
	s_cbranch_execz .LBB174_34
; %bb.33:                               ;   in Loop: Header=BB174_7 Depth=1
	ds_load_2addr_b64 v[24:27], v46 offset1:16
	s_wait_dscnt 0x0
	v_min_i64 v[24:25], v[26:27], v[24:25]
	ds_store_b64 v46, v[24:25]
.LBB174_34:                             ;   in Loop: Header=BB174_7 Depth=1
	;; [unrolled: 12-line block ×5, first 2 shown]
	s_or_b32 exec_lo, exec_lo, s9
	s_wait_dscnt 0x0
	s_barrier_signal -1
	s_barrier_wait -1
	s_and_saveexec_b32 s9, s8
	s_cbranch_execz .LBB174_6
; %bb.41:                               ;   in Loop: Header=BB174_7 Depth=1
	ds_load_b128 v[24:27], v6
	s_wait_dscnt 0x0
	v_min_i64 v[24:25], v[26:27], v[24:25]
	ds_store_b64 v6, v[24:25]
	s_branch .LBB174_6
.LBB174_42:                             ;   in Loop: Header=BB174_7 Depth=1
	ds_load_2addr_b64 v[30:33], v42 offset1:1
	v_lshl_add_u64 v[34:35], v[14:15], 4, v[26:27]
	s_delay_alu instid0(VALU_DEP_1)
	v_dual_cndmask_b32 v35, v35, v29, s0 :: v_dual_cndmask_b32 v34, v34, v28, s0
	s_wait_dscnt 0x0
	global_store_b128 v[34:35], v[30:33], off
	s_wait_xcnt 0x0
	s_or_b32 exec_lo, exec_lo, s9
	s_and_saveexec_b32 s9, s38
	s_cbranch_execz .LBB174_22
.LBB174_43:                             ;   in Loop: Header=BB174_7 Depth=1
	ds_load_2addr_b64 v[30:33], v47 offset1:1
	v_add_nc_u64_e32 v[34:35], 0x80, v[28:29]
	v_lshl_add_u64 v[36:37], v[16:17], 4, v[26:27]
	s_delay_alu instid0(VALU_DEP_1)
	v_dual_cndmask_b32 v35, v37, v35, s0 :: v_dual_cndmask_b32 v34, v36, v34, s0
	s_wait_dscnt 0x0
	global_store_b128 v[34:35], v[30:33], off
	s_wait_xcnt 0x0
	s_or_b32 exec_lo, exec_lo, s9
	s_and_saveexec_b32 s9, s39
	s_cbranch_execz .LBB174_23
.LBB174_44:                             ;   in Loop: Header=BB174_7 Depth=1
	ds_load_2addr_b64 v[30:33], v48 offset1:1
	v_add_nc_u64_e32 v[34:35], 0x100, v[28:29]
	v_lshl_add_u64 v[36:37], v[18:19], 4, v[26:27]
	s_delay_alu instid0(VALU_DEP_1)
	v_dual_cndmask_b32 v35, v37, v35, s0 :: v_dual_cndmask_b32 v34, v36, v34, s0
	s_wait_dscnt 0x0
	global_store_b128 v[34:35], v[30:33], off
	s_wait_xcnt 0x0
	s_or_b32 exec_lo, exec_lo, s9
	s_and_saveexec_b32 s9, s40
	s_cbranch_execnz .LBB174_24
	s_branch .LBB174_25
.LBB174_45:
	s_endpgm
	.section	.rodata,"a",@progbits
	.p2align	6, 0x0
	.amdhsa_kernel _ZN9rocsparseL38csr2bsr_block_per_row_multipass_kernelILj256ELj32E21rocsparse_complex_numIdEllEEv20rocsparse_direction_T3_S4_S4_S4_S4_21rocsparse_index_base_PKT1_PKT2_PKS4_S5_PS6_PS9_PS4_
		.amdhsa_group_segment_fixed_size 16392
		.amdhsa_private_segment_fixed_size 0
		.amdhsa_kernarg_size 112
		.amdhsa_user_sgpr_count 2
		.amdhsa_user_sgpr_dispatch_ptr 0
		.amdhsa_user_sgpr_queue_ptr 0
		.amdhsa_user_sgpr_kernarg_segment_ptr 1
		.amdhsa_user_sgpr_dispatch_id 0
		.amdhsa_user_sgpr_kernarg_preload_length 0
		.amdhsa_user_sgpr_kernarg_preload_offset 0
		.amdhsa_user_sgpr_private_segment_size 0
		.amdhsa_wavefront_size32 1
		.amdhsa_uses_dynamic_stack 0
		.amdhsa_enable_private_segment 0
		.amdhsa_system_sgpr_workgroup_id_x 1
		.amdhsa_system_sgpr_workgroup_id_y 0
		.amdhsa_system_sgpr_workgroup_id_z 0
		.amdhsa_system_sgpr_workgroup_info 0
		.amdhsa_system_vgpr_workitem_id 0
		.amdhsa_next_free_vgpr 64
		.amdhsa_next_free_sgpr 53
		.amdhsa_named_barrier_count 0
		.amdhsa_reserve_vcc 1
		.amdhsa_float_round_mode_32 0
		.amdhsa_float_round_mode_16_64 0
		.amdhsa_float_denorm_mode_32 3
		.amdhsa_float_denorm_mode_16_64 3
		.amdhsa_fp16_overflow 0
		.amdhsa_memory_ordered 1
		.amdhsa_forward_progress 1
		.amdhsa_inst_pref_size 22
		.amdhsa_round_robin_scheduling 0
		.amdhsa_exception_fp_ieee_invalid_op 0
		.amdhsa_exception_fp_denorm_src 0
		.amdhsa_exception_fp_ieee_div_zero 0
		.amdhsa_exception_fp_ieee_overflow 0
		.amdhsa_exception_fp_ieee_underflow 0
		.amdhsa_exception_fp_ieee_inexact 0
		.amdhsa_exception_int_div_zero 0
	.end_amdhsa_kernel
	.section	.text._ZN9rocsparseL38csr2bsr_block_per_row_multipass_kernelILj256ELj32E21rocsparse_complex_numIdEllEEv20rocsparse_direction_T3_S4_S4_S4_S4_21rocsparse_index_base_PKT1_PKT2_PKS4_S5_PS6_PS9_PS4_,"axG",@progbits,_ZN9rocsparseL38csr2bsr_block_per_row_multipass_kernelILj256ELj32E21rocsparse_complex_numIdEllEEv20rocsparse_direction_T3_S4_S4_S4_S4_21rocsparse_index_base_PKT1_PKT2_PKS4_S5_PS6_PS9_PS4_,comdat
.Lfunc_end174:
	.size	_ZN9rocsparseL38csr2bsr_block_per_row_multipass_kernelILj256ELj32E21rocsparse_complex_numIdEllEEv20rocsparse_direction_T3_S4_S4_S4_S4_21rocsparse_index_base_PKT1_PKT2_PKS4_S5_PS6_PS9_PS4_, .Lfunc_end174-_ZN9rocsparseL38csr2bsr_block_per_row_multipass_kernelILj256ELj32E21rocsparse_complex_numIdEllEEv20rocsparse_direction_T3_S4_S4_S4_S4_21rocsparse_index_base_PKT1_PKT2_PKS4_S5_PS6_PS9_PS4_
                                        ; -- End function
	.set _ZN9rocsparseL38csr2bsr_block_per_row_multipass_kernelILj256ELj32E21rocsparse_complex_numIdEllEEv20rocsparse_direction_T3_S4_S4_S4_S4_21rocsparse_index_base_PKT1_PKT2_PKS4_S5_PS6_PS9_PS4_.num_vgpr, 64
	.set _ZN9rocsparseL38csr2bsr_block_per_row_multipass_kernelILj256ELj32E21rocsparse_complex_numIdEllEEv20rocsparse_direction_T3_S4_S4_S4_S4_21rocsparse_index_base_PKT1_PKT2_PKS4_S5_PS6_PS9_PS4_.num_agpr, 0
	.set _ZN9rocsparseL38csr2bsr_block_per_row_multipass_kernelILj256ELj32E21rocsparse_complex_numIdEllEEv20rocsparse_direction_T3_S4_S4_S4_S4_21rocsparse_index_base_PKT1_PKT2_PKS4_S5_PS6_PS9_PS4_.numbered_sgpr, 53
	.set _ZN9rocsparseL38csr2bsr_block_per_row_multipass_kernelILj256ELj32E21rocsparse_complex_numIdEllEEv20rocsparse_direction_T3_S4_S4_S4_S4_21rocsparse_index_base_PKT1_PKT2_PKS4_S5_PS6_PS9_PS4_.num_named_barrier, 0
	.set _ZN9rocsparseL38csr2bsr_block_per_row_multipass_kernelILj256ELj32E21rocsparse_complex_numIdEllEEv20rocsparse_direction_T3_S4_S4_S4_S4_21rocsparse_index_base_PKT1_PKT2_PKS4_S5_PS6_PS9_PS4_.private_seg_size, 0
	.set _ZN9rocsparseL38csr2bsr_block_per_row_multipass_kernelILj256ELj32E21rocsparse_complex_numIdEllEEv20rocsparse_direction_T3_S4_S4_S4_S4_21rocsparse_index_base_PKT1_PKT2_PKS4_S5_PS6_PS9_PS4_.uses_vcc, 1
	.set _ZN9rocsparseL38csr2bsr_block_per_row_multipass_kernelILj256ELj32E21rocsparse_complex_numIdEllEEv20rocsparse_direction_T3_S4_S4_S4_S4_21rocsparse_index_base_PKT1_PKT2_PKS4_S5_PS6_PS9_PS4_.uses_flat_scratch, 0
	.set _ZN9rocsparseL38csr2bsr_block_per_row_multipass_kernelILj256ELj32E21rocsparse_complex_numIdEllEEv20rocsparse_direction_T3_S4_S4_S4_S4_21rocsparse_index_base_PKT1_PKT2_PKS4_S5_PS6_PS9_PS4_.has_dyn_sized_stack, 0
	.set _ZN9rocsparseL38csr2bsr_block_per_row_multipass_kernelILj256ELj32E21rocsparse_complex_numIdEllEEv20rocsparse_direction_T3_S4_S4_S4_S4_21rocsparse_index_base_PKT1_PKT2_PKS4_S5_PS6_PS9_PS4_.has_recursion, 0
	.set _ZN9rocsparseL38csr2bsr_block_per_row_multipass_kernelILj256ELj32E21rocsparse_complex_numIdEllEEv20rocsparse_direction_T3_S4_S4_S4_S4_21rocsparse_index_base_PKT1_PKT2_PKS4_S5_PS6_PS9_PS4_.has_indirect_call, 0
	.section	.AMDGPU.csdata,"",@progbits
; Kernel info:
; codeLenInByte = 2808
; TotalNumSgprs: 55
; NumVgprs: 64
; ScratchSize: 0
; MemoryBound: 0
; FloatMode: 240
; IeeeMode: 1
; LDSByteSize: 16392 bytes/workgroup (compile time only)
; SGPRBlocks: 0
; VGPRBlocks: 3
; NumSGPRsForWavesPerEU: 55
; NumVGPRsForWavesPerEU: 64
; NamedBarCnt: 0
; Occupancy: 16
; WaveLimiterHint : 1
; COMPUTE_PGM_RSRC2:SCRATCH_EN: 0
; COMPUTE_PGM_RSRC2:USER_SGPR: 2
; COMPUTE_PGM_RSRC2:TRAP_HANDLER: 0
; COMPUTE_PGM_RSRC2:TGID_X_EN: 1
; COMPUTE_PGM_RSRC2:TGID_Y_EN: 0
; COMPUTE_PGM_RSRC2:TGID_Z_EN: 0
; COMPUTE_PGM_RSRC2:TIDIG_COMP_CNT: 0
	.section	.text._ZN9rocsparseL21csr2bsr_65_inf_kernelILj32E21rocsparse_complex_numIdEllEEv20rocsparse_direction_T2_S4_S4_S4_S4_S4_21rocsparse_index_base_PKT0_PKT1_PKS4_S5_PS6_PS9_PS4_SF_SG_SE_,"axG",@progbits,_ZN9rocsparseL21csr2bsr_65_inf_kernelILj32E21rocsparse_complex_numIdEllEEv20rocsparse_direction_T2_S4_S4_S4_S4_S4_21rocsparse_index_base_PKT0_PKT1_PKS4_S5_PS6_PS9_PS4_SF_SG_SE_,comdat
	.globl	_ZN9rocsparseL21csr2bsr_65_inf_kernelILj32E21rocsparse_complex_numIdEllEEv20rocsparse_direction_T2_S4_S4_S4_S4_S4_21rocsparse_index_base_PKT0_PKT1_PKS4_S5_PS6_PS9_PS4_SF_SG_SE_ ; -- Begin function _ZN9rocsparseL21csr2bsr_65_inf_kernelILj32E21rocsparse_complex_numIdEllEEv20rocsparse_direction_T2_S4_S4_S4_S4_S4_21rocsparse_index_base_PKT0_PKT1_PKS4_S5_PS6_PS9_PS4_SF_SG_SE_
	.p2align	8
	.type	_ZN9rocsparseL21csr2bsr_65_inf_kernelILj32E21rocsparse_complex_numIdEllEEv20rocsparse_direction_T2_S4_S4_S4_S4_S4_21rocsparse_index_base_PKT0_PKT1_PKS4_S5_PS6_PS9_PS4_SF_SG_SE_,@function
_ZN9rocsparseL21csr2bsr_65_inf_kernelILj32E21rocsparse_complex_numIdEllEEv20rocsparse_direction_T2_S4_S4_S4_S4_S4_21rocsparse_index_base_PKT0_PKT1_PKS4_S5_PS6_PS9_PS4_SF_SG_SE_: ; @_ZN9rocsparseL21csr2bsr_65_inf_kernelILj32E21rocsparse_complex_numIdEllEEv20rocsparse_direction_T2_S4_S4_S4_S4_S4_21rocsparse_index_base_PKT0_PKT1_PKS4_S5_PS6_PS9_PS4_SF_SG_SE_
; %bb.0:
	s_clause 0x1
	s_load_b64 s[8:9], s[0:1], 0x18
	s_load_b128 s[4:7], s[0:1], 0x8
	s_bfe_u32 s10, ttmp6, 0x4000c
	s_clause 0x1
	s_load_b64 s[2:3], s[0:1], 0x78
	s_load_b32 s12, s[0:1], 0x58
	s_add_co_i32 s10, s10, 1
	s_and_b32 s11, ttmp6, 15
	s_mul_i32 s10, ttmp9, s10
	s_getreg_b32 s13, hwreg(HW_REG_IB_STS2, 6, 4)
	s_add_co_i32 s11, s11, s10
	s_cmp_eq_u32 s13, 0
	s_mov_b32 s21, 0
	s_cselect_b32 s20, ttmp9, s11
	s_mov_b64 s[22:23], 0
	s_wait_kmcnt 0x0
	v_cmp_le_i64_e64 s8, s[8:9], s[20:21]
	s_and_b32 vcc_lo, exec_lo, s8
	s_cbranch_vccnz .LBB175_2
; %bb.1:
	s_load_b64 s[8:9], s[0:1], 0x68
	s_lshl_b64 s[10:11], s[20:21], 3
	s_mov_b32 s13, s21
	s_wait_kmcnt 0x0
	s_add_nc_u64 s[8:9], s[8:9], s[10:11]
	s_load_b64 s[8:9], s[8:9], 0x0
	s_wait_kmcnt 0x0
	s_sub_nc_u64 s[22:23], s[8:9], s[12:13]
.LBB175_2:
	s_clause 0x1
	s_load_b128 s[8:11], s[0:1], 0x28
	s_load_b32 s14, s[0:1], 0x38
	v_mov_b32_e32 v1, 0
	s_wait_kmcnt 0x0
	s_delay_alu instid0(VALU_DEP_1)
	v_mul_u64_e32 v[2:3], s[10:11], v[0:1]
	s_mul_u64 s[16:17], s[20:21], s[10:11]
	s_lshl_b64 s[18:19], s[10:11], 8
	s_lshl_b64 s[16:17], s[16:17], 9
	v_cmp_lt_i64_e64 s13, s[10:11], 1
	s_add_nc_u64 s[2:3], s[2:3], s[16:17]
	v_cmp_gt_i64_e64 s33, s[10:11], 0
	s_add_nc_u64 s[16:17], s[2:3], s[18:19]
	s_and_b32 vcc_lo, exec_lo, s13
	v_lshlrev_b64_e32 v[4:5], 3, v[2:3]
	s_delay_alu instid0(VALU_DEP_1)
	v_add_nc_u64_e32 v[6:7], s[2:3], v[4:5]
	v_add_nc_u64_e32 v[8:9], s[16:17], v[4:5]
	s_cbranch_vccnz .LBB175_7
; %bb.3:
	s_load_b64 s[2:3], s[0:1], 0x48
	s_mul_u64 s[16:17], s[8:9], s[20:21]
	s_delay_alu instid0(VALU_DEP_1)
	v_mov_b64_e32 v[12:13], v[8:9]
	v_add_nc_u64_e32 v[4:5], s[16:17], v[0:1]
	v_mov_b64_e32 v[14:15], v[0:1]
	v_mov_b64_e32 v[16:17], v[6:7]
	s_mov_b32 s15, 0
	s_mov_b64 s[18:19], s[10:11]
	s_wait_kmcnt 0x0
	s_delay_alu instid0(VALU_DEP_3) | instskip(SKIP_1) | instid1(VALU_DEP_2)
	v_lshl_add_u64 v[10:11], v[4:5], 3, s[2:3]
	v_mov_b64_e32 v[4:5], 0
	v_add_nc_u64_e32 v[10:11], 8, v[10:11]
	s_branch .LBB175_5
.LBB175_4:                              ;   in Loop: Header=BB175_5 Depth=1
	s_wait_xcnt 0x0
	s_or_b32 exec_lo, exec_lo, s2
	v_add_nc_u64_e32 v[16:17], 8, v[16:17]
	v_add_nc_u64_e32 v[10:11], 0x100, v[10:11]
	;; [unrolled: 1-line block ×4, first 2 shown]
	s_add_nc_u64 s[18:19], s[18:19], -1
	s_delay_alu instid0(SALU_CYCLE_1)
	s_cmp_eq_u64 s[18:19], 0
	s_cbranch_scc1 .LBB175_7
.LBB175_5:                              ; =>This Inner Loop Header: Depth=1
	s_delay_alu instid0(VALU_DEP_2)
	v_add_nc_u64_e32 v[18:19], s[16:17], v[14:15]
	v_cmp_gt_i64_e64 s2, s[8:9], v[14:15]
	global_store_b64 v[16:17], v[4:5], off
	global_store_b64 v[12:13], v[4:5], off
	v_cmp_gt_i64_e32 vcc_lo, s[4:5], v[18:19]
	s_and_b32 s3, vcc_lo, s2
	s_wait_xcnt 0x0
	s_and_saveexec_b32 s2, s3
	s_cbranch_execz .LBB175_4
; %bb.6:                                ;   in Loop: Header=BB175_5 Depth=1
	global_load_b128 v[18:21], v[10:11], off offset:-8
	s_wait_loadcnt 0x0
	v_sub_nc_u64_e64 v[18:19], v[18:19], s[14:15]
	v_sub_nc_u64_e64 v[20:21], v[20:21], s[14:15]
	global_store_b64 v[16:17], v[18:19], off
	global_store_b64 v[12:13], v[20:21], off
	s_branch .LBB175_4
.LBB175_7:
	v_cmp_lt_i64_e64 s2, s[6:7], 1
	s_and_b32 vcc_lo, exec_lo, s2
	s_cbranch_vccnz .LBB175_52
; %bb.8:
	s_clause 0x1
	s_load_b128 s[24:27], s[0:1], 0x80
	s_load_b64 s[28:29], s[0:1], 0x70
	v_mbcnt_lo_u32_b32 v4, -1, 0
	s_lshl_b64 s[30:31], s[10:11], 5
	s_clause 0x3
	s_load_b64 s[2:3], s[0:1], 0x60
	s_load_b64 s[4:5], s[0:1], 0x50
	;; [unrolled: 1-line block ×3, first 2 shown]
	s_load_b32 s18, s[0:1], 0x0
	s_wait_xcnt 0x0
	s_mul_u64 s[0:1], s[30:31], s[20:21]
	v_mov_b64_e32 v[20:21], 0
	v_xor_b32_e32 v14, 8, v4
	v_xor_b32_e32 v5, 16, v4
	s_lshl_b64 s[20:21], s[0:1], 3
	s_lshl_b64 s[0:1], s[0:1], 4
	v_mov_b64_e32 v[18:19], 0
	v_mov_b32_e32 v45, 0x7c
	v_cmp_gt_i32_e32 vcc_lo, 32, v5
	s_mov_b32 s19, 0
	s_mov_b32 s40, 0
	s_mov_b32 s15, s19
	s_mov_b32 s13, s19
	v_cndmask_b32_e32 v5, v4, v5, vcc_lo
	v_cmp_gt_i32_e32 vcc_lo, 32, v14
	s_wait_kmcnt 0x0
	s_add_nc_u64 s[20:21], s[24:25], s[20:21]
	s_add_nc_u64 s[0:1], s[26:27], s[0:1]
	v_lshl_add_u64 v[10:11], v[2:3], 3, s[20:21]
	v_lshl_add_u64 v[12:13], v[2:3], 4, s[0:1]
	v_dual_lshlrev_b32 v40, 2, v5 :: v_dual_bitop2_b32 v3, 1, v4 bitop3:0x14
	v_dual_cndmask_b32 v2, v4, v14, vcc_lo :: v_dual_bitop2_b32 v15, 4, v4 bitop3:0x14
	v_cmp_eq_u32_e64 s0, 31, v0
	s_lshl_b64 s[20:21], s[22:23], 3
	s_cmp_lg_u32 s18, 0
	v_cmp_gt_i32_e32 vcc_lo, 32, v15
	v_xor_b32_e32 v16, 2, v4
	s_add_nc_u64 s[20:21], s[28:29], s[20:21]
	s_cselect_b32 s38, -1, 0
	s_add_nc_u64 s[22:23], s[22:23], -1
	v_cndmask_b32_e32 v14, v4, v15, vcc_lo
	v_cmp_gt_i32_e32 vcc_lo, 32, v16
	v_lshlrev_b32_e32 v41, 2, v2
	s_lshl_b64 s[24:25], s[8:9], 4
	s_mov_b64 s[26:27], 0xffffffff
	s_lshl_b64 s[28:29], s[8:9], 9
	v_cndmask_b32_e32 v15, v4, v16, vcc_lo
	v_cmp_gt_i32_e32 vcc_lo, 32, v3
	v_lshlrev_b32_e32 v42, 2, v14
	v_mov_b64_e32 v[16:17], 0
	s_ashr_i32 s30, s9, 31
	v_dual_mov_b32 v2, 0 :: v_dual_cndmask_b32 v3, v4, v3
	v_dual_lshlrev_b32 v4, 4, v0 :: v_dual_lshlrev_b32 v43, 2, v15
	s_sub_co_i32 s39, 0, s8
	s_delay_alu instid0(VALU_DEP_2) | instskip(NEXT) | instid1(VALU_DEP_1)
	v_dual_mov_b32 v5, v2 :: v_dual_lshlrev_b32 v44, 2, v3
	v_add_nc_u64_e32 v[14:15], s[2:3], v[4:5]
	s_branch .LBB175_10
.LBB175_9:                              ;   in Loop: Header=BB175_10 Depth=1
	s_wait_dscnt 0x2
	v_add_nc_u64_e32 v[20:21], 1, v[4:5]
	s_delay_alu instid0(VALU_DEP_1) | instskip(SKIP_1) | instid1(SALU_CYCLE_1)
	v_cmp_le_i64_e32 vcc_lo, s[6:7], v[20:21]
	s_or_b32 s40, vcc_lo, s40
	s_and_not1_b32 exec_lo, exec_lo, s40
	s_cbranch_execz .LBB175_52
.LBB175_10:                             ; =>This Loop Header: Depth=1
                                        ;     Child Loop BB175_14 Depth 2
                                        ;       Child Loop BB175_17 Depth 3
                                        ;     Child Loop BB175_33 Depth 2
	v_mov_b64_e32 v[22:23], s[6:7]
	s_and_not1_b32 vcc_lo, exec_lo, s33
	s_cbranch_vccnz .LBB175_23
; %bb.11:                               ;   in Loop: Header=BB175_10 Depth=1
	v_mov_b64_e32 v[22:23], s[6:7]
	s_mov_b64 s[34:35], 0
	s_branch .LBB175_14
.LBB175_12:                             ;   in Loop: Header=BB175_14 Depth=2
	s_wait_xcnt 0x0
	s_or_b32 exec_lo, exec_lo, s18
.LBB175_13:                             ;   in Loop: Header=BB175_14 Depth=2
	s_delay_alu instid0(SALU_CYCLE_1) | instskip(SKIP_1) | instid1(SALU_CYCLE_1)
	s_or_b32 exec_lo, exec_lo, s1
	s_add_nc_u64 s[34:35], s[34:35], 1
	s_cmp_eq_u64 s[34:35], s[10:11]
	s_cbranch_scc1 .LBB175_23
.LBB175_14:                             ;   Parent Loop BB175_10 Depth=1
                                        ; =>  This Loop Header: Depth=2
                                        ;       Child Loop BB175_17 Depth 3
	s_lshl_b64 s[36:37], s[34:35], 3
	v_mov_b64_e32 v[34:35], s[6:7]
	v_add_nc_u64_e32 v[24:25], s[36:37], v[6:7]
	v_add_nc_u64_e32 v[4:5], s[36:37], v[8:9]
	;; [unrolled: 1-line block ×3, first 2 shown]
	v_lshl_add_u64 v[30:31], s[34:35], 4, v[12:13]
	v_mov_b32_e32 v3, v2
	s_mov_b32 s1, exec_lo
	s_clause 0x1
	global_load_b64 v[32:33], v[24:25], off
	global_load_b64 v[28:29], v[4:5], off
	s_wait_xcnt 0x0
	v_dual_mov_b32 v4, v2 :: v_dual_mov_b32 v5, v2
	global_store_b128 v[30:31], v[2:5], off
	global_store_b64 v[26:27], v[34:35], off
	s_wait_loadcnt 0x0
	s_wait_xcnt 0x0
	v_cmpx_lt_i64_e64 v[32:33], v[28:29]
	s_cbranch_execz .LBB175_13
; %bb.15:                               ;   in Loop: Header=BB175_14 Depth=2
	v_lshl_add_u64 v[36:37], v[32:33], 3, s[4:5]
	v_lshl_add_u64 v[38:39], v[32:33], 4, s[16:17]
	s_mov_b32 s18, 0
                                        ; implicit-def: $sgpr31
                                        ; implicit-def: $sgpr37
                                        ; implicit-def: $sgpr36
	s_branch .LBB175_17
.LBB175_16:                             ;   in Loop: Header=BB175_17 Depth=3
	s_or_b32 exec_lo, exec_lo, s41
	s_delay_alu instid0(SALU_CYCLE_1) | instskip(NEXT) | instid1(SALU_CYCLE_1)
	s_and_b32 s41, exec_lo, s37
	s_or_b32 s18, s41, s18
	s_and_not1_b32 s31, s31, exec_lo
	s_and_b32 s41, s36, exec_lo
	s_delay_alu instid0(SALU_CYCLE_1)
	s_or_b32 s31, s31, s41
	s_and_not1_b32 exec_lo, exec_lo, s18
	s_cbranch_execz .LBB175_19
.LBB175_17:                             ;   Parent Loop BB175_10 Depth=1
                                        ;     Parent Loop BB175_14 Depth=2
                                        ; =>    This Inner Loop Header: Depth=3
	global_load_b128 v[46:49], v[38:39], off
	v_mov_b64_e32 v[34:35], v[32:33]
	s_or_b32 s36, s36, exec_lo
	s_or_b32 s37, s37, exec_lo
	s_mov_b32 s41, exec_lo
                                        ; implicit-def: $vgpr32_vgpr33
	s_wait_loadcnt 0x0
	global_store_b128 v[30:31], v[46:49], off
	global_load_b64 v[4:5], v[36:37], off
	s_wait_loadcnt 0x0
	v_sub_nc_u64_e64 v[4:5], v[4:5], s[14:15]
	s_wait_xcnt 0x0
	s_delay_alu instid0(VALU_DEP_1)
	v_cmpx_lt_i64_e64 v[4:5], v[20:21]
	s_cbranch_execz .LBB175_16
; %bb.18:                               ;   in Loop: Header=BB175_17 Depth=3
	v_add_nc_u64_e32 v[32:33], 1, v[34:35]
	v_add_nc_u64_e32 v[36:37], 8, v[36:37]
	;; [unrolled: 1-line block ×3, first 2 shown]
	s_and_not1_b32 s37, s37, exec_lo
	s_and_not1_b32 s36, s36, exec_lo
	s_delay_alu instid0(VALU_DEP_3) | instskip(SKIP_1) | instid1(SALU_CYCLE_1)
	v_cmp_ge_i64_e32 vcc_lo, v[32:33], v[28:29]
	s_and_b32 s42, vcc_lo, exec_lo
	s_or_b32 s37, s37, s42
	s_branch .LBB175_16
.LBB175_19:                             ;   in Loop: Header=BB175_14 Depth=2
	s_or_b32 exec_lo, exec_lo, s18
	s_xor_b32 s18, s31, -1
	s_delay_alu instid0(SALU_CYCLE_1) | instskip(NEXT) | instid1(SALU_CYCLE_1)
	s_and_saveexec_b32 s31, s18
	s_xor_b32 s18, exec_lo, s31
	s_cbranch_execz .LBB175_21
; %bb.20:                               ;   in Loop: Header=BB175_14 Depth=2
	global_store_b64 v[26:27], v[4:5], off
                                        ; implicit-def: $vgpr26_vgpr27
                                        ; implicit-def: $vgpr24_vgpr25
.LBB175_21:                             ;   in Loop: Header=BB175_14 Depth=2
	s_wait_xcnt 0x0
	s_and_not1_saveexec_b32 s18, s18
	s_cbranch_execz .LBB175_12
; %bb.22:                               ;   in Loop: Header=BB175_14 Depth=2
	v_min_i64 v[22:23], v[4:5], v[22:23]
	global_store_b64 v[26:27], v[4:5], off
	global_store_b64 v[24:25], v[34:35], off
	s_branch .LBB175_12
.LBB175_23:                             ;   in Loop: Header=BB175_10 Depth=1
	ds_bpermute_b32 v4, v40, v22
	ds_bpermute_b32 v5, v40, v23
	s_wait_dscnt 0x0
	v_min_i64 v[4:5], v[4:5], v[22:23]
	ds_bpermute_b32 v20, v41, v4
	ds_bpermute_b32 v21, v41, v5
	s_wait_dscnt 0x0
	v_min_i64 v[4:5], v[20:21], v[4:5]
	;; [unrolled: 4-line block ×5, first 2 shown]
	s_delay_alu instid0(VALU_DEP_1) | instskip(SKIP_1) | instid1(SALU_CYCLE_1)
	v_cmp_gt_i64_e32 vcc_lo, s[6:7], v[4:5]
	s_and_b32 s1, s0, vcc_lo
	s_and_saveexec_b32 s36, s1
	s_cbranch_execz .LBB175_29
; %bb.24:                               ;   in Loop: Header=BB175_10 Depth=1
	v_or_b32_e32 v3, s9, v5
                                        ; implicit-def: $vgpr20_vgpr21
	s_mov_b32 s1, exec_lo
	s_delay_alu instid0(VALU_DEP_1)
	v_cmpx_ne_u64_e32 0, v[2:3]
	s_xor_b32 s37, exec_lo, s1
	s_cbranch_execnz .LBB175_50
; %bb.25:                               ;   in Loop: Header=BB175_10 Depth=1
	s_and_not1_saveexec_b32 s1, s37
	s_cbranch_execnz .LBB175_51
.LBB175_26:                             ;   in Loop: Header=BB175_10 Depth=1
	s_or_b32 exec_lo, exec_lo, s1
	s_delay_alu instid0(SALU_CYCLE_1) | instskip(NEXT) | instid1(VALU_DEP_1)
	s_mov_b32 s1, exec_lo
	v_cmpx_ge_i64_e64 v[20:21], v[18:19]
	s_cbranch_execz .LBB175_28
.LBB175_27:                             ;   in Loop: Header=BB175_10 Depth=1
	v_add_nc_u64_e32 v[22:23], s[12:13], v[20:21]
	v_lshl_add_u64 v[24:25], v[16:17], 3, s[20:21]
	v_add_nc_u64_e32 v[16:17], 1, v[16:17]
	v_add_nc_u64_e32 v[18:19], 1, v[20:21]
	global_store_b64 v[24:25], v[22:23], off
.LBB175_28:                             ;   in Loop: Header=BB175_10 Depth=1
	s_wait_xcnt 0x0
	s_or_b32 exec_lo, exec_lo, s1
.LBB175_29:                             ;   in Loop: Header=BB175_10 Depth=1
	s_delay_alu instid0(SALU_CYCLE_1)
	s_or_b32 exec_lo, exec_lo, s36
	ds_bpermute_b32 v4, v45, v4
	ds_bpermute_b32 v5, v45, v5
	;; [unrolled: 1-line block ×4, first 2 shown]
	s_and_not1_b32 vcc_lo, exec_lo, s33
	s_cbranch_vccnz .LBB175_9
; %bb.30:                               ;   in Loop: Header=BB175_10 Depth=1
	s_wait_dscnt 0x0
	v_dual_mov_b32 v3, v17 :: v_dual_mov_b32 v22, v16
	v_mov_b32_e32 v23, v2
	v_mov_b64_e32 v[28:29], v[14:15]
	s_mov_b64 s[34:35], s[10:11]
	s_delay_alu instid0(VALU_DEP_3) | instskip(NEXT) | instid1(VALU_DEP_1)
	v_add_nc_u64_e32 v[20:21], s[22:23], v[2:3]
	v_add_nc_u64_e32 v[24:25], v[20:21], v[22:23]
	;; [unrolled: 1-line block ×3, first 2 shown]
	s_delay_alu instid0(VALU_DEP_2) | instskip(NEXT) | instid1(VALU_DEP_2)
	v_mad_nc_u64_u32 v[26:27], s8, v24, v[0:1]
	v_mul_u64_e32 v[22:23], s[8:9], v[22:23]
	s_delay_alu instid0(VALU_DEP_2) | instskip(NEXT) | instid1(VALU_DEP_3)
	v_mad_u32 v3, s9, v24, v27
	v_mad_nc_u64_u32 v[20:21], s24, v26, s[2:3]
	s_delay_alu instid0(VALU_DEP_2) | instskip(NEXT) | instid1(VALU_DEP_2)
	v_mad_u32 v3, s8, v25, v3
	v_mad_u32 v21, s25, v26, v21
	v_mov_b64_e32 v[24:25], v[10:11]
	v_mov_b64_e32 v[26:27], v[12:13]
	s_delay_alu instid0(VALU_DEP_3)
	v_mad_u32 v21, s24, v3, v21
	s_branch .LBB175_33
.LBB175_31:                             ;   in Loop: Header=BB175_33 Depth=2
	s_or_b32 exec_lo, exec_lo, s1
	global_load_b128 v[34:37], v[26:27], off
	v_lshl_add_u64 v[30:31], v[32:33], 4, v[20:21]
	s_wait_loadcnt 0x0
	global_store_b128 v[30:31], v[34:37], off
.LBB175_32:                             ;   in Loop: Header=BB175_33 Depth=2
	s_wait_xcnt 0x0
	s_or_b32 exec_lo, exec_lo, s41
	v_add_nc_u64_e32 v[20:21], s[28:29], v[20:21]
	v_add_nc_u64_e32 v[28:29], 0x200, v[28:29]
	;; [unrolled: 1-line block ×4, first 2 shown]
	s_add_nc_u64 s[34:35], s[34:35], -1
	s_delay_alu instid0(SALU_CYCLE_1)
	s_cmp_eq_u64 s[34:35], 0
	s_cbranch_scc1 .LBB175_9
.LBB175_33:                             ;   Parent Loop BB175_10 Depth=1
                                        ; =>  This Inner Loop Header: Depth=2
	global_load_b64 v[30:31], v[24:25], off
	s_mov_b32 s41, exec_lo
	s_wait_loadcnt 0x0
	v_cmpx_gt_i64_e64 s[6:7], v[30:31]
	s_cbranch_execz .LBB175_32
; %bb.34:                               ;   in Loop: Header=BB175_33 Depth=2
	v_or_b32_e32 v36, s9, v31
                                        ; implicit-def: $vgpr32_vgpr33
	s_mov_b32 s1, exec_lo
	s_delay_alu instid0(VALU_DEP_1) | instskip(NEXT) | instid1(VALU_DEP_1)
	v_mov_b32_e32 v3, v36
	v_cmpx_ne_u64_e32 0, v[2:3]
	s_xor_b32 s42, exec_lo, s1
	s_cbranch_execz .LBB175_36
; %bb.35:                               ;   in Loop: Header=BB175_33 Depth=2
	s_mov_b32 s31, s30
	v_dual_mov_b32 v39, v2 :: v_dual_ashrrev_i32 v32, 31, v31
	s_add_nc_u64 s[36:37], s[8:9], s[30:31]
	s_delay_alu instid0(SALU_CYCLE_1) | instskip(NEXT) | instid1(VALU_DEP_1)
	s_xor_b64 s[36:37], s[36:37], s[30:31]
	v_mov_b32_e32 v33, v32
	s_cvt_f32_u32 s1, s36
	s_cvt_f32_u32 s18, s37
	s_sub_nc_u64 s[46:47], 0, s[36:37]
	s_delay_alu instid0(VALU_DEP_1) | instskip(NEXT) | instid1(SALU_CYCLE_1)
	v_add_nc_u64_e32 v[34:35], v[30:31], v[32:33]
	s_fmamk_f32 s1, s18, 0x4f800000, s1
	v_mov_b32_e32 v49, v2
	s_delay_alu instid0(SALU_CYCLE_2) | instskip(NEXT) | instid1(VALU_DEP_2)
	v_s_rcp_f32 s1, s1
	v_xor_b32_e32 v38, v34, v32
	s_delay_alu instid0(VALU_DEP_3) | instskip(SKIP_1) | instid1(TRANS32_DEP_1)
	v_dual_mov_b32 v53, v2 :: v_dual_bitop2_b32 v48, v35, v32 bitop3:0x14
	v_xor_b32_e32 v32, s30, v32
	s_mul_f32 s1, s1, 0x5f7ffffc
	s_delay_alu instid0(SALU_CYCLE_3) | instskip(NEXT) | instid1(SALU_CYCLE_3)
	s_mul_f32 s18, s1, 0x2f800000
	s_trunc_f32 s18, s18
	s_delay_alu instid0(SALU_CYCLE_3) | instskip(SKIP_1) | instid1(SALU_CYCLE_2)
	s_fmamk_f32 s1, s18, 0xcf800000, s1
	s_cvt_u32_f32 s45, s18
	s_cvt_u32_f32 s44, s1
	s_delay_alu instid0(SALU_CYCLE_3) | instskip(NEXT) | instid1(SALU_CYCLE_1)
	s_mul_u64 s[48:49], s[46:47], s[44:45]
	s_mul_hi_u32 s51, s44, s49
	s_mul_i32 s50, s44, s49
	s_mul_hi_u32 s18, s44, s48
	s_mul_i32 s31, s45, s48
	s_add_nc_u64 s[50:51], s[18:19], s[50:51]
	s_mul_hi_u32 s1, s45, s48
	s_mul_hi_u32 s43, s45, s49
	s_add_co_u32 s18, s50, s31
	s_add_co_ci_u32 s18, s51, s1
	s_mul_i32 s48, s45, s49
	s_add_co_ci_u32 s49, s43, 0
	s_delay_alu instid0(SALU_CYCLE_1) | instskip(NEXT) | instid1(SALU_CYCLE_1)
	s_add_nc_u64 s[48:49], s[18:19], s[48:49]
	s_add_co_u32 s44, s44, s48
	s_cselect_b32 s1, -1, 0
	s_delay_alu instid0(SALU_CYCLE_1) | instskip(SKIP_1) | instid1(SALU_CYCLE_1)
	s_cmp_lg_u32 s1, 0
	s_add_co_ci_u32 s45, s45, s49
	s_mul_u64 s[46:47], s[46:47], s[44:45]
	s_delay_alu instid0(SALU_CYCLE_1)
	s_mul_hi_u32 s49, s44, s47
	s_mul_i32 s48, s44, s47
	s_mul_hi_u32 s18, s44, s46
	s_mul_i32 s31, s45, s46
	s_add_nc_u64 s[48:49], s[18:19], s[48:49]
	s_mul_hi_u32 s1, s45, s46
	s_mul_hi_u32 s43, s45, s47
	s_add_co_u32 s18, s48, s31
	s_add_co_ci_u32 s18, s49, s1
	s_mul_i32 s46, s45, s47
	s_add_co_ci_u32 s47, s43, 0
	s_delay_alu instid0(SALU_CYCLE_1) | instskip(NEXT) | instid1(SALU_CYCLE_1)
	s_add_nc_u64 s[46:47], s[18:19], s[46:47]
	s_add_co_u32 s44, s44, s46
	s_cselect_b32 s1, -1, 0
	v_mul_hi_u32 v52, v38, s44
	s_cmp_lg_u32 s1, 0
	s_add_co_ci_u32 s18, s45, s47
	s_and_b64 s[46:47], s[44:45], s[26:27]
	v_mul_u64_e32 v[46:47], s[18:19], v[38:39]
	v_mul_u64_e32 v[34:35], s[46:47], v[48:49]
	;; [unrolled: 1-line block ×3, first 2 shown]
	s_delay_alu instid0(VALU_DEP_3) | instskip(NEXT) | instid1(VALU_DEP_1)
	v_add_nc_u64_e32 v[46:47], v[52:53], v[46:47]
	v_add_co_u32 v3, vcc_lo, v46, v34
	s_delay_alu instid0(VALU_DEP_2) | instskip(NEXT) | instid1(VALU_DEP_4)
	v_add_co_ci_u32_e32 v52, vcc_lo, v47, v35, vcc_lo
	v_add_co_ci_u32_e32 v51, vcc_lo, 0, v51, vcc_lo
	s_delay_alu instid0(VALU_DEP_1) | instskip(NEXT) | instid1(VALU_DEP_1)
	v_add_nc_u64_e32 v[34:35], v[52:53], v[50:51]
	v_mul_u64_e32 v[46:47], s[36:37], v[34:35]
	s_delay_alu instid0(VALU_DEP_1) | instskip(NEXT) | instid1(VALU_DEP_2)
	v_sub_nc_u32_e32 v3, v48, v47
	v_sub_co_u32 v33, vcc_lo, v38, v46
	s_delay_alu instid0(VALU_DEP_1) | instskip(NEXT) | instid1(VALU_DEP_3)
	v_sub_co_ci_u32_e64 v48, null, v48, v47, vcc_lo
	v_subrev_co_ci_u32_e64 v3, null, s37, v3, vcc_lo
	s_delay_alu instid0(VALU_DEP_3) | instskip(SKIP_1) | instid1(VALU_DEP_3)
	v_sub_co_u32 v37, s1, v33, s36
	v_add_nc_u64_e32 v[46:47], 1, v[34:35]
	v_subrev_co_ci_u32_e64 v3, null, 0, v3, s1
	s_delay_alu instid0(VALU_DEP_3) | instskip(SKIP_1) | instid1(VALU_DEP_3)
	v_cmp_le_u32_e32 vcc_lo, s36, v37
	v_cndmask_b32_e64 v37, 0, -1, vcc_lo
	v_cmp_le_u32_e32 vcc_lo, s37, v3
	v_cndmask_b32_e64 v38, 0, -1, vcc_lo
	;; [unrolled: 2-line block ×4, first 2 shown]
	v_cmp_eq_u32_e32 vcc_lo, s37, v3
	v_cndmask_b32_e32 v3, v38, v37, vcc_lo
	v_cmp_eq_u32_e32 vcc_lo, s37, v48
	v_add_nc_u64_e32 v[38:39], 2, v[34:35]
	v_cndmask_b32_e32 v33, v49, v33, vcc_lo
	s_delay_alu instid0(VALU_DEP_4) | instskip(NEXT) | instid1(VALU_DEP_3)
	v_cmp_ne_u32_e32 vcc_lo, 0, v3
	v_cndmask_b32_e32 v3, v47, v39, vcc_lo
	s_delay_alu instid0(VALU_DEP_3) | instskip(NEXT) | instid1(VALU_DEP_1)
	v_cmp_ne_u32_e64 s1, 0, v33
	v_dual_cndmask_b32 v33, v46, v38, vcc_lo :: v_dual_cndmask_b32 v3, v35, v3, s1
	s_delay_alu instid0(VALU_DEP_1) | instskip(NEXT) | instid1(VALU_DEP_2)
	v_dual_cndmask_b32 v34, v34, v33, s1 :: v_dual_mov_b32 v33, v32
	v_xor_b32_e32 v35, v3, v32
	s_delay_alu instid0(VALU_DEP_2) | instskip(NEXT) | instid1(VALU_DEP_1)
	v_xor_b32_e32 v34, v34, v32
	v_sub_nc_u64_e32 v[32:33], v[34:35], v[32:33]
.LBB175_36:                             ;   in Loop: Header=BB175_33 Depth=2
	s_and_not1_saveexec_b32 s1, s42
	s_cbranch_execz .LBB175_38
; %bb.37:                               ;   in Loop: Header=BB175_33 Depth=2
	v_cvt_f32_u32_e32 v3, s8
	s_delay_alu instid0(VALU_DEP_1) | instskip(SKIP_1) | instid1(TRANS32_DEP_1)
	v_rcp_iflag_f32_e32 v3, v3
	v_nop
	v_mul_f32_e32 v3, 0x4f7ffffe, v3
	s_delay_alu instid0(VALU_DEP_1) | instskip(NEXT) | instid1(VALU_DEP_1)
	v_cvt_u32_f32_e32 v3, v3
	v_mul_lo_u32 v32, s39, v3
	s_delay_alu instid0(VALU_DEP_1) | instskip(NEXT) | instid1(VALU_DEP_1)
	v_mul_hi_u32 v32, v3, v32
	v_add_nc_u32_e32 v3, v3, v32
	s_delay_alu instid0(VALU_DEP_1) | instskip(NEXT) | instid1(VALU_DEP_1)
	v_mul_hi_u32 v3, v30, v3
	v_mul_lo_u32 v32, v3, s8
	s_delay_alu instid0(VALU_DEP_1) | instskip(NEXT) | instid1(VALU_DEP_1)
	v_dual_add_nc_u32 v33, 1, v3 :: v_dual_sub_nc_u32 v32, v30, v32
	v_subrev_nc_u32_e32 v34, s8, v32
	v_cmp_le_u32_e32 vcc_lo, s8, v32
	s_delay_alu instid0(VALU_DEP_2) | instskip(NEXT) | instid1(VALU_DEP_1)
	v_dual_cndmask_b32 v32, v32, v34 :: v_dual_cndmask_b32 v3, v3, v33
	v_cmp_le_u32_e32 vcc_lo, s8, v32
	s_delay_alu instid0(VALU_DEP_2) | instskip(NEXT) | instid1(VALU_DEP_1)
	v_add_nc_u32_e32 v33, 1, v3
	v_dual_cndmask_b32 v32, v3, v33 :: v_dual_mov_b32 v33, v2
.LBB175_38:                             ;   in Loop: Header=BB175_33 Depth=2
	s_or_b32 exec_lo, exec_lo, s1
	v_or_b32_e32 v3, s9, v5
                                        ; implicit-def: $vgpr34_vgpr35
	s_mov_b32 s1, exec_lo
	s_delay_alu instid0(VALU_DEP_1)
	v_cmpx_ne_u64_e32 0, v[2:3]
	s_xor_b32 s42, exec_lo, s1
	s_cbranch_execnz .LBB175_41
; %bb.39:                               ;   in Loop: Header=BB175_33 Depth=2
	s_and_not1_saveexec_b32 s1, s42
	s_cbranch_execnz .LBB175_42
.LBB175_40:                             ;   in Loop: Header=BB175_33 Depth=2
	s_or_b32 exec_lo, exec_lo, s1
	s_delay_alu instid0(VALU_DEP_1)
	v_cmp_eq_u64_e32 vcc_lo, v[32:33], v[34:35]
	s_and_b32 exec_lo, exec_lo, vcc_lo
	s_cbranch_execz .LBB175_32
	s_branch .LBB175_43
.LBB175_41:                             ;   in Loop: Header=BB175_33 Depth=2
	s_mov_b32 s31, s30
	v_dual_mov_b32 v47, v2 :: v_dual_ashrrev_i32 v34, 31, v5
	s_add_nc_u64 s[36:37], s[8:9], s[30:31]
	v_mov_b32_e32 v51, v2
	s_xor_b64 s[36:37], s[36:37], s[30:31]
	s_delay_alu instid0(VALU_DEP_2)
	v_mov_b32_e32 v35, v34
	s_cvt_f32_u32 s1, s36
	s_cvt_f32_u32 s18, s37
	s_sub_nc_u64 s[46:47], 0, s[36:37]
	v_mov_b32_e32 v55, v2
	v_add_nc_u64_e32 v[38:39], v[4:5], v[34:35]
	s_fmamk_f32 s1, s18, 0x4f800000, s1
	s_delay_alu instid0(SALU_CYCLE_3) | instskip(NEXT) | instid1(VALU_DEP_1)
	v_s_rcp_f32 s1, s1
	v_xor_b32_e32 v46, v38, v34
	s_delay_alu instid0(VALU_DEP_2) | instskip(SKIP_1) | instid1(TRANS32_DEP_1)
	v_xor_b32_e32 v50, v39, v34
	v_xor_b32_e32 v34, s30, v34
	s_mul_f32 s1, s1, 0x5f7ffffc
	s_delay_alu instid0(SALU_CYCLE_3) | instskip(NEXT) | instid1(SALU_CYCLE_3)
	s_mul_f32 s18, s1, 0x2f800000
	s_trunc_f32 s18, s18
	s_delay_alu instid0(SALU_CYCLE_3) | instskip(SKIP_1) | instid1(SALU_CYCLE_2)
	s_fmamk_f32 s1, s18, 0xcf800000, s1
	s_cvt_u32_f32 s45, s18
	s_cvt_u32_f32 s44, s1
	s_delay_alu instid0(SALU_CYCLE_3) | instskip(NEXT) | instid1(SALU_CYCLE_1)
	s_mul_u64 s[48:49], s[46:47], s[44:45]
	s_mul_hi_u32 s51, s44, s49
	s_mul_i32 s50, s44, s49
	s_mul_hi_u32 s18, s44, s48
	s_mul_i32 s31, s45, s48
	s_add_nc_u64 s[50:51], s[18:19], s[50:51]
	s_mul_hi_u32 s1, s45, s48
	s_mul_hi_u32 s43, s45, s49
	s_add_co_u32 s18, s50, s31
	s_add_co_ci_u32 s18, s51, s1
	s_mul_i32 s48, s45, s49
	s_add_co_ci_u32 s49, s43, 0
	s_delay_alu instid0(SALU_CYCLE_1) | instskip(NEXT) | instid1(SALU_CYCLE_1)
	s_add_nc_u64 s[48:49], s[18:19], s[48:49]
	s_add_co_u32 s44, s44, s48
	s_cselect_b32 s1, -1, 0
	s_delay_alu instid0(SALU_CYCLE_1) | instskip(SKIP_1) | instid1(SALU_CYCLE_1)
	s_cmp_lg_u32 s1, 0
	s_add_co_ci_u32 s45, s45, s49
	s_mul_u64 s[46:47], s[46:47], s[44:45]
	s_delay_alu instid0(SALU_CYCLE_1)
	s_mul_hi_u32 s49, s44, s47
	s_mul_i32 s48, s44, s47
	s_mul_hi_u32 s18, s44, s46
	s_mul_i32 s31, s45, s46
	s_add_nc_u64 s[48:49], s[18:19], s[48:49]
	s_mul_hi_u32 s1, s45, s46
	s_mul_hi_u32 s43, s45, s47
	s_add_co_u32 s18, s48, s31
	s_add_co_ci_u32 s18, s49, s1
	s_mul_i32 s46, s45, s47
	s_add_co_ci_u32 s47, s43, 0
	s_delay_alu instid0(SALU_CYCLE_1) | instskip(NEXT) | instid1(SALU_CYCLE_1)
	s_add_nc_u64 s[46:47], s[18:19], s[46:47]
	s_add_co_u32 s44, s44, s46
	s_cselect_b32 s1, -1, 0
	v_mul_hi_u32 v54, v46, s44
	s_cmp_lg_u32 s1, 0
	s_add_co_ci_u32 s18, s45, s47
	s_and_b64 s[46:47], s[44:45], s[26:27]
	v_mul_u64_e32 v[48:49], s[18:19], v[46:47]
	v_mul_u64_e32 v[38:39], s[46:47], v[50:51]
	v_mul_u64_e32 v[52:53], s[18:19], v[50:51]
	s_delay_alu instid0(VALU_DEP_3) | instskip(NEXT) | instid1(VALU_DEP_1)
	v_add_nc_u64_e32 v[48:49], v[54:55], v[48:49]
	v_add_co_u32 v3, vcc_lo, v48, v38
	s_delay_alu instid0(VALU_DEP_2) | instskip(NEXT) | instid1(VALU_DEP_4)
	v_add_co_ci_u32_e32 v54, vcc_lo, v49, v39, vcc_lo
	v_add_co_ci_u32_e32 v53, vcc_lo, 0, v53, vcc_lo
	s_delay_alu instid0(VALU_DEP_1) | instskip(NEXT) | instid1(VALU_DEP_1)
	v_add_nc_u64_e32 v[38:39], v[54:55], v[52:53]
	v_mul_u64_e32 v[48:49], s[36:37], v[38:39]
	s_delay_alu instid0(VALU_DEP_1) | instskip(NEXT) | instid1(VALU_DEP_2)
	v_sub_nc_u32_e32 v3, v50, v49
	v_sub_co_u32 v35, vcc_lo, v46, v48
	s_delay_alu instid0(VALU_DEP_1) | instskip(NEXT) | instid1(VALU_DEP_3)
	v_sub_co_ci_u32_e64 v50, null, v50, v49, vcc_lo
	v_subrev_co_ci_u32_e64 v3, null, s37, v3, vcc_lo
	s_delay_alu instid0(VALU_DEP_3) | instskip(SKIP_1) | instid1(VALU_DEP_3)
	v_sub_co_u32 v37, s1, v35, s36
	v_add_nc_u64_e32 v[48:49], 1, v[38:39]
	v_subrev_co_ci_u32_e64 v3, null, 0, v3, s1
	s_delay_alu instid0(VALU_DEP_3) | instskip(SKIP_1) | instid1(VALU_DEP_3)
	v_cmp_le_u32_e32 vcc_lo, s36, v37
	v_cndmask_b32_e64 v37, 0, -1, vcc_lo
	v_cmp_le_u32_e32 vcc_lo, s37, v3
	v_cndmask_b32_e64 v46, 0, -1, vcc_lo
	;; [unrolled: 2-line block ×4, first 2 shown]
	v_cmp_eq_u32_e32 vcc_lo, s37, v3
	v_cndmask_b32_e32 v3, v46, v37, vcc_lo
	v_cmp_eq_u32_e32 vcc_lo, s37, v50
	v_add_nc_u64_e32 v[46:47], 2, v[38:39]
	v_cndmask_b32_e32 v35, v51, v35, vcc_lo
	s_delay_alu instid0(VALU_DEP_4) | instskip(NEXT) | instid1(VALU_DEP_2)
	v_cmp_ne_u32_e32 vcc_lo, 0, v3
	v_cmp_ne_u32_e64 s1, 0, v35
	s_delay_alu instid0(VALU_DEP_4) | instskip(NEXT) | instid1(VALU_DEP_1)
	v_dual_cndmask_b32 v3, v49, v47, vcc_lo :: v_dual_cndmask_b32 v35, v48, v46, vcc_lo
	v_cndmask_b32_e64 v37, v38, v35, s1
	s_delay_alu instid0(VALU_DEP_2) | instskip(NEXT) | instid1(VALU_DEP_2)
	v_dual_mov_b32 v35, v34 :: v_dual_cndmask_b32 v3, v39, v3, s1
	v_xor_b32_e32 v38, v37, v34
	s_delay_alu instid0(VALU_DEP_2) | instskip(NEXT) | instid1(VALU_DEP_1)
	v_xor_b32_e32 v39, v3, v34
	v_sub_nc_u64_e32 v[34:35], v[38:39], v[34:35]
	s_and_not1_saveexec_b32 s1, s42
	s_cbranch_execz .LBB175_40
.LBB175_42:                             ;   in Loop: Header=BB175_33 Depth=2
	v_cvt_f32_u32_e32 v3, s8
	s_delay_alu instid0(VALU_DEP_1) | instskip(SKIP_1) | instid1(TRANS32_DEP_1)
	v_rcp_iflag_f32_e32 v3, v3
	v_nop
	v_mul_f32_e32 v3, 0x4f7ffffe, v3
	s_delay_alu instid0(VALU_DEP_1) | instskip(NEXT) | instid1(VALU_DEP_1)
	v_cvt_u32_f32_e32 v3, v3
	v_mul_lo_u32 v34, s39, v3
	s_delay_alu instid0(VALU_DEP_1) | instskip(NEXT) | instid1(VALU_DEP_1)
	v_mul_hi_u32 v34, v3, v34
	v_add_nc_u32_e32 v3, v3, v34
	s_delay_alu instid0(VALU_DEP_1) | instskip(NEXT) | instid1(VALU_DEP_1)
	v_mul_hi_u32 v3, v4, v3
	v_mul_lo_u32 v34, v3, s8
	s_delay_alu instid0(VALU_DEP_1) | instskip(NEXT) | instid1(VALU_DEP_1)
	v_dual_add_nc_u32 v35, 1, v3 :: v_dual_sub_nc_u32 v34, v4, v34
	v_subrev_nc_u32_e32 v37, s8, v34
	v_cmp_le_u32_e32 vcc_lo, s8, v34
	s_delay_alu instid0(VALU_DEP_2) | instskip(NEXT) | instid1(VALU_DEP_1)
	v_dual_cndmask_b32 v34, v34, v37 :: v_dual_cndmask_b32 v3, v3, v35
	v_cmp_le_u32_e32 vcc_lo, s8, v34
	s_delay_alu instid0(VALU_DEP_2) | instskip(NEXT) | instid1(VALU_DEP_1)
	v_add_nc_u32_e32 v35, 1, v3
	v_dual_cndmask_b32 v34, v3, v35 :: v_dual_mov_b32 v35, v2
	s_or_b32 exec_lo, exec_lo, s1
	s_delay_alu instid0(VALU_DEP_1)
	v_cmp_eq_u64_e32 vcc_lo, v[32:33], v[34:35]
	s_and_b32 exec_lo, exec_lo, vcc_lo
	s_cbranch_execz .LBB175_32
.LBB175_43:                             ;   in Loop: Header=BB175_33 Depth=2
	s_and_b32 vcc_lo, exec_lo, s38
	s_cbranch_vccz .LBB175_45
; %bb.44:                               ;   in Loop: Header=BB175_33 Depth=2
	global_load_b128 v[46:49], v[26:27], off
	v_mul_u64_e32 v[32:33], s[8:9], v[32:33]
	s_delay_alu instid0(VALU_DEP_1) | instskip(NEXT) | instid1(VALU_DEP_1)
	v_sub_nc_u64_e32 v[32:33], v[30:31], v[32:33]
	v_add_nc_u64_e32 v[32:33], v[32:33], v[22:23]
	s_delay_alu instid0(VALU_DEP_1) | instskip(NEXT) | instid1(VALU_DEP_1)
	v_mad_nc_u64_u32 v[34:35], s24, v32, v[28:29]
	v_mad_u32 v3, s25, v32, v35
	s_delay_alu instid0(VALU_DEP_1)
	v_mad_u32 v35, s24, v33, v3
	s_wait_loadcnt 0x0
	global_store_b128 v[34:35], v[46:49], off
	s_cbranch_execnz .LBB175_32
	s_branch .LBB175_46
.LBB175_45:                             ;   in Loop: Header=BB175_33 Depth=2
.LBB175_46:                             ;   in Loop: Header=BB175_33 Depth=2
	v_mov_b32_e32 v3, v36
                                        ; implicit-def: $vgpr32_vgpr33
	s_mov_b32 s1, exec_lo
	s_wait_xcnt 0x0
	s_delay_alu instid0(VALU_DEP_1)
	v_cmpx_ne_u64_e32 0, v[2:3]
	s_xor_b32 s42, exec_lo, s1
	s_cbranch_execz .LBB175_48
; %bb.47:                               ;   in Loop: Header=BB175_33 Depth=2
	s_mov_b32 s31, s30
	v_dual_mov_b32 v35, v2 :: v_dual_ashrrev_i32 v32, 31, v31
	s_add_nc_u64 s[36:37], s[8:9], s[30:31]
	v_mov_b32_e32 v49, v2
	s_xor_b64 s[36:37], s[36:37], s[30:31]
	s_delay_alu instid0(VALU_DEP_2) | instskip(SKIP_3) | instid1(VALU_DEP_1)
	v_mov_b32_e32 v33, v32
	s_cvt_f32_u32 s1, s36
	s_cvt_f32_u32 s18, s37
	s_sub_nc_u64 s[46:47], 0, s[36:37]
	v_add_nc_u64_e32 v[30:31], v[30:31], v[32:33]
	s_delay_alu instid0(SALU_CYCLE_1) | instskip(SKIP_1) | instid1(SALU_CYCLE_2)
	s_fmamk_f32 s1, s18, 0x4f800000, s1
	v_mov_b32_e32 v39, v2
	v_s_rcp_f32 s1, s1
	s_delay_alu instid0(VALU_DEP_2) | instskip(NEXT) | instid1(VALU_DEP_3)
	v_xor_b32_e32 v34, v30, v32
	v_xor_b32_e32 v38, v31, v32
	s_delay_alu instid0(TRANS32_DEP_1) | instskip(NEXT) | instid1(SALU_CYCLE_3)
	s_mul_f32 s1, s1, 0x5f7ffffc
	s_mul_f32 s18, s1, 0x2f800000
	s_delay_alu instid0(SALU_CYCLE_3) | instskip(NEXT) | instid1(SALU_CYCLE_3)
	s_trunc_f32 s18, s18
	s_fmamk_f32 s1, s18, 0xcf800000, s1
	s_cvt_u32_f32 s45, s18
	s_delay_alu instid0(SALU_CYCLE_2) | instskip(NEXT) | instid1(SALU_CYCLE_3)
	s_cvt_u32_f32 s44, s1
	s_mul_u64 s[48:49], s[46:47], s[44:45]
	s_delay_alu instid0(SALU_CYCLE_1)
	s_mul_hi_u32 s51, s44, s49
	s_mul_i32 s50, s44, s49
	s_mul_hi_u32 s18, s44, s48
	s_mul_i32 s31, s45, s48
	s_add_nc_u64 s[50:51], s[18:19], s[50:51]
	s_mul_hi_u32 s1, s45, s48
	s_mul_hi_u32 s43, s45, s49
	s_add_co_u32 s18, s50, s31
	s_add_co_ci_u32 s18, s51, s1
	s_mul_i32 s48, s45, s49
	s_add_co_ci_u32 s49, s43, 0
	s_delay_alu instid0(SALU_CYCLE_1) | instskip(NEXT) | instid1(SALU_CYCLE_1)
	s_add_nc_u64 s[48:49], s[18:19], s[48:49]
	s_add_co_u32 s44, s44, s48
	s_cselect_b32 s1, -1, 0
	s_delay_alu instid0(SALU_CYCLE_1) | instskip(SKIP_1) | instid1(SALU_CYCLE_1)
	s_cmp_lg_u32 s1, 0
	s_add_co_ci_u32 s45, s45, s49
	s_mul_u64 s[46:47], s[46:47], s[44:45]
	s_delay_alu instid0(SALU_CYCLE_1)
	s_mul_hi_u32 s49, s44, s47
	s_mul_i32 s48, s44, s47
	s_mul_hi_u32 s18, s44, s46
	s_mul_i32 s31, s45, s46
	s_add_nc_u64 s[48:49], s[18:19], s[48:49]
	s_mul_hi_u32 s1, s45, s46
	s_mul_hi_u32 s43, s45, s47
	s_add_co_u32 s18, s48, s31
	s_add_co_ci_u32 s18, s49, s1
	s_mul_i32 s46, s45, s47
	s_add_co_ci_u32 s47, s43, 0
	s_delay_alu instid0(SALU_CYCLE_1) | instskip(NEXT) | instid1(SALU_CYCLE_1)
	s_add_nc_u64 s[46:47], s[18:19], s[46:47]
	s_add_co_u32 s44, s44, s46
	s_cselect_b32 s1, -1, 0
	v_mul_hi_u32 v48, v34, s44
	s_cmp_lg_u32 s1, 0
	s_add_co_ci_u32 s18, s45, s47
	s_and_b64 s[46:47], s[44:45], s[26:27]
	v_mul_u64_e32 v[36:37], s[18:19], v[34:35]
	v_mul_u64_e32 v[30:31], s[46:47], v[38:39]
	;; [unrolled: 1-line block ×3, first 2 shown]
	s_delay_alu instid0(VALU_DEP_3) | instskip(NEXT) | instid1(VALU_DEP_1)
	v_add_nc_u64_e32 v[36:37], v[48:49], v[36:37]
	v_add_co_u32 v3, vcc_lo, v36, v30
	s_delay_alu instid0(VALU_DEP_2) | instskip(NEXT) | instid1(VALU_DEP_4)
	v_add_co_ci_u32_e32 v48, vcc_lo, v37, v31, vcc_lo
	v_add_co_ci_u32_e32 v47, vcc_lo, 0, v47, vcc_lo
	s_delay_alu instid0(VALU_DEP_1) | instskip(NEXT) | instid1(VALU_DEP_1)
	v_add_nc_u64_e32 v[30:31], v[48:49], v[46:47]
	v_mul_u64_e32 v[30:31], s[36:37], v[30:31]
	s_delay_alu instid0(VALU_DEP_1) | instskip(NEXT) | instid1(VALU_DEP_2)
	v_sub_nc_u32_e32 v3, v38, v31
	v_sub_co_u32 v30, vcc_lo, v34, v30
	s_delay_alu instid0(VALU_DEP_1) | instskip(NEXT) | instid1(VALU_DEP_3)
	v_sub_co_ci_u32_e64 v31, null, v38, v31, vcc_lo
	v_subrev_co_ci_u32_e64 v3, null, s37, v3, vcc_lo
	s_delay_alu instid0(VALU_DEP_3) | instskip(SKIP_1) | instid1(VALU_DEP_3)
	v_sub_co_u32 v34, vcc_lo, v30, s36
	v_cmp_le_u32_e64 s1, s36, v30
	v_subrev_co_ci_u32_e64 v35, null, 0, v3, vcc_lo
	v_subrev_co_ci_u32_e64 v3, null, s37, v3, vcc_lo
	s_delay_alu instid0(VALU_DEP_3) | instskip(SKIP_2) | instid1(VALU_DEP_2)
	v_cndmask_b32_e64 v36, 0, -1, s1
	v_cmp_le_u32_e64 s1, s36, v34
	v_cmp_le_u32_e32 vcc_lo, s37, v31
	v_cndmask_b32_e64 v37, 0, -1, s1
	v_cmp_le_u32_e64 s1, s37, v35
	v_cndmask_b32_e64 v39, 0, -1, vcc_lo
	v_cmp_eq_u32_e32 vcc_lo, s37, v35
	s_delay_alu instid0(VALU_DEP_3) | instskip(SKIP_1) | instid1(VALU_DEP_2)
	v_cndmask_b32_e64 v38, 0, -1, s1
	v_cmp_eq_u32_e64 s1, s37, v31
	v_cndmask_b32_e32 v37, v38, v37, vcc_lo
	v_sub_co_u32 v38, vcc_lo, v34, s36
	s_delay_alu instid0(VALU_DEP_1) | instskip(NEXT) | instid1(VALU_DEP_3)
	v_subrev_co_ci_u32_e64 v3, null, 0, v3, vcc_lo
	v_cmp_ne_u32_e32 vcc_lo, 0, v37
	v_cndmask_b32_e64 v36, v39, v36, s1
	s_delay_alu instid0(VALU_DEP_3) | instskip(NEXT) | instid1(VALU_DEP_2)
	v_dual_cndmask_b32 v3, v35, v3 :: v_dual_cndmask_b32 v34, v34, v38
	v_cmp_ne_u32_e32 vcc_lo, 0, v36
	s_delay_alu instid0(VALU_DEP_2) | instskip(NEXT) | instid1(VALU_DEP_1)
	v_dual_cndmask_b32 v3, v31, v3 :: v_dual_cndmask_b32 v30, v30, v34
	v_xor_b32_e32 v31, v3, v32
	s_delay_alu instid0(VALU_DEP_2) | instskip(NEXT) | instid1(VALU_DEP_1)
	v_xor_b32_e32 v30, v30, v32
	v_sub_nc_u64_e32 v[32:33], v[30:31], v[32:33]
                                        ; implicit-def: $vgpr30_vgpr31
.LBB175_48:                             ;   in Loop: Header=BB175_33 Depth=2
	s_and_not1_saveexec_b32 s1, s42
	s_cbranch_execz .LBB175_31
; %bb.49:                               ;   in Loop: Header=BB175_33 Depth=2
	v_cvt_f32_u32_e32 v3, s8
	v_mov_b32_e32 v33, v2
	s_delay_alu instid0(VALU_DEP_2) | instskip(SKIP_1) | instid1(TRANS32_DEP_1)
	v_rcp_iflag_f32_e32 v3, v3
	v_nop
	v_mul_f32_e32 v3, 0x4f7ffffe, v3
	s_delay_alu instid0(VALU_DEP_1) | instskip(NEXT) | instid1(VALU_DEP_1)
	v_cvt_u32_f32_e32 v3, v3
	v_mul_lo_u32 v31, s39, v3
	s_delay_alu instid0(VALU_DEP_1) | instskip(NEXT) | instid1(VALU_DEP_1)
	v_mul_hi_u32 v31, v3, v31
	v_add_nc_u32_e32 v3, v3, v31
	s_delay_alu instid0(VALU_DEP_1) | instskip(NEXT) | instid1(VALU_DEP_1)
	v_mul_hi_u32 v3, v30, v3
	v_mul_lo_u32 v3, v3, s8
	s_delay_alu instid0(VALU_DEP_1) | instskip(NEXT) | instid1(VALU_DEP_1)
	v_sub_nc_u32_e32 v3, v30, v3
	v_subrev_nc_u32_e32 v30, s8, v3
	v_cmp_le_u32_e32 vcc_lo, s8, v3
	s_delay_alu instid0(VALU_DEP_2) | instskip(NEXT) | instid1(VALU_DEP_1)
	v_cndmask_b32_e32 v3, v3, v30, vcc_lo
	v_subrev_nc_u32_e32 v30, s8, v3
	v_cmp_le_u32_e32 vcc_lo, s8, v3
	s_delay_alu instid0(VALU_DEP_2)
	v_cndmask_b32_e32 v32, v3, v30, vcc_lo
	s_branch .LBB175_31
.LBB175_50:                             ;   in Loop: Header=BB175_10 Depth=1
	s_mov_b32 s31, s30
	v_dual_mov_b32 v25, v2 :: v_dual_ashrrev_i32 v20, 31, v5
	s_add_nc_u64 s[34:35], s[8:9], s[30:31]
	s_delay_alu instid0(SALU_CYCLE_1) | instskip(NEXT) | instid1(VALU_DEP_1)
	s_xor_b64 s[34:35], s[34:35], s[30:31]
	v_mov_b32_e32 v21, v20
	s_cvt_f32_u32 s1, s34
	s_cvt_f32_u32 s18, s35
	s_sub_nc_u64 s[44:45], 0, s[34:35]
	s_delay_alu instid0(VALU_DEP_1) | instskip(NEXT) | instid1(SALU_CYCLE_1)
	v_add_nc_u64_e32 v[22:23], v[4:5], v[20:21]
	s_fmamk_f32 s1, s18, 0x4f800000, s1
	v_mov_b32_e32 v29, v2
	s_delay_alu instid0(SALU_CYCLE_2) | instskip(NEXT) | instid1(VALU_DEP_2)
	v_s_rcp_f32 s1, s1
	v_xor_b32_e32 v24, v22, v20
	s_delay_alu instid0(VALU_DEP_3) | instskip(SKIP_1) | instid1(TRANS32_DEP_1)
	v_dual_mov_b32 v33, v2 :: v_dual_bitop2_b32 v28, v23, v20 bitop3:0x14
	v_xor_b32_e32 v20, s30, v20
	s_mul_f32 s1, s1, 0x5f7ffffc
	s_delay_alu instid0(SALU_CYCLE_3) | instskip(NEXT) | instid1(SALU_CYCLE_3)
	s_mul_f32 s18, s1, 0x2f800000
	s_trunc_f32 s18, s18
	s_delay_alu instid0(SALU_CYCLE_3) | instskip(SKIP_1) | instid1(SALU_CYCLE_2)
	s_fmamk_f32 s1, s18, 0xcf800000, s1
	s_cvt_u32_f32 s43, s18
	s_cvt_u32_f32 s42, s1
	s_delay_alu instid0(SALU_CYCLE_3) | instskip(NEXT) | instid1(SALU_CYCLE_1)
	s_mul_u64 s[46:47], s[44:45], s[42:43]
	s_mul_hi_u32 s49, s42, s47
	s_mul_i32 s48, s42, s47
	s_mul_hi_u32 s18, s42, s46
	s_mul_i32 s31, s43, s46
	s_add_nc_u64 s[48:49], s[18:19], s[48:49]
	s_mul_hi_u32 s1, s43, s46
	s_mul_hi_u32 s41, s43, s47
	s_add_co_u32 s18, s48, s31
	s_add_co_ci_u32 s18, s49, s1
	s_mul_i32 s46, s43, s47
	s_add_co_ci_u32 s47, s41, 0
	s_delay_alu instid0(SALU_CYCLE_1) | instskip(NEXT) | instid1(SALU_CYCLE_1)
	s_add_nc_u64 s[46:47], s[18:19], s[46:47]
	s_add_co_u32 s42, s42, s46
	s_cselect_b32 s1, -1, 0
	s_delay_alu instid0(SALU_CYCLE_1) | instskip(SKIP_1) | instid1(SALU_CYCLE_1)
	s_cmp_lg_u32 s1, 0
	s_add_co_ci_u32 s43, s43, s47
	s_mul_u64 s[44:45], s[44:45], s[42:43]
	s_delay_alu instid0(SALU_CYCLE_1)
	s_mul_hi_u32 s47, s42, s45
	s_mul_i32 s46, s42, s45
	s_mul_hi_u32 s18, s42, s44
	s_mul_i32 s31, s43, s44
	s_add_nc_u64 s[46:47], s[18:19], s[46:47]
	s_mul_hi_u32 s1, s43, s44
	s_mul_hi_u32 s41, s43, s45
	s_add_co_u32 s18, s46, s31
	s_add_co_ci_u32 s18, s47, s1
	s_mul_i32 s44, s43, s45
	s_add_co_ci_u32 s45, s41, 0
	s_delay_alu instid0(SALU_CYCLE_1) | instskip(NEXT) | instid1(SALU_CYCLE_1)
	s_add_nc_u64 s[44:45], s[18:19], s[44:45]
	s_add_co_u32 s42, s42, s44
	s_cselect_b32 s1, -1, 0
	v_mul_hi_u32 v32, v24, s42
	s_cmp_lg_u32 s1, 0
	s_add_co_ci_u32 s18, s43, s45
	s_and_b64 s[44:45], s[42:43], s[26:27]
	v_mul_u64_e32 v[26:27], s[18:19], v[24:25]
	v_mul_u64_e32 v[22:23], s[44:45], v[28:29]
	;; [unrolled: 1-line block ×3, first 2 shown]
	s_delay_alu instid0(VALU_DEP_3) | instskip(NEXT) | instid1(VALU_DEP_1)
	v_add_nc_u64_e32 v[26:27], v[32:33], v[26:27]
	v_add_co_u32 v3, vcc_lo, v26, v22
	s_delay_alu instid0(VALU_DEP_2) | instskip(NEXT) | instid1(VALU_DEP_4)
	v_add_co_ci_u32_e32 v32, vcc_lo, v27, v23, vcc_lo
	v_add_co_ci_u32_e32 v31, vcc_lo, 0, v31, vcc_lo
	s_delay_alu instid0(VALU_DEP_1) | instskip(NEXT) | instid1(VALU_DEP_1)
	v_add_nc_u64_e32 v[22:23], v[32:33], v[30:31]
	v_mul_u64_e32 v[26:27], s[34:35], v[22:23]
	s_delay_alu instid0(VALU_DEP_1) | instskip(NEXT) | instid1(VALU_DEP_2)
	v_sub_nc_u32_e32 v3, v28, v27
	v_sub_co_u32 v21, vcc_lo, v24, v26
	s_delay_alu instid0(VALU_DEP_1) | instskip(NEXT) | instid1(VALU_DEP_3)
	v_sub_co_ci_u32_e64 v28, null, v28, v27, vcc_lo
	v_subrev_co_ci_u32_e64 v3, null, s35, v3, vcc_lo
	s_delay_alu instid0(VALU_DEP_3) | instskip(SKIP_1) | instid1(VALU_DEP_3)
	v_sub_co_u32 v24, s1, v21, s34
	v_add_nc_u64_e32 v[26:27], 1, v[22:23]
	v_subrev_co_ci_u32_e64 v3, null, 0, v3, s1
	s_delay_alu instid0(VALU_DEP_3) | instskip(SKIP_1) | instid1(VALU_DEP_3)
	v_cmp_le_u32_e32 vcc_lo, s34, v24
	v_cndmask_b32_e64 v24, 0, -1, vcc_lo
	v_cmp_le_u32_e32 vcc_lo, s35, v3
	v_cndmask_b32_e64 v25, 0, -1, vcc_lo
	;; [unrolled: 2-line block ×4, first 2 shown]
	v_cmp_eq_u32_e32 vcc_lo, s35, v3
	v_cndmask_b32_e32 v3, v25, v24, vcc_lo
	v_cmp_eq_u32_e32 vcc_lo, s35, v28
	v_add_nc_u64_e32 v[24:25], 2, v[22:23]
	v_cndmask_b32_e32 v21, v29, v21, vcc_lo
	s_delay_alu instid0(VALU_DEP_4) | instskip(NEXT) | instid1(VALU_DEP_2)
	v_cmp_ne_u32_e32 vcc_lo, 0, v3
	v_cmp_ne_u32_e64 s1, 0, v21
	s_delay_alu instid0(VALU_DEP_4) | instskip(NEXT) | instid1(VALU_DEP_1)
	v_dual_cndmask_b32 v3, v27, v25, vcc_lo :: v_dual_cndmask_b32 v21, v26, v24, vcc_lo
	v_dual_cndmask_b32 v22, v22, v21, s1 :: v_dual_mov_b32 v21, v20
	s_delay_alu instid0(VALU_DEP_1) | instskip(NEXT) | instid1(VALU_DEP_1)
	v_dual_cndmask_b32 v3, v23, v3, s1 :: v_dual_bitop2_b32 v22, v22, v20 bitop3:0x14
	v_xor_b32_e32 v23, v3, v20
	s_delay_alu instid0(VALU_DEP_1)
	v_sub_nc_u64_e32 v[20:21], v[22:23], v[20:21]
	s_and_not1_saveexec_b32 s1, s37
	s_cbranch_execz .LBB175_26
.LBB175_51:                             ;   in Loop: Header=BB175_10 Depth=1
	v_cvt_f32_u32_e32 v3, s8
	s_delay_alu instid0(VALU_DEP_1) | instskip(SKIP_1) | instid1(TRANS32_DEP_1)
	v_rcp_iflag_f32_e32 v3, v3
	v_nop
	v_mul_f32_e32 v3, 0x4f7ffffe, v3
	s_delay_alu instid0(VALU_DEP_1) | instskip(NEXT) | instid1(VALU_DEP_1)
	v_cvt_u32_f32_e32 v3, v3
	v_mul_lo_u32 v20, s39, v3
	s_delay_alu instid0(VALU_DEP_1) | instskip(NEXT) | instid1(VALU_DEP_1)
	v_mul_hi_u32 v20, v3, v20
	v_add_nc_u32_e32 v3, v3, v20
	s_delay_alu instid0(VALU_DEP_1) | instskip(NEXT) | instid1(VALU_DEP_1)
	v_mul_hi_u32 v3, v4, v3
	v_mul_lo_u32 v20, v3, s8
	s_delay_alu instid0(VALU_DEP_1) | instskip(NEXT) | instid1(VALU_DEP_1)
	v_dual_add_nc_u32 v21, 1, v3 :: v_dual_sub_nc_u32 v20, v4, v20
	v_subrev_nc_u32_e32 v22, s8, v20
	v_cmp_le_u32_e32 vcc_lo, s8, v20
	s_delay_alu instid0(VALU_DEP_2) | instskip(NEXT) | instid1(VALU_DEP_1)
	v_dual_cndmask_b32 v20, v20, v22 :: v_dual_cndmask_b32 v3, v3, v21
	v_cmp_le_u32_e32 vcc_lo, s8, v20
	s_delay_alu instid0(VALU_DEP_2) | instskip(NEXT) | instid1(VALU_DEP_1)
	v_add_nc_u32_e32 v21, 1, v3
	v_dual_cndmask_b32 v20, v3, v21 :: v_dual_mov_b32 v21, v2
	s_or_b32 exec_lo, exec_lo, s1
	s_delay_alu instid0(SALU_CYCLE_1) | instskip(NEXT) | instid1(VALU_DEP_1)
	s_mov_b32 s1, exec_lo
	v_cmpx_ge_i64_e64 v[20:21], v[18:19]
	s_cbranch_execnz .LBB175_27
	s_branch .LBB175_28
.LBB175_52:
	s_endpgm
	.section	.rodata,"a",@progbits
	.p2align	6, 0x0
	.amdhsa_kernel _ZN9rocsparseL21csr2bsr_65_inf_kernelILj32E21rocsparse_complex_numIdEllEEv20rocsparse_direction_T2_S4_S4_S4_S4_S4_21rocsparse_index_base_PKT0_PKT1_PKS4_S5_PS6_PS9_PS4_SF_SG_SE_
		.amdhsa_group_segment_fixed_size 0
		.amdhsa_private_segment_fixed_size 0
		.amdhsa_kernarg_size 144
		.amdhsa_user_sgpr_count 2
		.amdhsa_user_sgpr_dispatch_ptr 0
		.amdhsa_user_sgpr_queue_ptr 0
		.amdhsa_user_sgpr_kernarg_segment_ptr 1
		.amdhsa_user_sgpr_dispatch_id 0
		.amdhsa_user_sgpr_kernarg_preload_length 0
		.amdhsa_user_sgpr_kernarg_preload_offset 0
		.amdhsa_user_sgpr_private_segment_size 0
		.amdhsa_wavefront_size32 1
		.amdhsa_uses_dynamic_stack 0
		.amdhsa_enable_private_segment 0
		.amdhsa_system_sgpr_workgroup_id_x 1
		.amdhsa_system_sgpr_workgroup_id_y 0
		.amdhsa_system_sgpr_workgroup_id_z 0
		.amdhsa_system_sgpr_workgroup_info 0
		.amdhsa_system_vgpr_workitem_id 0
		.amdhsa_next_free_vgpr 56
		.amdhsa_next_free_sgpr 52
		.amdhsa_named_barrier_count 0
		.amdhsa_reserve_vcc 1
		.amdhsa_float_round_mode_32 0
		.amdhsa_float_round_mode_16_64 0
		.amdhsa_float_denorm_mode_32 3
		.amdhsa_float_denorm_mode_16_64 3
		.amdhsa_fp16_overflow 0
		.amdhsa_memory_ordered 1
		.amdhsa_forward_progress 1
		.amdhsa_inst_pref_size 39
		.amdhsa_round_robin_scheduling 0
		.amdhsa_exception_fp_ieee_invalid_op 0
		.amdhsa_exception_fp_denorm_src 0
		.amdhsa_exception_fp_ieee_div_zero 0
		.amdhsa_exception_fp_ieee_overflow 0
		.amdhsa_exception_fp_ieee_underflow 0
		.amdhsa_exception_fp_ieee_inexact 0
		.amdhsa_exception_int_div_zero 0
	.end_amdhsa_kernel
	.section	.text._ZN9rocsparseL21csr2bsr_65_inf_kernelILj32E21rocsparse_complex_numIdEllEEv20rocsparse_direction_T2_S4_S4_S4_S4_S4_21rocsparse_index_base_PKT0_PKT1_PKS4_S5_PS6_PS9_PS4_SF_SG_SE_,"axG",@progbits,_ZN9rocsparseL21csr2bsr_65_inf_kernelILj32E21rocsparse_complex_numIdEllEEv20rocsparse_direction_T2_S4_S4_S4_S4_S4_21rocsparse_index_base_PKT0_PKT1_PKS4_S5_PS6_PS9_PS4_SF_SG_SE_,comdat
.Lfunc_end175:
	.size	_ZN9rocsparseL21csr2bsr_65_inf_kernelILj32E21rocsparse_complex_numIdEllEEv20rocsparse_direction_T2_S4_S4_S4_S4_S4_21rocsparse_index_base_PKT0_PKT1_PKS4_S5_PS6_PS9_PS4_SF_SG_SE_, .Lfunc_end175-_ZN9rocsparseL21csr2bsr_65_inf_kernelILj32E21rocsparse_complex_numIdEllEEv20rocsparse_direction_T2_S4_S4_S4_S4_S4_21rocsparse_index_base_PKT0_PKT1_PKS4_S5_PS6_PS9_PS4_SF_SG_SE_
                                        ; -- End function
	.set _ZN9rocsparseL21csr2bsr_65_inf_kernelILj32E21rocsparse_complex_numIdEllEEv20rocsparse_direction_T2_S4_S4_S4_S4_S4_21rocsparse_index_base_PKT0_PKT1_PKS4_S5_PS6_PS9_PS4_SF_SG_SE_.num_vgpr, 56
	.set _ZN9rocsparseL21csr2bsr_65_inf_kernelILj32E21rocsparse_complex_numIdEllEEv20rocsparse_direction_T2_S4_S4_S4_S4_S4_21rocsparse_index_base_PKT0_PKT1_PKS4_S5_PS6_PS9_PS4_SF_SG_SE_.num_agpr, 0
	.set _ZN9rocsparseL21csr2bsr_65_inf_kernelILj32E21rocsparse_complex_numIdEllEEv20rocsparse_direction_T2_S4_S4_S4_S4_S4_21rocsparse_index_base_PKT0_PKT1_PKS4_S5_PS6_PS9_PS4_SF_SG_SE_.numbered_sgpr, 52
	.set _ZN9rocsparseL21csr2bsr_65_inf_kernelILj32E21rocsparse_complex_numIdEllEEv20rocsparse_direction_T2_S4_S4_S4_S4_S4_21rocsparse_index_base_PKT0_PKT1_PKS4_S5_PS6_PS9_PS4_SF_SG_SE_.num_named_barrier, 0
	.set _ZN9rocsparseL21csr2bsr_65_inf_kernelILj32E21rocsparse_complex_numIdEllEEv20rocsparse_direction_T2_S4_S4_S4_S4_S4_21rocsparse_index_base_PKT0_PKT1_PKS4_S5_PS6_PS9_PS4_SF_SG_SE_.private_seg_size, 0
	.set _ZN9rocsparseL21csr2bsr_65_inf_kernelILj32E21rocsparse_complex_numIdEllEEv20rocsparse_direction_T2_S4_S4_S4_S4_S4_21rocsparse_index_base_PKT0_PKT1_PKS4_S5_PS6_PS9_PS4_SF_SG_SE_.uses_vcc, 1
	.set _ZN9rocsparseL21csr2bsr_65_inf_kernelILj32E21rocsparse_complex_numIdEllEEv20rocsparse_direction_T2_S4_S4_S4_S4_S4_21rocsparse_index_base_PKT0_PKT1_PKS4_S5_PS6_PS9_PS4_SF_SG_SE_.uses_flat_scratch, 0
	.set _ZN9rocsparseL21csr2bsr_65_inf_kernelILj32E21rocsparse_complex_numIdEllEEv20rocsparse_direction_T2_S4_S4_S4_S4_S4_21rocsparse_index_base_PKT0_PKT1_PKS4_S5_PS6_PS9_PS4_SF_SG_SE_.has_dyn_sized_stack, 0
	.set _ZN9rocsparseL21csr2bsr_65_inf_kernelILj32E21rocsparse_complex_numIdEllEEv20rocsparse_direction_T2_S4_S4_S4_S4_S4_21rocsparse_index_base_PKT0_PKT1_PKS4_S5_PS6_PS9_PS4_SF_SG_SE_.has_recursion, 0
	.set _ZN9rocsparseL21csr2bsr_65_inf_kernelILj32E21rocsparse_complex_numIdEllEEv20rocsparse_direction_T2_S4_S4_S4_S4_S4_21rocsparse_index_base_PKT0_PKT1_PKS4_S5_PS6_PS9_PS4_SF_SG_SE_.has_indirect_call, 0
	.section	.AMDGPU.csdata,"",@progbits
; Kernel info:
; codeLenInByte = 4888
; TotalNumSgprs: 54
; NumVgprs: 56
; ScratchSize: 0
; MemoryBound: 0
; FloatMode: 240
; IeeeMode: 1
; LDSByteSize: 0 bytes/workgroup (compile time only)
; SGPRBlocks: 0
; VGPRBlocks: 3
; NumSGPRsForWavesPerEU: 54
; NumVGPRsForWavesPerEU: 56
; NamedBarCnt: 0
; Occupancy: 16
; WaveLimiterHint : 1
; COMPUTE_PGM_RSRC2:SCRATCH_EN: 0
; COMPUTE_PGM_RSRC2:USER_SGPR: 2
; COMPUTE_PGM_RSRC2:TRAP_HANDLER: 0
; COMPUTE_PGM_RSRC2:TGID_X_EN: 1
; COMPUTE_PGM_RSRC2:TGID_Y_EN: 0
; COMPUTE_PGM_RSRC2:TGID_Z_EN: 0
; COMPUTE_PGM_RSRC2:TIDIG_COMP_CNT: 0
	.section	.AMDGPU.gpr_maximums,"",@progbits
	.set amdgpu.max_num_vgpr, 0
	.set amdgpu.max_num_agpr, 0
	.set amdgpu.max_num_sgpr, 0
	.section	.AMDGPU.csdata,"",@progbits
	.type	__hip_cuid_4ca1b884065c5caa,@object ; @__hip_cuid_4ca1b884065c5caa
	.section	.bss,"aw",@nobits
	.globl	__hip_cuid_4ca1b884065c5caa
__hip_cuid_4ca1b884065c5caa:
	.byte	0                               ; 0x0
	.size	__hip_cuid_4ca1b884065c5caa, 1

	.ident	"AMD clang version 22.0.0git (https://github.com/RadeonOpenCompute/llvm-project roc-7.2.4 26084 f58b06dce1f9c15707c5f808fd002e18c2accf7e)"
	.section	".note.GNU-stack","",@progbits
	.addrsig
	.addrsig_sym __hip_cuid_4ca1b884065c5caa
	.amdgpu_metadata
---
amdhsa.kernels:
  - .args:
      - .offset:         0
        .size:           4
        .value_kind:     by_value
      - .offset:         4
        .size:           4
        .value_kind:     by_value
      - .offset:         8
        .size:           4
        .value_kind:     by_value
      - .offset:         12
        .size:           4
        .value_kind:     by_value
      - .offset:         16
        .size:           4
        .value_kind:     by_value
      - .address_space:  global
        .offset:         24
        .size:           8
        .value_kind:     global_buffer
      - .address_space:  global
        .offset:         32
        .size:           8
        .value_kind:     global_buffer
      - .address_space:  global
        .offset:         40
        .size:           8
        .value_kind:     global_buffer
      - .offset:         48
        .size:           4
        .value_kind:     by_value
      - .address_space:  global
        .offset:         56
        .size:           8
        .value_kind:     global_buffer
      - .address_space:  global
        .offset:         64
        .size:           8
        .value_kind:     global_buffer
      - .address_space:  global
        .offset:         72
        .size:           8
        .value_kind:     global_buffer
      - .offset:         80
        .size:           4
        .value_kind:     hidden_block_count_x
      - .offset:         84
        .size:           4
        .value_kind:     hidden_block_count_y
      - .offset:         88
        .size:           4
        .value_kind:     hidden_block_count_z
      - .offset:         92
        .size:           2
        .value_kind:     hidden_group_size_x
      - .offset:         94
        .size:           2
        .value_kind:     hidden_group_size_y
      - .offset:         96
        .size:           2
        .value_kind:     hidden_group_size_z
      - .offset:         98
        .size:           2
        .value_kind:     hidden_remainder_x
      - .offset:         100
        .size:           2
        .value_kind:     hidden_remainder_y
      - .offset:         102
        .size:           2
        .value_kind:     hidden_remainder_z
      - .offset:         120
        .size:           8
        .value_kind:     hidden_global_offset_x
      - .offset:         128
        .size:           8
        .value_kind:     hidden_global_offset_y
      - .offset:         136
        .size:           8
        .value_kind:     hidden_global_offset_z
      - .offset:         144
        .size:           2
        .value_kind:     hidden_grid_dims
    .group_segment_fixed_size: 0
    .kernarg_segment_align: 8
    .kernarg_segment_size: 336
    .language:       OpenCL C
    .language_version:
      - 2
      - 0
    .max_flat_workgroup_size: 256
    .name:           _ZN9rocsparseL35csr2bsr_block_dim_equals_one_kernelILj256EiiiEEvT2_S1_S1_S1_21rocsparse_index_base_PKT0_PKT1_PKS1_S2_PS3_PS6_PS1_
    .private_segment_fixed_size: 0
    .sgpr_count:     17
    .sgpr_spill_count: 0
    .symbol:         _ZN9rocsparseL35csr2bsr_block_dim_equals_one_kernelILj256EiiiEEvT2_S1_S1_S1_21rocsparse_index_base_PKT0_PKT1_PKS1_S2_PS3_PS6_PS1_.kd
    .uniform_work_group_size: 1
    .uses_dynamic_stack: false
    .vgpr_count:     2
    .vgpr_spill_count: 0
    .wavefront_size: 32
  - .args:
      - .offset:         0
        .size:           4
        .value_kind:     by_value
      - .offset:         4
        .size:           4
        .value_kind:     by_value
      - .offset:         8
        .size:           4
        .value_kind:     by_value
      - .offset:         12
        .size:           4
        .value_kind:     by_value
      - .offset:         16
        .size:           4
        .value_kind:     by_value
      - .offset:         20
        .size:           4
        .value_kind:     by_value
      - .offset:         24
        .size:           4
        .value_kind:     by_value
      - .actual_access:  read_only
        .address_space:  global
        .offset:         32
        .size:           8
        .value_kind:     global_buffer
      - .actual_access:  read_only
        .address_space:  global
        .offset:         40
        .size:           8
        .value_kind:     global_buffer
      - .actual_access:  read_only
        .address_space:  global
        .offset:         48
        .size:           8
        .value_kind:     global_buffer
      - .offset:         56
        .size:           4
        .value_kind:     by_value
      - .actual_access:  write_only
        .address_space:  global
        .offset:         64
        .size:           8
        .value_kind:     global_buffer
      - .actual_access:  read_only
        .address_space:  global
        .offset:         72
        .size:           8
        .value_kind:     global_buffer
      - .actual_access:  write_only
        .address_space:  global
        .offset:         80
        .size:           8
        .value_kind:     global_buffer
    .group_segment_fixed_size: 1040
    .kernarg_segment_align: 8
    .kernarg_segment_size: 88
    .language:       OpenCL C
    .language_version:
      - 2
      - 0
    .max_flat_workgroup_size: 256
    .name:           _ZN9rocsparseL42csr2bsr_wavefront_per_row_multipass_kernelILj256ELj16ELj4EiiiEEv20rocsparse_direction_T4_S2_S2_S2_S2_21rocsparse_index_base_PKT2_PKT3_PKS2_S3_PS4_PS7_PS2_
    .private_segment_fixed_size: 0
    .sgpr_count:     25
    .sgpr_spill_count: 0
    .symbol:         _ZN9rocsparseL42csr2bsr_wavefront_per_row_multipass_kernelILj256ELj16ELj4EiiiEEv20rocsparse_direction_T4_S2_S2_S2_S2_21rocsparse_index_base_PKT2_PKT3_PKS2_S3_PS4_PS7_PS2_.kd
    .uniform_work_group_size: 1
    .uses_dynamic_stack: false
    .vgpr_count:     28
    .vgpr_spill_count: 0
    .wavefront_size: 32
  - .args:
      - .offset:         0
        .size:           4
        .value_kind:     by_value
      - .offset:         4
        .size:           4
        .value_kind:     by_value
      - .offset:         8
        .size:           4
        .value_kind:     by_value
      - .offset:         12
        .size:           4
        .value_kind:     by_value
      - .offset:         16
        .size:           4
        .value_kind:     by_value
      - .offset:         20
        .size:           4
        .value_kind:     by_value
      - .offset:         24
        .size:           4
        .value_kind:     by_value
      - .actual_access:  read_only
        .address_space:  global
        .offset:         32
        .size:           8
        .value_kind:     global_buffer
      - .actual_access:  read_only
        .address_space:  global
        .offset:         40
        .size:           8
        .value_kind:     global_buffer
      - .actual_access:  read_only
        .address_space:  global
        .offset:         48
        .size:           8
        .value_kind:     global_buffer
      - .offset:         56
        .size:           4
        .value_kind:     by_value
      - .actual_access:  write_only
        .address_space:  global
        .offset:         64
        .size:           8
        .value_kind:     global_buffer
      - .actual_access:  read_only
        .address_space:  global
        .offset:         72
        .size:           8
        .value_kind:     global_buffer
      - .actual_access:  write_only
        .address_space:  global
        .offset:         80
        .size:           8
        .value_kind:     global_buffer
    .group_segment_fixed_size: 1028
    .kernarg_segment_align: 8
    .kernarg_segment_size: 88
    .language:       OpenCL C
    .language_version:
      - 2
      - 0
    .max_flat_workgroup_size: 256
    .name:           _ZN9rocsparseL42csr2bsr_wavefront_per_row_multipass_kernelILj256ELj64ELj8EiiiEEv20rocsparse_direction_T4_S2_S2_S2_S2_21rocsparse_index_base_PKT2_PKT3_PKS2_S3_PS4_PS7_PS2_
    .private_segment_fixed_size: 0
    .sgpr_count:     25
    .sgpr_spill_count: 0
    .symbol:         _ZN9rocsparseL42csr2bsr_wavefront_per_row_multipass_kernelILj256ELj64ELj8EiiiEEv20rocsparse_direction_T4_S2_S2_S2_S2_21rocsparse_index_base_PKT2_PKT3_PKS2_S3_PS4_PS7_PS2_.kd
    .uniform_work_group_size: 1
    .uses_dynamic_stack: false
    .vgpr_count:     30
    .vgpr_spill_count: 0
    .wavefront_size: 32
  - .args:
      - .offset:         0
        .size:           4
        .value_kind:     by_value
      - .offset:         4
        .size:           4
        .value_kind:     by_value
      - .offset:         8
        .size:           4
        .value_kind:     by_value
      - .offset:         12
        .size:           4
        .value_kind:     by_value
      - .offset:         16
        .size:           4
        .value_kind:     by_value
      - .offset:         20
        .size:           4
        .value_kind:     by_value
      - .offset:         24
        .size:           4
        .value_kind:     by_value
      - .actual_access:  read_only
        .address_space:  global
        .offset:         32
        .size:           8
        .value_kind:     global_buffer
      - .actual_access:  read_only
        .address_space:  global
        .offset:         40
        .size:           8
        .value_kind:     global_buffer
      - .actual_access:  read_only
        .address_space:  global
        .offset:         48
        .size:           8
        .value_kind:     global_buffer
      - .offset:         56
        .size:           4
        .value_kind:     by_value
      - .actual_access:  write_only
        .address_space:  global
        .offset:         64
        .size:           8
        .value_kind:     global_buffer
      - .actual_access:  read_only
        .address_space:  global
        .offset:         72
        .size:           8
        .value_kind:     global_buffer
      - .actual_access:  write_only
        .address_space:  global
        .offset:         80
        .size:           8
        .value_kind:     global_buffer
    .group_segment_fixed_size: 2056
    .kernarg_segment_align: 8
    .kernarg_segment_size: 88
    .language:       OpenCL C
    .language_version:
      - 2
      - 0
    .max_flat_workgroup_size: 256
    .name:           _ZN9rocsparseL42csr2bsr_wavefront_per_row_multipass_kernelILj256ELj32ELj8EiiiEEv20rocsparse_direction_T4_S2_S2_S2_S2_21rocsparse_index_base_PKT2_PKT3_PKS2_S3_PS4_PS7_PS2_
    .private_segment_fixed_size: 0
    .sgpr_count:     26
    .sgpr_spill_count: 0
    .symbol:         _ZN9rocsparseL42csr2bsr_wavefront_per_row_multipass_kernelILj256ELj32ELj8EiiiEEv20rocsparse_direction_T4_S2_S2_S2_S2_21rocsparse_index_base_PKT2_PKT3_PKS2_S3_PS4_PS7_PS2_.kd
    .uniform_work_group_size: 1
    .uses_dynamic_stack: false
    .vgpr_count:     34
    .vgpr_spill_count: 0
    .wavefront_size: 32
  - .args:
      - .offset:         0
        .size:           4
        .value_kind:     by_value
      - .offset:         4
        .size:           4
        .value_kind:     by_value
      - .offset:         8
        .size:           4
        .value_kind:     by_value
      - .offset:         12
        .size:           4
        .value_kind:     by_value
      - .offset:         16
        .size:           4
        .value_kind:     by_value
      - .offset:         20
        .size:           4
        .value_kind:     by_value
      - .offset:         24
        .size:           4
        .value_kind:     by_value
      - .actual_access:  read_only
        .address_space:  global
        .offset:         32
        .size:           8
        .value_kind:     global_buffer
      - .actual_access:  read_only
        .address_space:  global
        .offset:         40
        .size:           8
        .value_kind:     global_buffer
      - .actual_access:  read_only
        .address_space:  global
        .offset:         48
        .size:           8
        .value_kind:     global_buffer
      - .offset:         56
        .size:           4
        .value_kind:     by_value
      - .actual_access:  write_only
        .address_space:  global
        .offset:         64
        .size:           8
        .value_kind:     global_buffer
      - .actual_access:  read_only
        .address_space:  global
        .offset:         72
        .size:           8
        .value_kind:     global_buffer
      - .actual_access:  write_only
        .address_space:  global
        .offset:         80
        .size:           8
        .value_kind:     global_buffer
    .group_segment_fixed_size: 4100
    .kernarg_segment_align: 8
    .kernarg_segment_size: 88
    .language:       OpenCL C
    .language_version:
      - 2
      - 0
    .max_flat_workgroup_size: 256
    .name:           _ZN9rocsparseL42csr2bsr_wavefront_per_row_multipass_kernelILj256ELj64ELj16EiiiEEv20rocsparse_direction_T4_S2_S2_S2_S2_21rocsparse_index_base_PKT2_PKT3_PKS2_S3_PS4_PS7_PS2_
    .private_segment_fixed_size: 0
    .sgpr_count:     28
    .sgpr_spill_count: 0
    .symbol:         _ZN9rocsparseL42csr2bsr_wavefront_per_row_multipass_kernelILj256ELj64ELj16EiiiEEv20rocsparse_direction_T4_S2_S2_S2_S2_21rocsparse_index_base_PKT2_PKT3_PKS2_S3_PS4_PS7_PS2_.kd
    .uniform_work_group_size: 1
    .uses_dynamic_stack: false
    .vgpr_count:     40
    .vgpr_spill_count: 0
    .wavefront_size: 32
  - .args:
      - .offset:         0
        .size:           4
        .value_kind:     by_value
      - .offset:         4
        .size:           4
        .value_kind:     by_value
      - .offset:         8
        .size:           4
        .value_kind:     by_value
      - .offset:         12
        .size:           4
        .value_kind:     by_value
      - .offset:         16
        .size:           4
        .value_kind:     by_value
      - .offset:         20
        .size:           4
        .value_kind:     by_value
      - .offset:         24
        .size:           4
        .value_kind:     by_value
      - .actual_access:  read_only
        .address_space:  global
        .offset:         32
        .size:           8
        .value_kind:     global_buffer
      - .actual_access:  read_only
        .address_space:  global
        .offset:         40
        .size:           8
        .value_kind:     global_buffer
      - .actual_access:  read_only
        .address_space:  global
        .offset:         48
        .size:           8
        .value_kind:     global_buffer
      - .offset:         56
        .size:           4
        .value_kind:     by_value
      - .actual_access:  write_only
        .address_space:  global
        .offset:         64
        .size:           8
        .value_kind:     global_buffer
      - .actual_access:  read_only
        .address_space:  global
        .offset:         72
        .size:           8
        .value_kind:     global_buffer
      - .actual_access:  write_only
        .address_space:  global
        .offset:         80
        .size:           8
        .value_kind:     global_buffer
    .group_segment_fixed_size: 8200
    .kernarg_segment_align: 8
    .kernarg_segment_size: 88
    .language:       OpenCL C
    .language_version:
      - 2
      - 0
    .max_flat_workgroup_size: 256
    .name:           _ZN9rocsparseL42csr2bsr_wavefront_per_row_multipass_kernelILj256ELj32ELj16EiiiEEv20rocsparse_direction_T4_S2_S2_S2_S2_21rocsparse_index_base_PKT2_PKT3_PKS2_S3_PS4_PS7_PS2_
    .private_segment_fixed_size: 0
    .sgpr_count:     32
    .sgpr_spill_count: 0
    .symbol:         _ZN9rocsparseL42csr2bsr_wavefront_per_row_multipass_kernelILj256ELj32ELj16EiiiEEv20rocsparse_direction_T4_S2_S2_S2_S2_21rocsparse_index_base_PKT2_PKT3_PKS2_S3_PS4_PS7_PS2_.kd
    .uniform_work_group_size: 1
    .uses_dynamic_stack: false
    .vgpr_count:     48
    .vgpr_spill_count: 0
    .wavefront_size: 32
  - .args:
      - .offset:         0
        .size:           4
        .value_kind:     by_value
      - .offset:         4
        .size:           4
        .value_kind:     by_value
      - .offset:         8
        .size:           4
        .value_kind:     by_value
      - .offset:         12
        .size:           4
        .value_kind:     by_value
      - .offset:         16
        .size:           4
        .value_kind:     by_value
      - .offset:         20
        .size:           4
        .value_kind:     by_value
      - .offset:         24
        .size:           4
        .value_kind:     by_value
      - .actual_access:  read_only
        .address_space:  global
        .offset:         32
        .size:           8
        .value_kind:     global_buffer
      - .actual_access:  read_only
        .address_space:  global
        .offset:         40
        .size:           8
        .value_kind:     global_buffer
      - .actual_access:  read_only
        .address_space:  global
        .offset:         48
        .size:           8
        .value_kind:     global_buffer
      - .offset:         56
        .size:           4
        .value_kind:     by_value
      - .actual_access:  write_only
        .address_space:  global
        .offset:         64
        .size:           8
        .value_kind:     global_buffer
      - .actual_access:  read_only
        .address_space:  global
        .offset:         72
        .size:           8
        .value_kind:     global_buffer
      - .actual_access:  write_only
        .address_space:  global
        .offset:         80
        .size:           8
        .value_kind:     global_buffer
    .group_segment_fixed_size: 4100
    .kernarg_segment_align: 8
    .kernarg_segment_size: 88
    .language:       OpenCL C
    .language_version:
      - 2
      - 0
    .max_flat_workgroup_size: 256
    .name:           _ZN9rocsparseL38csr2bsr_block_per_row_multipass_kernelILj256ELj32EiiiEEv20rocsparse_direction_T3_S2_S2_S2_S2_21rocsparse_index_base_PKT1_PKT2_PKS2_S3_PS4_PS7_PS2_
    .private_segment_fixed_size: 0
    .sgpr_count:     38
    .sgpr_spill_count: 0
    .symbol:         _ZN9rocsparseL38csr2bsr_block_per_row_multipass_kernelILj256ELj32EiiiEEv20rocsparse_direction_T3_S2_S2_S2_S2_21rocsparse_index_base_PKT1_PKT2_PKS2_S3_PS4_PS7_PS2_.kd
    .uniform_work_group_size: 1
    .uses_dynamic_stack: false
    .vgpr_count:     33
    .vgpr_spill_count: 0
    .wavefront_size: 32
  - .args:
      - .offset:         0
        .size:           4
        .value_kind:     by_value
      - .offset:         4
        .size:           4
        .value_kind:     by_value
      - .offset:         8
        .size:           4
        .value_kind:     by_value
      - .offset:         12
        .size:           4
        .value_kind:     by_value
      - .offset:         16
        .size:           4
        .value_kind:     by_value
      - .offset:         20
        .size:           4
        .value_kind:     by_value
      - .offset:         24
        .size:           4
        .value_kind:     by_value
      - .actual_access:  read_only
        .address_space:  global
        .offset:         32
        .size:           8
        .value_kind:     global_buffer
      - .actual_access:  read_only
        .address_space:  global
        .offset:         40
        .size:           8
        .value_kind:     global_buffer
      - .actual_access:  read_only
        .address_space:  global
        .offset:         48
        .size:           8
        .value_kind:     global_buffer
      - .offset:         56
        .size:           4
        .value_kind:     by_value
      - .actual_access:  write_only
        .address_space:  global
        .offset:         64
        .size:           8
        .value_kind:     global_buffer
      - .actual_access:  read_only
        .address_space:  global
        .offset:         72
        .size:           8
        .value_kind:     global_buffer
      - .actual_access:  write_only
        .address_space:  global
        .offset:         80
        .size:           8
        .value_kind:     global_buffer
    .group_segment_fixed_size: 16388
    .kernarg_segment_align: 8
    .kernarg_segment_size: 88
    .language:       OpenCL C
    .language_version:
      - 2
      - 0
    .max_flat_workgroup_size: 256
    .name:           _ZN9rocsparseL38csr2bsr_block_per_row_multipass_kernelILj256ELj64EiiiEEv20rocsparse_direction_T3_S2_S2_S2_S2_21rocsparse_index_base_PKT1_PKT2_PKS2_S3_PS4_PS7_PS2_
    .private_segment_fixed_size: 0
    .sgpr_count:     50
    .sgpr_spill_count: 0
    .symbol:         _ZN9rocsparseL38csr2bsr_block_per_row_multipass_kernelILj256ELj64EiiiEEv20rocsparse_direction_T3_S2_S2_S2_S2_21rocsparse_index_base_PKT1_PKT2_PKS2_S3_PS4_PS7_PS2_.kd
    .uniform_work_group_size: 1
    .uses_dynamic_stack: false
    .vgpr_count:     56
    .vgpr_spill_count: 0
    .wavefront_size: 32
  - .args:
      - .offset:         0
        .size:           4
        .value_kind:     by_value
      - .offset:         4
        .size:           4
        .value_kind:     by_value
      - .offset:         8
        .size:           4
        .value_kind:     by_value
      - .offset:         12
        .size:           4
        .value_kind:     by_value
      - .offset:         16
        .size:           4
        .value_kind:     by_value
      - .offset:         20
        .size:           4
        .value_kind:     by_value
      - .offset:         24
        .size:           4
        .value_kind:     by_value
      - .offset:         28
        .size:           4
        .value_kind:     by_value
      - .actual_access:  read_only
        .address_space:  global
        .offset:         32
        .size:           8
        .value_kind:     global_buffer
      - .actual_access:  read_only
        .address_space:  global
        .offset:         40
        .size:           8
        .value_kind:     global_buffer
      - .actual_access:  read_only
        .address_space:  global
        .offset:         48
        .size:           8
        .value_kind:     global_buffer
      - .offset:         56
        .size:           4
        .value_kind:     by_value
      - .actual_access:  write_only
        .address_space:  global
        .offset:         64
        .size:           8
        .value_kind:     global_buffer
      - .actual_access:  read_only
        .address_space:  global
        .offset:         72
        .size:           8
        .value_kind:     global_buffer
      - .actual_access:  write_only
        .address_space:  global
        .offset:         80
        .size:           8
        .value_kind:     global_buffer
      - .address_space:  global
        .offset:         88
        .size:           8
        .value_kind:     global_buffer
      - .address_space:  global
        .offset:         96
        .size:           8
        .value_kind:     global_buffer
      - .address_space:  global
        .offset:         104
        .size:           8
        .value_kind:     global_buffer
    .group_segment_fixed_size: 0
    .kernarg_segment_align: 8
    .kernarg_segment_size: 112
    .language:       OpenCL C
    .language_version:
      - 2
      - 0
    .max_flat_workgroup_size: 32
    .name:           _ZN9rocsparseL21csr2bsr_65_inf_kernelILj32EiiiEEv20rocsparse_direction_T2_S2_S2_S2_S2_S2_21rocsparse_index_base_PKT0_PKT1_PKS2_S3_PS4_PS7_PS2_SD_SE_SC_
    .private_segment_fixed_size: 0
    .sgpr_count:     38
    .sgpr_spill_count: 0
    .symbol:         _ZN9rocsparseL21csr2bsr_65_inf_kernelILj32EiiiEEv20rocsparse_direction_T2_S2_S2_S2_S2_S2_21rocsparse_index_base_PKT0_PKT1_PKS2_S3_PS4_PS7_PS2_SD_SE_SC_.kd
    .uniform_work_group_size: 1
    .uses_dynamic_stack: false
    .vgpr_count:     38
    .vgpr_spill_count: 0
    .wavefront_size: 32
  - .args:
      - .offset:         0
        .size:           4
        .value_kind:     by_value
      - .offset:         4
        .size:           4
        .value_kind:     by_value
      - .offset:         8
        .size:           4
        .value_kind:     by_value
      - .offset:         12
        .size:           4
        .value_kind:     by_value
      - .offset:         16
        .size:           4
        .value_kind:     by_value
      - .address_space:  global
        .offset:         24
        .size:           8
        .value_kind:     global_buffer
      - .address_space:  global
        .offset:         32
        .size:           8
        .value_kind:     global_buffer
      - .address_space:  global
        .offset:         40
        .size:           8
        .value_kind:     global_buffer
      - .offset:         48
        .size:           4
        .value_kind:     by_value
      - .address_space:  global
        .offset:         56
        .size:           8
        .value_kind:     global_buffer
      - .address_space:  global
        .offset:         64
        .size:           8
        .value_kind:     global_buffer
      - .address_space:  global
        .offset:         72
        .size:           8
        .value_kind:     global_buffer
      - .offset:         80
        .size:           4
        .value_kind:     hidden_block_count_x
      - .offset:         84
        .size:           4
        .value_kind:     hidden_block_count_y
      - .offset:         88
        .size:           4
        .value_kind:     hidden_block_count_z
      - .offset:         92
        .size:           2
        .value_kind:     hidden_group_size_x
      - .offset:         94
        .size:           2
        .value_kind:     hidden_group_size_y
      - .offset:         96
        .size:           2
        .value_kind:     hidden_group_size_z
      - .offset:         98
        .size:           2
        .value_kind:     hidden_remainder_x
      - .offset:         100
        .size:           2
        .value_kind:     hidden_remainder_y
      - .offset:         102
        .size:           2
        .value_kind:     hidden_remainder_z
      - .offset:         120
        .size:           8
        .value_kind:     hidden_global_offset_x
      - .offset:         128
        .size:           8
        .value_kind:     hidden_global_offset_y
      - .offset:         136
        .size:           8
        .value_kind:     hidden_global_offset_z
      - .offset:         144
        .size:           2
        .value_kind:     hidden_grid_dims
    .group_segment_fixed_size: 0
    .kernarg_segment_align: 8
    .kernarg_segment_size: 336
    .language:       OpenCL C
    .language_version:
      - 2
      - 0
    .max_flat_workgroup_size: 256
    .name:           _ZN9rocsparseL35csr2bsr_block_dim_equals_one_kernelILj256EiliEEvT2_S1_S1_S1_21rocsparse_index_base_PKT0_PKT1_PKS1_S2_PS3_PS6_PS1_
    .private_segment_fixed_size: 0
    .sgpr_count:     20
    .sgpr_spill_count: 0
    .symbol:         _ZN9rocsparseL35csr2bsr_block_dim_equals_one_kernelILj256EiliEEvT2_S1_S1_S1_21rocsparse_index_base_PKT0_PKT1_PKS1_S2_PS3_PS6_PS1_.kd
    .uniform_work_group_size: 1
    .uses_dynamic_stack: false
    .vgpr_count:     9
    .vgpr_spill_count: 0
    .wavefront_size: 32
  - .args:
      - .offset:         0
        .size:           4
        .value_kind:     by_value
      - .offset:         4
        .size:           4
        .value_kind:     by_value
      - .offset:         8
        .size:           4
        .value_kind:     by_value
      - .offset:         12
        .size:           4
        .value_kind:     by_value
      - .offset:         16
        .size:           4
        .value_kind:     by_value
      - .offset:         20
        .size:           4
        .value_kind:     by_value
      - .offset:         24
        .size:           4
        .value_kind:     by_value
      - .actual_access:  read_only
        .address_space:  global
        .offset:         32
        .size:           8
        .value_kind:     global_buffer
      - .actual_access:  read_only
        .address_space:  global
        .offset:         40
        .size:           8
        .value_kind:     global_buffer
      - .actual_access:  read_only
        .address_space:  global
        .offset:         48
        .size:           8
        .value_kind:     global_buffer
      - .offset:         56
        .size:           4
        .value_kind:     by_value
      - .actual_access:  write_only
        .address_space:  global
        .offset:         64
        .size:           8
        .value_kind:     global_buffer
      - .actual_access:  read_only
        .address_space:  global
        .offset:         72
        .size:           8
        .value_kind:     global_buffer
      - .actual_access:  write_only
        .address_space:  global
        .offset:         80
        .size:           8
        .value_kind:     global_buffer
    .group_segment_fixed_size: 1040
    .kernarg_segment_align: 8
    .kernarg_segment_size: 88
    .language:       OpenCL C
    .language_version:
      - 2
      - 0
    .max_flat_workgroup_size: 256
    .name:           _ZN9rocsparseL42csr2bsr_wavefront_per_row_multipass_kernelILj256ELj16ELj4EiliEEv20rocsparse_direction_T4_S2_S2_S2_S2_21rocsparse_index_base_PKT2_PKT3_PKS2_S3_PS4_PS7_PS2_
    .private_segment_fixed_size: 0
    .sgpr_count:     25
    .sgpr_spill_count: 0
    .symbol:         _ZN9rocsparseL42csr2bsr_wavefront_per_row_multipass_kernelILj256ELj16ELj4EiliEEv20rocsparse_direction_T4_S2_S2_S2_S2_21rocsparse_index_base_PKT2_PKT3_PKS2_S3_PS4_PS7_PS2_.kd
    .uniform_work_group_size: 1
    .uses_dynamic_stack: false
    .vgpr_count:     38
    .vgpr_spill_count: 0
    .wavefront_size: 32
  - .args:
      - .offset:         0
        .size:           4
        .value_kind:     by_value
      - .offset:         4
        .size:           4
        .value_kind:     by_value
      - .offset:         8
        .size:           4
        .value_kind:     by_value
      - .offset:         12
        .size:           4
        .value_kind:     by_value
      - .offset:         16
        .size:           4
        .value_kind:     by_value
      - .offset:         20
        .size:           4
        .value_kind:     by_value
      - .offset:         24
        .size:           4
        .value_kind:     by_value
      - .actual_access:  read_only
        .address_space:  global
        .offset:         32
        .size:           8
        .value_kind:     global_buffer
      - .actual_access:  read_only
        .address_space:  global
        .offset:         40
        .size:           8
        .value_kind:     global_buffer
      - .actual_access:  read_only
        .address_space:  global
        .offset:         48
        .size:           8
        .value_kind:     global_buffer
      - .offset:         56
        .size:           4
        .value_kind:     by_value
      - .actual_access:  write_only
        .address_space:  global
        .offset:         64
        .size:           8
        .value_kind:     global_buffer
      - .actual_access:  read_only
        .address_space:  global
        .offset:         72
        .size:           8
        .value_kind:     global_buffer
      - .actual_access:  write_only
        .address_space:  global
        .offset:         80
        .size:           8
        .value_kind:     global_buffer
    .group_segment_fixed_size: 1028
    .kernarg_segment_align: 8
    .kernarg_segment_size: 88
    .language:       OpenCL C
    .language_version:
      - 2
      - 0
    .max_flat_workgroup_size: 256
    .name:           _ZN9rocsparseL42csr2bsr_wavefront_per_row_multipass_kernelILj256ELj64ELj8EiliEEv20rocsparse_direction_T4_S2_S2_S2_S2_21rocsparse_index_base_PKT2_PKT3_PKS2_S3_PS4_PS7_PS2_
    .private_segment_fixed_size: 0
    .sgpr_count:     25
    .sgpr_spill_count: 0
    .symbol:         _ZN9rocsparseL42csr2bsr_wavefront_per_row_multipass_kernelILj256ELj64ELj8EiliEEv20rocsparse_direction_T4_S2_S2_S2_S2_21rocsparse_index_base_PKT2_PKT3_PKS2_S3_PS4_PS7_PS2_.kd
    .uniform_work_group_size: 1
    .uses_dynamic_stack: false
    .vgpr_count:     40
    .vgpr_spill_count: 0
    .wavefront_size: 32
  - .args:
      - .offset:         0
        .size:           4
        .value_kind:     by_value
      - .offset:         4
        .size:           4
        .value_kind:     by_value
      - .offset:         8
        .size:           4
        .value_kind:     by_value
      - .offset:         12
        .size:           4
        .value_kind:     by_value
      - .offset:         16
        .size:           4
        .value_kind:     by_value
      - .offset:         20
        .size:           4
        .value_kind:     by_value
      - .offset:         24
        .size:           4
        .value_kind:     by_value
      - .actual_access:  read_only
        .address_space:  global
        .offset:         32
        .size:           8
        .value_kind:     global_buffer
      - .actual_access:  read_only
        .address_space:  global
        .offset:         40
        .size:           8
        .value_kind:     global_buffer
      - .actual_access:  read_only
        .address_space:  global
        .offset:         48
        .size:           8
        .value_kind:     global_buffer
      - .offset:         56
        .size:           4
        .value_kind:     by_value
      - .actual_access:  write_only
        .address_space:  global
        .offset:         64
        .size:           8
        .value_kind:     global_buffer
      - .actual_access:  read_only
        .address_space:  global
        .offset:         72
        .size:           8
        .value_kind:     global_buffer
      - .actual_access:  write_only
        .address_space:  global
        .offset:         80
        .size:           8
        .value_kind:     global_buffer
    .group_segment_fixed_size: 2056
    .kernarg_segment_align: 8
    .kernarg_segment_size: 88
    .language:       OpenCL C
    .language_version:
      - 2
      - 0
    .max_flat_workgroup_size: 256
    .name:           _ZN9rocsparseL42csr2bsr_wavefront_per_row_multipass_kernelILj256ELj32ELj8EiliEEv20rocsparse_direction_T4_S2_S2_S2_S2_21rocsparse_index_base_PKT2_PKT3_PKS2_S3_PS4_PS7_PS2_
    .private_segment_fixed_size: 0
    .sgpr_count:     26
    .sgpr_spill_count: 0
    .symbol:         _ZN9rocsparseL42csr2bsr_wavefront_per_row_multipass_kernelILj256ELj32ELj8EiliEEv20rocsparse_direction_T4_S2_S2_S2_S2_21rocsparse_index_base_PKT2_PKT3_PKS2_S3_PS4_PS7_PS2_.kd
    .uniform_work_group_size: 1
    .uses_dynamic_stack: false
    .vgpr_count:     43
    .vgpr_spill_count: 0
    .wavefront_size: 32
  - .args:
      - .offset:         0
        .size:           4
        .value_kind:     by_value
      - .offset:         4
        .size:           4
        .value_kind:     by_value
      - .offset:         8
        .size:           4
        .value_kind:     by_value
      - .offset:         12
        .size:           4
        .value_kind:     by_value
      - .offset:         16
        .size:           4
        .value_kind:     by_value
      - .offset:         20
        .size:           4
        .value_kind:     by_value
      - .offset:         24
        .size:           4
        .value_kind:     by_value
      - .actual_access:  read_only
        .address_space:  global
        .offset:         32
        .size:           8
        .value_kind:     global_buffer
      - .actual_access:  read_only
        .address_space:  global
        .offset:         40
        .size:           8
        .value_kind:     global_buffer
      - .actual_access:  read_only
        .address_space:  global
        .offset:         48
        .size:           8
        .value_kind:     global_buffer
      - .offset:         56
        .size:           4
        .value_kind:     by_value
      - .actual_access:  write_only
        .address_space:  global
        .offset:         64
        .size:           8
        .value_kind:     global_buffer
      - .actual_access:  read_only
        .address_space:  global
        .offset:         72
        .size:           8
        .value_kind:     global_buffer
      - .actual_access:  write_only
        .address_space:  global
        .offset:         80
        .size:           8
        .value_kind:     global_buffer
    .group_segment_fixed_size: 4100
    .kernarg_segment_align: 8
    .kernarg_segment_size: 88
    .language:       OpenCL C
    .language_version:
      - 2
      - 0
    .max_flat_workgroup_size: 256
    .name:           _ZN9rocsparseL42csr2bsr_wavefront_per_row_multipass_kernelILj256ELj64ELj16EiliEEv20rocsparse_direction_T4_S2_S2_S2_S2_21rocsparse_index_base_PKT2_PKT3_PKS2_S3_PS4_PS7_PS2_
    .private_segment_fixed_size: 0
    .sgpr_count:     28
    .sgpr_spill_count: 0
    .symbol:         _ZN9rocsparseL42csr2bsr_wavefront_per_row_multipass_kernelILj256ELj64ELj16EiliEEv20rocsparse_direction_T4_S2_S2_S2_S2_21rocsparse_index_base_PKT2_PKT3_PKS2_S3_PS4_PS7_PS2_.kd
    .uniform_work_group_size: 1
    .uses_dynamic_stack: false
    .vgpr_count:     48
    .vgpr_spill_count: 0
    .wavefront_size: 32
  - .args:
      - .offset:         0
        .size:           4
        .value_kind:     by_value
      - .offset:         4
        .size:           4
        .value_kind:     by_value
      - .offset:         8
        .size:           4
        .value_kind:     by_value
      - .offset:         12
        .size:           4
        .value_kind:     by_value
      - .offset:         16
        .size:           4
        .value_kind:     by_value
      - .offset:         20
        .size:           4
        .value_kind:     by_value
      - .offset:         24
        .size:           4
        .value_kind:     by_value
      - .actual_access:  read_only
        .address_space:  global
        .offset:         32
        .size:           8
        .value_kind:     global_buffer
      - .actual_access:  read_only
        .address_space:  global
        .offset:         40
        .size:           8
        .value_kind:     global_buffer
      - .actual_access:  read_only
        .address_space:  global
        .offset:         48
        .size:           8
        .value_kind:     global_buffer
      - .offset:         56
        .size:           4
        .value_kind:     by_value
      - .actual_access:  write_only
        .address_space:  global
        .offset:         64
        .size:           8
        .value_kind:     global_buffer
      - .actual_access:  read_only
        .address_space:  global
        .offset:         72
        .size:           8
        .value_kind:     global_buffer
      - .actual_access:  write_only
        .address_space:  global
        .offset:         80
        .size:           8
        .value_kind:     global_buffer
    .group_segment_fixed_size: 8200
    .kernarg_segment_align: 8
    .kernarg_segment_size: 88
    .language:       OpenCL C
    .language_version:
      - 2
      - 0
    .max_flat_workgroup_size: 256
    .name:           _ZN9rocsparseL42csr2bsr_wavefront_per_row_multipass_kernelILj256ELj32ELj16EiliEEv20rocsparse_direction_T4_S2_S2_S2_S2_21rocsparse_index_base_PKT2_PKT3_PKS2_S3_PS4_PS7_PS2_
    .private_segment_fixed_size: 0
    .sgpr_count:     32
    .sgpr_spill_count: 0
    .symbol:         _ZN9rocsparseL42csr2bsr_wavefront_per_row_multipass_kernelILj256ELj32ELj16EiliEEv20rocsparse_direction_T4_S2_S2_S2_S2_21rocsparse_index_base_PKT2_PKT3_PKS2_S3_PS4_PS7_PS2_.kd
    .uniform_work_group_size: 1
    .uses_dynamic_stack: false
    .vgpr_count:     55
    .vgpr_spill_count: 0
    .wavefront_size: 32
  - .args:
      - .offset:         0
        .size:           4
        .value_kind:     by_value
      - .offset:         4
        .size:           4
        .value_kind:     by_value
      - .offset:         8
        .size:           4
        .value_kind:     by_value
      - .offset:         12
        .size:           4
        .value_kind:     by_value
      - .offset:         16
        .size:           4
        .value_kind:     by_value
      - .offset:         20
        .size:           4
        .value_kind:     by_value
      - .offset:         24
        .size:           4
        .value_kind:     by_value
      - .actual_access:  read_only
        .address_space:  global
        .offset:         32
        .size:           8
        .value_kind:     global_buffer
      - .actual_access:  read_only
        .address_space:  global
        .offset:         40
        .size:           8
        .value_kind:     global_buffer
      - .actual_access:  read_only
        .address_space:  global
        .offset:         48
        .size:           8
        .value_kind:     global_buffer
      - .offset:         56
        .size:           4
        .value_kind:     by_value
      - .actual_access:  write_only
        .address_space:  global
        .offset:         64
        .size:           8
        .value_kind:     global_buffer
      - .actual_access:  read_only
        .address_space:  global
        .offset:         72
        .size:           8
        .value_kind:     global_buffer
      - .actual_access:  write_only
        .address_space:  global
        .offset:         80
        .size:           8
        .value_kind:     global_buffer
    .group_segment_fixed_size: 4100
    .kernarg_segment_align: 8
    .kernarg_segment_size: 88
    .language:       OpenCL C
    .language_version:
      - 2
      - 0
    .max_flat_workgroup_size: 256
    .name:           _ZN9rocsparseL38csr2bsr_block_per_row_multipass_kernelILj256ELj32EiliEEv20rocsparse_direction_T3_S2_S2_S2_S2_21rocsparse_index_base_PKT1_PKT2_PKS2_S3_PS4_PS7_PS2_
    .private_segment_fixed_size: 0
    .sgpr_count:     38
    .sgpr_spill_count: 0
    .symbol:         _ZN9rocsparseL38csr2bsr_block_per_row_multipass_kernelILj256ELj32EiliEEv20rocsparse_direction_T3_S2_S2_S2_S2_21rocsparse_index_base_PKT1_PKT2_PKS2_S3_PS4_PS7_PS2_.kd
    .uniform_work_group_size: 1
    .uses_dynamic_stack: false
    .vgpr_count:     42
    .vgpr_spill_count: 0
    .wavefront_size: 32
  - .args:
      - .offset:         0
        .size:           4
        .value_kind:     by_value
      - .offset:         4
        .size:           4
        .value_kind:     by_value
      - .offset:         8
        .size:           4
        .value_kind:     by_value
      - .offset:         12
        .size:           4
        .value_kind:     by_value
      - .offset:         16
        .size:           4
        .value_kind:     by_value
      - .offset:         20
        .size:           4
        .value_kind:     by_value
      - .offset:         24
        .size:           4
        .value_kind:     by_value
      - .actual_access:  read_only
        .address_space:  global
        .offset:         32
        .size:           8
        .value_kind:     global_buffer
      - .actual_access:  read_only
        .address_space:  global
        .offset:         40
        .size:           8
        .value_kind:     global_buffer
      - .actual_access:  read_only
        .address_space:  global
        .offset:         48
        .size:           8
        .value_kind:     global_buffer
      - .offset:         56
        .size:           4
        .value_kind:     by_value
      - .actual_access:  write_only
        .address_space:  global
        .offset:         64
        .size:           8
        .value_kind:     global_buffer
      - .actual_access:  read_only
        .address_space:  global
        .offset:         72
        .size:           8
        .value_kind:     global_buffer
      - .actual_access:  write_only
        .address_space:  global
        .offset:         80
        .size:           8
        .value_kind:     global_buffer
    .group_segment_fixed_size: 16388
    .kernarg_segment_align: 8
    .kernarg_segment_size: 88
    .language:       OpenCL C
    .language_version:
      - 2
      - 0
    .max_flat_workgroup_size: 256
    .name:           _ZN9rocsparseL38csr2bsr_block_per_row_multipass_kernelILj256ELj64EiliEEv20rocsparse_direction_T3_S2_S2_S2_S2_21rocsparse_index_base_PKT1_PKT2_PKS2_S3_PS4_PS7_PS2_
    .private_segment_fixed_size: 0
    .sgpr_count:     50
    .sgpr_spill_count: 0
    .symbol:         _ZN9rocsparseL38csr2bsr_block_per_row_multipass_kernelILj256ELj64EiliEEv20rocsparse_direction_T3_S2_S2_S2_S2_21rocsparse_index_base_PKT1_PKT2_PKS2_S3_PS4_PS7_PS2_.kd
    .uniform_work_group_size: 1
    .uses_dynamic_stack: false
    .vgpr_count:     65
    .vgpr_spill_count: 0
    .wavefront_size: 32
  - .args:
      - .offset:         0
        .size:           4
        .value_kind:     by_value
      - .offset:         4
        .size:           4
        .value_kind:     by_value
      - .offset:         8
        .size:           4
        .value_kind:     by_value
      - .offset:         12
        .size:           4
        .value_kind:     by_value
      - .offset:         16
        .size:           4
        .value_kind:     by_value
      - .offset:         20
        .size:           4
        .value_kind:     by_value
      - .offset:         24
        .size:           4
        .value_kind:     by_value
      - .offset:         28
        .size:           4
        .value_kind:     by_value
      - .actual_access:  read_only
        .address_space:  global
        .offset:         32
        .size:           8
        .value_kind:     global_buffer
      - .actual_access:  read_only
        .address_space:  global
        .offset:         40
        .size:           8
        .value_kind:     global_buffer
      - .actual_access:  read_only
        .address_space:  global
        .offset:         48
        .size:           8
        .value_kind:     global_buffer
      - .offset:         56
        .size:           4
        .value_kind:     by_value
      - .actual_access:  write_only
        .address_space:  global
        .offset:         64
        .size:           8
        .value_kind:     global_buffer
      - .actual_access:  read_only
        .address_space:  global
        .offset:         72
        .size:           8
        .value_kind:     global_buffer
      - .actual_access:  write_only
        .address_space:  global
        .offset:         80
        .size:           8
        .value_kind:     global_buffer
      - .address_space:  global
        .offset:         88
        .size:           8
        .value_kind:     global_buffer
      - .address_space:  global
        .offset:         96
        .size:           8
        .value_kind:     global_buffer
      - .address_space:  global
        .offset:         104
        .size:           8
        .value_kind:     global_buffer
    .group_segment_fixed_size: 0
    .kernarg_segment_align: 8
    .kernarg_segment_size: 112
    .language:       OpenCL C
    .language_version:
      - 2
      - 0
    .max_flat_workgroup_size: 32
    .name:           _ZN9rocsparseL21csr2bsr_65_inf_kernelILj32EiliEEv20rocsparse_direction_T2_S2_S2_S2_S2_S2_21rocsparse_index_base_PKT0_PKT1_PKS2_S3_PS4_PS7_PS2_SD_SE_SC_
    .private_segment_fixed_size: 0
    .sgpr_count:     38
    .sgpr_spill_count: 0
    .symbol:         _ZN9rocsparseL21csr2bsr_65_inf_kernelILj32EiliEEv20rocsparse_direction_T2_S2_S2_S2_S2_S2_21rocsparse_index_base_PKT0_PKT1_PKS2_S3_PS4_PS7_PS2_SD_SE_SC_.kd
    .uniform_work_group_size: 1
    .uses_dynamic_stack: false
    .vgpr_count:     38
    .vgpr_spill_count: 0
    .wavefront_size: 32
  - .args:
      - .offset:         0
        .size:           8
        .value_kind:     by_value
      - .offset:         8
        .size:           8
        .value_kind:     by_value
      - .offset:         16
        .size:           8
        .value_kind:     by_value
      - .offset:         24
        .size:           8
        .value_kind:     by_value
      - .offset:         32
        .size:           4
        .value_kind:     by_value
      - .address_space:  global
        .offset:         40
        .size:           8
        .value_kind:     global_buffer
      - .address_space:  global
        .offset:         48
        .size:           8
        .value_kind:     global_buffer
      - .address_space:  global
        .offset:         56
        .size:           8
        .value_kind:     global_buffer
      - .offset:         64
        .size:           4
        .value_kind:     by_value
      - .address_space:  global
        .offset:         72
        .size:           8
        .value_kind:     global_buffer
      - .address_space:  global
        .offset:         80
        .size:           8
        .value_kind:     global_buffer
      - .address_space:  global
        .offset:         88
        .size:           8
        .value_kind:     global_buffer
      - .offset:         96
        .size:           4
        .value_kind:     hidden_block_count_x
      - .offset:         100
        .size:           4
        .value_kind:     hidden_block_count_y
      - .offset:         104
        .size:           4
        .value_kind:     hidden_block_count_z
      - .offset:         108
        .size:           2
        .value_kind:     hidden_group_size_x
      - .offset:         110
        .size:           2
        .value_kind:     hidden_group_size_y
      - .offset:         112
        .size:           2
        .value_kind:     hidden_group_size_z
      - .offset:         114
        .size:           2
        .value_kind:     hidden_remainder_x
      - .offset:         116
        .size:           2
        .value_kind:     hidden_remainder_y
      - .offset:         118
        .size:           2
        .value_kind:     hidden_remainder_z
      - .offset:         136
        .size:           8
        .value_kind:     hidden_global_offset_x
      - .offset:         144
        .size:           8
        .value_kind:     hidden_global_offset_y
      - .offset:         152
        .size:           8
        .value_kind:     hidden_global_offset_z
      - .offset:         160
        .size:           2
        .value_kind:     hidden_grid_dims
    .group_segment_fixed_size: 0
    .kernarg_segment_align: 8
    .kernarg_segment_size: 352
    .language:       OpenCL C
    .language_version:
      - 2
      - 0
    .max_flat_workgroup_size: 256
    .name:           _ZN9rocsparseL35csr2bsr_block_dim_equals_one_kernelILj256EiilEEvT2_S1_S1_S1_21rocsparse_index_base_PKT0_PKT1_PKS1_S2_PS3_PS6_PS1_
    .private_segment_fixed_size: 0
    .sgpr_count:     17
    .sgpr_spill_count: 0
    .symbol:         _ZN9rocsparseL35csr2bsr_block_dim_equals_one_kernelILj256EiilEEvT2_S1_S1_S1_21rocsparse_index_base_PKT0_PKT1_PKS1_S2_PS3_PS6_PS1_.kd
    .uniform_work_group_size: 1
    .uses_dynamic_stack: false
    .vgpr_count:     4
    .vgpr_spill_count: 0
    .wavefront_size: 32
  - .args:
      - .offset:         0
        .size:           4
        .value_kind:     by_value
      - .offset:         8
        .size:           8
        .value_kind:     by_value
      - .offset:         16
        .size:           8
        .value_kind:     by_value
      - .offset:         24
        .size:           8
        .value_kind:     by_value
      - .offset:         32
        .size:           8
        .value_kind:     by_value
      - .offset:         40
        .size:           8
        .value_kind:     by_value
      - .offset:         48
        .size:           4
        .value_kind:     by_value
      - .actual_access:  read_only
        .address_space:  global
        .offset:         56
        .size:           8
        .value_kind:     global_buffer
      - .actual_access:  read_only
        .address_space:  global
        .offset:         64
        .size:           8
        .value_kind:     global_buffer
      - .actual_access:  read_only
        .address_space:  global
        .offset:         72
        .size:           8
        .value_kind:     global_buffer
      - .offset:         80
        .size:           4
        .value_kind:     by_value
      - .actual_access:  write_only
        .address_space:  global
        .offset:         88
        .size:           8
        .value_kind:     global_buffer
      - .actual_access:  read_only
        .address_space:  global
        .offset:         96
        .size:           8
        .value_kind:     global_buffer
      - .actual_access:  write_only
        .address_space:  global
        .offset:         104
        .size:           8
        .value_kind:     global_buffer
    .group_segment_fixed_size: 1040
    .kernarg_segment_align: 8
    .kernarg_segment_size: 112
    .language:       OpenCL C
    .language_version:
      - 2
      - 0
    .max_flat_workgroup_size: 256
    .name:           _ZN9rocsparseL42csr2bsr_wavefront_per_row_multipass_kernelILj256ELj16ELj4EiilEEv20rocsparse_direction_T4_S2_S2_S2_S2_21rocsparse_index_base_PKT2_PKT3_PKS2_S3_PS4_PS7_PS2_
    .private_segment_fixed_size: 0
    .sgpr_count:     43
    .sgpr_spill_count: 0
    .symbol:         _ZN9rocsparseL42csr2bsr_wavefront_per_row_multipass_kernelILj256ELj16ELj4EiilEEv20rocsparse_direction_T4_S2_S2_S2_S2_21rocsparse_index_base_PKT2_PKT3_PKS2_S3_PS4_PS7_PS2_.kd
    .uniform_work_group_size: 1
    .uses_dynamic_stack: false
    .vgpr_count:     44
    .vgpr_spill_count: 0
    .wavefront_size: 32
  - .args:
      - .offset:         0
        .size:           4
        .value_kind:     by_value
      - .offset:         8
        .size:           8
        .value_kind:     by_value
      - .offset:         16
        .size:           8
        .value_kind:     by_value
      - .offset:         24
        .size:           8
        .value_kind:     by_value
      - .offset:         32
        .size:           8
        .value_kind:     by_value
      - .offset:         40
        .size:           8
        .value_kind:     by_value
      - .offset:         48
        .size:           4
        .value_kind:     by_value
      - .actual_access:  read_only
        .address_space:  global
        .offset:         56
        .size:           8
        .value_kind:     global_buffer
      - .actual_access:  read_only
        .address_space:  global
        .offset:         64
        .size:           8
        .value_kind:     global_buffer
      - .actual_access:  read_only
        .address_space:  global
        .offset:         72
        .size:           8
        .value_kind:     global_buffer
      - .offset:         80
        .size:           4
        .value_kind:     by_value
      - .actual_access:  write_only
        .address_space:  global
        .offset:         88
        .size:           8
        .value_kind:     global_buffer
      - .actual_access:  read_only
        .address_space:  global
        .offset:         96
        .size:           8
        .value_kind:     global_buffer
      - .actual_access:  write_only
        .address_space:  global
        .offset:         104
        .size:           8
        .value_kind:     global_buffer
    .group_segment_fixed_size: 1028
    .kernarg_segment_align: 8
    .kernarg_segment_size: 112
    .language:       OpenCL C
    .language_version:
      - 2
      - 0
    .max_flat_workgroup_size: 256
    .name:           _ZN9rocsparseL42csr2bsr_wavefront_per_row_multipass_kernelILj256ELj64ELj8EiilEEv20rocsparse_direction_T4_S2_S2_S2_S2_21rocsparse_index_base_PKT2_PKT3_PKS2_S3_PS4_PS7_PS2_
    .private_segment_fixed_size: 0
    .sgpr_count:     43
    .sgpr_spill_count: 0
    .symbol:         _ZN9rocsparseL42csr2bsr_wavefront_per_row_multipass_kernelILj256ELj64ELj8EiilEEv20rocsparse_direction_T4_S2_S2_S2_S2_21rocsparse_index_base_PKT2_PKT3_PKS2_S3_PS4_PS7_PS2_.kd
    .uniform_work_group_size: 1
    .uses_dynamic_stack: false
    .vgpr_count:     46
    .vgpr_spill_count: 0
    .wavefront_size: 32
  - .args:
      - .offset:         0
        .size:           4
        .value_kind:     by_value
      - .offset:         8
        .size:           8
        .value_kind:     by_value
      - .offset:         16
        .size:           8
        .value_kind:     by_value
      - .offset:         24
        .size:           8
        .value_kind:     by_value
      - .offset:         32
        .size:           8
        .value_kind:     by_value
      - .offset:         40
        .size:           8
        .value_kind:     by_value
      - .offset:         48
        .size:           4
        .value_kind:     by_value
      - .actual_access:  read_only
        .address_space:  global
        .offset:         56
        .size:           8
        .value_kind:     global_buffer
      - .actual_access:  read_only
        .address_space:  global
        .offset:         64
        .size:           8
        .value_kind:     global_buffer
      - .actual_access:  read_only
        .address_space:  global
        .offset:         72
        .size:           8
        .value_kind:     global_buffer
      - .offset:         80
        .size:           4
        .value_kind:     by_value
      - .actual_access:  write_only
        .address_space:  global
        .offset:         88
        .size:           8
        .value_kind:     global_buffer
      - .actual_access:  read_only
        .address_space:  global
        .offset:         96
        .size:           8
        .value_kind:     global_buffer
      - .actual_access:  write_only
        .address_space:  global
        .offset:         104
        .size:           8
        .value_kind:     global_buffer
    .group_segment_fixed_size: 2056
    .kernarg_segment_align: 8
    .kernarg_segment_size: 112
    .language:       OpenCL C
    .language_version:
      - 2
      - 0
    .max_flat_workgroup_size: 256
    .name:           _ZN9rocsparseL42csr2bsr_wavefront_per_row_multipass_kernelILj256ELj32ELj8EiilEEv20rocsparse_direction_T4_S2_S2_S2_S2_21rocsparse_index_base_PKT2_PKT3_PKS2_S3_PS4_PS7_PS2_
    .private_segment_fixed_size: 0
    .sgpr_count:     44
    .sgpr_spill_count: 0
    .symbol:         _ZN9rocsparseL42csr2bsr_wavefront_per_row_multipass_kernelILj256ELj32ELj8EiilEEv20rocsparse_direction_T4_S2_S2_S2_S2_21rocsparse_index_base_PKT2_PKT3_PKS2_S3_PS4_PS7_PS2_.kd
    .uniform_work_group_size: 1
    .uses_dynamic_stack: false
    .vgpr_count:     50
    .vgpr_spill_count: 0
    .wavefront_size: 32
  - .args:
      - .offset:         0
        .size:           4
        .value_kind:     by_value
      - .offset:         8
        .size:           8
        .value_kind:     by_value
      - .offset:         16
        .size:           8
        .value_kind:     by_value
      - .offset:         24
        .size:           8
        .value_kind:     by_value
      - .offset:         32
        .size:           8
        .value_kind:     by_value
      - .offset:         40
        .size:           8
        .value_kind:     by_value
      - .offset:         48
        .size:           4
        .value_kind:     by_value
      - .actual_access:  read_only
        .address_space:  global
        .offset:         56
        .size:           8
        .value_kind:     global_buffer
      - .actual_access:  read_only
        .address_space:  global
        .offset:         64
        .size:           8
        .value_kind:     global_buffer
      - .actual_access:  read_only
        .address_space:  global
        .offset:         72
        .size:           8
        .value_kind:     global_buffer
      - .offset:         80
        .size:           4
        .value_kind:     by_value
      - .actual_access:  write_only
        .address_space:  global
        .offset:         88
        .size:           8
        .value_kind:     global_buffer
      - .actual_access:  read_only
        .address_space:  global
        .offset:         96
        .size:           8
        .value_kind:     global_buffer
      - .actual_access:  write_only
        .address_space:  global
        .offset:         104
        .size:           8
        .value_kind:     global_buffer
    .group_segment_fixed_size: 4100
    .kernarg_segment_align: 8
    .kernarg_segment_size: 112
    .language:       OpenCL C
    .language_version:
      - 2
      - 0
    .max_flat_workgroup_size: 256
    .name:           _ZN9rocsparseL42csr2bsr_wavefront_per_row_multipass_kernelILj256ELj64ELj16EiilEEv20rocsparse_direction_T4_S2_S2_S2_S2_21rocsparse_index_base_PKT2_PKT3_PKS2_S3_PS4_PS7_PS2_
    .private_segment_fixed_size: 0
    .sgpr_count:     46
    .sgpr_spill_count: 0
    .symbol:         _ZN9rocsparseL42csr2bsr_wavefront_per_row_multipass_kernelILj256ELj64ELj16EiilEEv20rocsparse_direction_T4_S2_S2_S2_S2_21rocsparse_index_base_PKT2_PKT3_PKS2_S3_PS4_PS7_PS2_.kd
    .uniform_work_group_size: 1
    .uses_dynamic_stack: false
    .vgpr_count:     56
    .vgpr_spill_count: 0
    .wavefront_size: 32
  - .args:
      - .offset:         0
        .size:           4
        .value_kind:     by_value
      - .offset:         8
        .size:           8
        .value_kind:     by_value
      - .offset:         16
        .size:           8
        .value_kind:     by_value
      - .offset:         24
        .size:           8
        .value_kind:     by_value
      - .offset:         32
        .size:           8
        .value_kind:     by_value
      - .offset:         40
        .size:           8
        .value_kind:     by_value
      - .offset:         48
        .size:           4
        .value_kind:     by_value
      - .actual_access:  read_only
        .address_space:  global
        .offset:         56
        .size:           8
        .value_kind:     global_buffer
      - .actual_access:  read_only
        .address_space:  global
        .offset:         64
        .size:           8
        .value_kind:     global_buffer
      - .actual_access:  read_only
        .address_space:  global
        .offset:         72
        .size:           8
        .value_kind:     global_buffer
      - .offset:         80
        .size:           4
        .value_kind:     by_value
      - .actual_access:  write_only
        .address_space:  global
        .offset:         88
        .size:           8
        .value_kind:     global_buffer
      - .actual_access:  read_only
        .address_space:  global
        .offset:         96
        .size:           8
        .value_kind:     global_buffer
      - .actual_access:  write_only
        .address_space:  global
        .offset:         104
        .size:           8
        .value_kind:     global_buffer
    .group_segment_fixed_size: 8200
    .kernarg_segment_align: 8
    .kernarg_segment_size: 112
    .language:       OpenCL C
    .language_version:
      - 2
      - 0
    .max_flat_workgroup_size: 256
    .name:           _ZN9rocsparseL42csr2bsr_wavefront_per_row_multipass_kernelILj256ELj32ELj16EiilEEv20rocsparse_direction_T4_S2_S2_S2_S2_21rocsparse_index_base_PKT2_PKT3_PKS2_S3_PS4_PS7_PS2_
    .private_segment_fixed_size: 0
    .sgpr_count:     50
    .sgpr_spill_count: 0
    .symbol:         _ZN9rocsparseL42csr2bsr_wavefront_per_row_multipass_kernelILj256ELj32ELj16EiilEEv20rocsparse_direction_T4_S2_S2_S2_S2_21rocsparse_index_base_PKT2_PKT3_PKS2_S3_PS4_PS7_PS2_.kd
    .uniform_work_group_size: 1
    .uses_dynamic_stack: false
    .vgpr_count:     62
    .vgpr_spill_count: 0
    .wavefront_size: 32
  - .args:
      - .offset:         0
        .size:           4
        .value_kind:     by_value
      - .offset:         8
        .size:           8
        .value_kind:     by_value
      - .offset:         16
        .size:           8
        .value_kind:     by_value
      - .offset:         24
        .size:           8
        .value_kind:     by_value
      - .offset:         32
        .size:           8
        .value_kind:     by_value
      - .offset:         40
        .size:           8
        .value_kind:     by_value
      - .offset:         48
        .size:           4
        .value_kind:     by_value
      - .actual_access:  read_only
        .address_space:  global
        .offset:         56
        .size:           8
        .value_kind:     global_buffer
      - .actual_access:  read_only
        .address_space:  global
        .offset:         64
        .size:           8
        .value_kind:     global_buffer
      - .actual_access:  read_only
        .address_space:  global
        .offset:         72
        .size:           8
        .value_kind:     global_buffer
      - .offset:         80
        .size:           4
        .value_kind:     by_value
      - .actual_access:  write_only
        .address_space:  global
        .offset:         88
        .size:           8
        .value_kind:     global_buffer
      - .actual_access:  read_only
        .address_space:  global
        .offset:         96
        .size:           8
        .value_kind:     global_buffer
      - .actual_access:  write_only
        .address_space:  global
        .offset:         104
        .size:           8
        .value_kind:     global_buffer
    .group_segment_fixed_size: 4100
    .kernarg_segment_align: 8
    .kernarg_segment_size: 112
    .language:       OpenCL C
    .language_version:
      - 2
      - 0
    .max_flat_workgroup_size: 256
    .name:           _ZN9rocsparseL38csr2bsr_block_per_row_multipass_kernelILj256ELj32EiilEEv20rocsparse_direction_T3_S2_S2_S2_S2_21rocsparse_index_base_PKT1_PKT2_PKS2_S3_PS4_PS7_PS2_
    .private_segment_fixed_size: 0
    .sgpr_count:     54
    .sgpr_spill_count: 0
    .symbol:         _ZN9rocsparseL38csr2bsr_block_per_row_multipass_kernelILj256ELj32EiilEEv20rocsparse_direction_T3_S2_S2_S2_S2_21rocsparse_index_base_PKT1_PKT2_PKS2_S3_PS4_PS7_PS2_.kd
    .uniform_work_group_size: 1
    .uses_dynamic_stack: false
    .vgpr_count:     50
    .vgpr_spill_count: 0
    .wavefront_size: 32
  - .args:
      - .offset:         0
        .size:           4
        .value_kind:     by_value
      - .offset:         8
        .size:           8
        .value_kind:     by_value
      - .offset:         16
        .size:           8
        .value_kind:     by_value
      - .offset:         24
        .size:           8
        .value_kind:     by_value
      - .offset:         32
        .size:           8
        .value_kind:     by_value
      - .offset:         40
        .size:           8
        .value_kind:     by_value
      - .offset:         48
        .size:           4
        .value_kind:     by_value
      - .actual_access:  read_only
        .address_space:  global
        .offset:         56
        .size:           8
        .value_kind:     global_buffer
      - .actual_access:  read_only
        .address_space:  global
        .offset:         64
        .size:           8
        .value_kind:     global_buffer
      - .actual_access:  read_only
        .address_space:  global
        .offset:         72
        .size:           8
        .value_kind:     global_buffer
      - .offset:         80
        .size:           4
        .value_kind:     by_value
      - .actual_access:  write_only
        .address_space:  global
        .offset:         88
        .size:           8
        .value_kind:     global_buffer
      - .actual_access:  read_only
        .address_space:  global
        .offset:         96
        .size:           8
        .value_kind:     global_buffer
      - .actual_access:  write_only
        .address_space:  global
        .offset:         104
        .size:           8
        .value_kind:     global_buffer
    .group_segment_fixed_size: 16388
    .kernarg_segment_align: 8
    .kernarg_segment_size: 112
    .language:       OpenCL C
    .language_version:
      - 2
      - 0
    .max_flat_workgroup_size: 256
    .name:           _ZN9rocsparseL38csr2bsr_block_per_row_multipass_kernelILj256ELj64EiilEEv20rocsparse_direction_T3_S2_S2_S2_S2_21rocsparse_index_base_PKT1_PKT2_PKS2_S3_PS4_PS7_PS2_
    .private_segment_fixed_size: 0
    .sgpr_count:     54
    .sgpr_spill_count: 0
    .symbol:         _ZN9rocsparseL38csr2bsr_block_per_row_multipass_kernelILj256ELj64EiilEEv20rocsparse_direction_T3_S2_S2_S2_S2_21rocsparse_index_base_PKT1_PKT2_PKS2_S3_PS4_PS7_PS2_.kd
    .uniform_work_group_size: 1
    .uses_dynamic_stack: false
    .vgpr_count:     50
    .vgpr_spill_count: 0
    .wavefront_size: 32
  - .args:
      - .offset:         0
        .size:           4
        .value_kind:     by_value
      - .offset:         8
        .size:           8
        .value_kind:     by_value
      - .offset:         16
        .size:           8
        .value_kind:     by_value
      - .offset:         24
        .size:           8
        .value_kind:     by_value
      - .offset:         32
        .size:           8
        .value_kind:     by_value
      - .offset:         40
        .size:           8
        .value_kind:     by_value
      - .offset:         48
        .size:           8
        .value_kind:     by_value
      - .offset:         56
        .size:           4
        .value_kind:     by_value
      - .actual_access:  read_only
        .address_space:  global
        .offset:         64
        .size:           8
        .value_kind:     global_buffer
      - .actual_access:  read_only
        .address_space:  global
        .offset:         72
        .size:           8
        .value_kind:     global_buffer
      - .actual_access:  read_only
        .address_space:  global
        .offset:         80
        .size:           8
        .value_kind:     global_buffer
      - .offset:         88
        .size:           4
        .value_kind:     by_value
      - .actual_access:  write_only
        .address_space:  global
        .offset:         96
        .size:           8
        .value_kind:     global_buffer
      - .actual_access:  read_only
        .address_space:  global
        .offset:         104
        .size:           8
        .value_kind:     global_buffer
      - .actual_access:  write_only
        .address_space:  global
        .offset:         112
        .size:           8
        .value_kind:     global_buffer
      - .address_space:  global
        .offset:         120
        .size:           8
        .value_kind:     global_buffer
      - .address_space:  global
        .offset:         128
        .size:           8
        .value_kind:     global_buffer
      - .address_space:  global
        .offset:         136
        .size:           8
        .value_kind:     global_buffer
    .group_segment_fixed_size: 0
    .kernarg_segment_align: 8
    .kernarg_segment_size: 144
    .language:       OpenCL C
    .language_version:
      - 2
      - 0
    .max_flat_workgroup_size: 32
    .name:           _ZN9rocsparseL21csr2bsr_65_inf_kernelILj32EiilEEv20rocsparse_direction_T2_S2_S2_S2_S2_S2_21rocsparse_index_base_PKT0_PKT1_PKS2_S3_PS4_PS7_PS2_SD_SE_SC_
    .private_segment_fixed_size: 0
    .sgpr_count:     54
    .sgpr_spill_count: 0
    .symbol:         _ZN9rocsparseL21csr2bsr_65_inf_kernelILj32EiilEEv20rocsparse_direction_T2_S2_S2_S2_S2_S2_21rocsparse_index_base_PKT0_PKT1_PKS2_S3_PS4_PS7_PS2_SD_SE_SC_.kd
    .uniform_work_group_size: 1
    .uses_dynamic_stack: false
    .vgpr_count:     56
    .vgpr_spill_count: 0
    .wavefront_size: 32
  - .args:
      - .offset:         0
        .size:           8
        .value_kind:     by_value
      - .offset:         8
        .size:           8
        .value_kind:     by_value
      - .offset:         16
        .size:           8
        .value_kind:     by_value
      - .offset:         24
        .size:           8
        .value_kind:     by_value
      - .offset:         32
        .size:           4
        .value_kind:     by_value
      - .address_space:  global
        .offset:         40
        .size:           8
        .value_kind:     global_buffer
      - .address_space:  global
        .offset:         48
        .size:           8
        .value_kind:     global_buffer
      - .address_space:  global
        .offset:         56
        .size:           8
        .value_kind:     global_buffer
      - .offset:         64
        .size:           4
        .value_kind:     by_value
      - .address_space:  global
        .offset:         72
        .size:           8
        .value_kind:     global_buffer
      - .address_space:  global
        .offset:         80
        .size:           8
        .value_kind:     global_buffer
      - .address_space:  global
        .offset:         88
        .size:           8
        .value_kind:     global_buffer
      - .offset:         96
        .size:           4
        .value_kind:     hidden_block_count_x
      - .offset:         100
        .size:           4
        .value_kind:     hidden_block_count_y
      - .offset:         104
        .size:           4
        .value_kind:     hidden_block_count_z
      - .offset:         108
        .size:           2
        .value_kind:     hidden_group_size_x
      - .offset:         110
        .size:           2
        .value_kind:     hidden_group_size_y
      - .offset:         112
        .size:           2
        .value_kind:     hidden_group_size_z
      - .offset:         114
        .size:           2
        .value_kind:     hidden_remainder_x
      - .offset:         116
        .size:           2
        .value_kind:     hidden_remainder_y
      - .offset:         118
        .size:           2
        .value_kind:     hidden_remainder_z
      - .offset:         136
        .size:           8
        .value_kind:     hidden_global_offset_x
      - .offset:         144
        .size:           8
        .value_kind:     hidden_global_offset_y
      - .offset:         152
        .size:           8
        .value_kind:     hidden_global_offset_z
      - .offset:         160
        .size:           2
        .value_kind:     hidden_grid_dims
    .group_segment_fixed_size: 0
    .kernarg_segment_align: 8
    .kernarg_segment_size: 352
    .language:       OpenCL C
    .language_version:
      - 2
      - 0
    .max_flat_workgroup_size: 256
    .name:           _ZN9rocsparseL35csr2bsr_block_dim_equals_one_kernelILj256EillEEvT2_S1_S1_S1_21rocsparse_index_base_PKT0_PKT1_PKS1_S2_PS3_PS6_PS1_
    .private_segment_fixed_size: 0
    .sgpr_count:     21
    .sgpr_spill_count: 0
    .symbol:         _ZN9rocsparseL35csr2bsr_block_dim_equals_one_kernelILj256EillEEvT2_S1_S1_S1_21rocsparse_index_base_PKT0_PKT1_PKS1_S2_PS3_PS6_PS1_.kd
    .uniform_work_group_size: 1
    .uses_dynamic_stack: false
    .vgpr_count:     13
    .vgpr_spill_count: 0
    .wavefront_size: 32
  - .args:
      - .offset:         0
        .size:           4
        .value_kind:     by_value
      - .offset:         8
        .size:           8
        .value_kind:     by_value
      - .offset:         16
        .size:           8
        .value_kind:     by_value
      - .offset:         24
        .size:           8
        .value_kind:     by_value
      - .offset:         32
        .size:           8
        .value_kind:     by_value
      - .offset:         40
        .size:           8
        .value_kind:     by_value
      - .offset:         48
        .size:           4
        .value_kind:     by_value
      - .actual_access:  read_only
        .address_space:  global
        .offset:         56
        .size:           8
        .value_kind:     global_buffer
      - .actual_access:  read_only
        .address_space:  global
        .offset:         64
        .size:           8
        .value_kind:     global_buffer
      - .actual_access:  read_only
        .address_space:  global
        .offset:         72
        .size:           8
        .value_kind:     global_buffer
      - .offset:         80
        .size:           4
        .value_kind:     by_value
      - .actual_access:  write_only
        .address_space:  global
        .offset:         88
        .size:           8
        .value_kind:     global_buffer
      - .actual_access:  read_only
        .address_space:  global
        .offset:         96
        .size:           8
        .value_kind:     global_buffer
      - .actual_access:  write_only
        .address_space:  global
        .offset:         104
        .size:           8
        .value_kind:     global_buffer
    .group_segment_fixed_size: 1040
    .kernarg_segment_align: 8
    .kernarg_segment_size: 112
    .language:       OpenCL C
    .language_version:
      - 2
      - 0
    .max_flat_workgroup_size: 256
    .name:           _ZN9rocsparseL42csr2bsr_wavefront_per_row_multipass_kernelILj256ELj16ELj4EillEEv20rocsparse_direction_T4_S2_S2_S2_S2_21rocsparse_index_base_PKT2_PKT3_PKS2_S3_PS4_PS7_PS2_
    .private_segment_fixed_size: 0
    .sgpr_count:     44
    .sgpr_spill_count: 0
    .symbol:         _ZN9rocsparseL42csr2bsr_wavefront_per_row_multipass_kernelILj256ELj16ELj4EillEEv20rocsparse_direction_T4_S2_S2_S2_S2_21rocsparse_index_base_PKT2_PKT3_PKS2_S3_PS4_PS7_PS2_.kd
    .uniform_work_group_size: 1
    .uses_dynamic_stack: false
    .vgpr_count:     52
    .vgpr_spill_count: 0
    .wavefront_size: 32
  - .args:
      - .offset:         0
        .size:           4
        .value_kind:     by_value
      - .offset:         8
        .size:           8
        .value_kind:     by_value
      - .offset:         16
        .size:           8
        .value_kind:     by_value
      - .offset:         24
        .size:           8
        .value_kind:     by_value
      - .offset:         32
        .size:           8
        .value_kind:     by_value
      - .offset:         40
        .size:           8
        .value_kind:     by_value
      - .offset:         48
        .size:           4
        .value_kind:     by_value
      - .actual_access:  read_only
        .address_space:  global
        .offset:         56
        .size:           8
        .value_kind:     global_buffer
      - .actual_access:  read_only
        .address_space:  global
        .offset:         64
        .size:           8
        .value_kind:     global_buffer
      - .actual_access:  read_only
        .address_space:  global
        .offset:         72
        .size:           8
        .value_kind:     global_buffer
      - .offset:         80
        .size:           4
        .value_kind:     by_value
      - .actual_access:  write_only
        .address_space:  global
        .offset:         88
        .size:           8
        .value_kind:     global_buffer
      - .actual_access:  read_only
        .address_space:  global
        .offset:         96
        .size:           8
        .value_kind:     global_buffer
      - .actual_access:  write_only
        .address_space:  global
        .offset:         104
        .size:           8
        .value_kind:     global_buffer
    .group_segment_fixed_size: 1028
    .kernarg_segment_align: 8
    .kernarg_segment_size: 112
    .language:       OpenCL C
    .language_version:
      - 2
      - 0
    .max_flat_workgroup_size: 256
    .name:           _ZN9rocsparseL42csr2bsr_wavefront_per_row_multipass_kernelILj256ELj64ELj8EillEEv20rocsparse_direction_T4_S2_S2_S2_S2_21rocsparse_index_base_PKT2_PKT3_PKS2_S3_PS4_PS7_PS2_
    .private_segment_fixed_size: 0
    .sgpr_count:     44
    .sgpr_spill_count: 0
    .symbol:         _ZN9rocsparseL42csr2bsr_wavefront_per_row_multipass_kernelILj256ELj64ELj8EillEEv20rocsparse_direction_T4_S2_S2_S2_S2_21rocsparse_index_base_PKT2_PKT3_PKS2_S3_PS4_PS7_PS2_.kd
    .uniform_work_group_size: 1
    .uses_dynamic_stack: false
    .vgpr_count:     54
    .vgpr_spill_count: 0
    .wavefront_size: 32
  - .args:
      - .offset:         0
        .size:           4
        .value_kind:     by_value
      - .offset:         8
        .size:           8
        .value_kind:     by_value
      - .offset:         16
        .size:           8
        .value_kind:     by_value
      - .offset:         24
        .size:           8
        .value_kind:     by_value
      - .offset:         32
        .size:           8
        .value_kind:     by_value
      - .offset:         40
        .size:           8
        .value_kind:     by_value
      - .offset:         48
        .size:           4
        .value_kind:     by_value
      - .actual_access:  read_only
        .address_space:  global
        .offset:         56
        .size:           8
        .value_kind:     global_buffer
      - .actual_access:  read_only
        .address_space:  global
        .offset:         64
        .size:           8
        .value_kind:     global_buffer
      - .actual_access:  read_only
        .address_space:  global
        .offset:         72
        .size:           8
        .value_kind:     global_buffer
      - .offset:         80
        .size:           4
        .value_kind:     by_value
      - .actual_access:  write_only
        .address_space:  global
        .offset:         88
        .size:           8
        .value_kind:     global_buffer
      - .actual_access:  read_only
        .address_space:  global
        .offset:         96
        .size:           8
        .value_kind:     global_buffer
      - .actual_access:  write_only
        .address_space:  global
        .offset:         104
        .size:           8
        .value_kind:     global_buffer
    .group_segment_fixed_size: 2056
    .kernarg_segment_align: 8
    .kernarg_segment_size: 112
    .language:       OpenCL C
    .language_version:
      - 2
      - 0
    .max_flat_workgroup_size: 256
    .name:           _ZN9rocsparseL42csr2bsr_wavefront_per_row_multipass_kernelILj256ELj32ELj8EillEEv20rocsparse_direction_T4_S2_S2_S2_S2_21rocsparse_index_base_PKT2_PKT3_PKS2_S3_PS4_PS7_PS2_
    .private_segment_fixed_size: 0
    .sgpr_count:     45
    .sgpr_spill_count: 0
    .symbol:         _ZN9rocsparseL42csr2bsr_wavefront_per_row_multipass_kernelILj256ELj32ELj8EillEEv20rocsparse_direction_T4_S2_S2_S2_S2_21rocsparse_index_base_PKT2_PKT3_PKS2_S3_PS4_PS7_PS2_.kd
    .uniform_work_group_size: 1
    .uses_dynamic_stack: false
    .vgpr_count:     58
    .vgpr_spill_count: 0
    .wavefront_size: 32
  - .args:
      - .offset:         0
        .size:           4
        .value_kind:     by_value
      - .offset:         8
        .size:           8
        .value_kind:     by_value
      - .offset:         16
        .size:           8
        .value_kind:     by_value
      - .offset:         24
        .size:           8
        .value_kind:     by_value
      - .offset:         32
        .size:           8
        .value_kind:     by_value
      - .offset:         40
        .size:           8
        .value_kind:     by_value
      - .offset:         48
        .size:           4
        .value_kind:     by_value
      - .actual_access:  read_only
        .address_space:  global
        .offset:         56
        .size:           8
        .value_kind:     global_buffer
      - .actual_access:  read_only
        .address_space:  global
        .offset:         64
        .size:           8
        .value_kind:     global_buffer
      - .actual_access:  read_only
        .address_space:  global
        .offset:         72
        .size:           8
        .value_kind:     global_buffer
      - .offset:         80
        .size:           4
        .value_kind:     by_value
      - .actual_access:  write_only
        .address_space:  global
        .offset:         88
        .size:           8
        .value_kind:     global_buffer
      - .actual_access:  read_only
        .address_space:  global
        .offset:         96
        .size:           8
        .value_kind:     global_buffer
      - .actual_access:  write_only
        .address_space:  global
        .offset:         104
        .size:           8
        .value_kind:     global_buffer
    .group_segment_fixed_size: 4100
    .kernarg_segment_align: 8
    .kernarg_segment_size: 112
    .language:       OpenCL C
    .language_version:
      - 2
      - 0
    .max_flat_workgroup_size: 256
    .name:           _ZN9rocsparseL42csr2bsr_wavefront_per_row_multipass_kernelILj256ELj64ELj16EillEEv20rocsparse_direction_T4_S2_S2_S2_S2_21rocsparse_index_base_PKT2_PKT3_PKS2_S3_PS4_PS7_PS2_
    .private_segment_fixed_size: 0
    .sgpr_count:     47
    .sgpr_spill_count: 0
    .symbol:         _ZN9rocsparseL42csr2bsr_wavefront_per_row_multipass_kernelILj256ELj64ELj16EillEEv20rocsparse_direction_T4_S2_S2_S2_S2_21rocsparse_index_base_PKT2_PKT3_PKS2_S3_PS4_PS7_PS2_.kd
    .uniform_work_group_size: 1
    .uses_dynamic_stack: false
    .vgpr_count:     62
    .vgpr_spill_count: 0
    .wavefront_size: 32
  - .args:
      - .offset:         0
        .size:           4
        .value_kind:     by_value
      - .offset:         8
        .size:           8
        .value_kind:     by_value
      - .offset:         16
        .size:           8
        .value_kind:     by_value
      - .offset:         24
        .size:           8
        .value_kind:     by_value
      - .offset:         32
        .size:           8
        .value_kind:     by_value
      - .offset:         40
        .size:           8
        .value_kind:     by_value
      - .offset:         48
        .size:           4
        .value_kind:     by_value
      - .actual_access:  read_only
        .address_space:  global
        .offset:         56
        .size:           8
        .value_kind:     global_buffer
      - .actual_access:  read_only
        .address_space:  global
        .offset:         64
        .size:           8
        .value_kind:     global_buffer
      - .actual_access:  read_only
        .address_space:  global
        .offset:         72
        .size:           8
        .value_kind:     global_buffer
      - .offset:         80
        .size:           4
        .value_kind:     by_value
      - .actual_access:  write_only
        .address_space:  global
        .offset:         88
        .size:           8
        .value_kind:     global_buffer
      - .actual_access:  read_only
        .address_space:  global
        .offset:         96
        .size:           8
        .value_kind:     global_buffer
      - .actual_access:  write_only
        .address_space:  global
        .offset:         104
        .size:           8
        .value_kind:     global_buffer
    .group_segment_fixed_size: 8200
    .kernarg_segment_align: 8
    .kernarg_segment_size: 112
    .language:       OpenCL C
    .language_version:
      - 2
      - 0
    .max_flat_workgroup_size: 256
    .name:           _ZN9rocsparseL42csr2bsr_wavefront_per_row_multipass_kernelILj256ELj32ELj16EillEEv20rocsparse_direction_T4_S2_S2_S2_S2_21rocsparse_index_base_PKT2_PKT3_PKS2_S3_PS4_PS7_PS2_
    .private_segment_fixed_size: 0
    .sgpr_count:     50
    .sgpr_spill_count: 0
    .symbol:         _ZN9rocsparseL42csr2bsr_wavefront_per_row_multipass_kernelILj256ELj32ELj16EillEEv20rocsparse_direction_T4_S2_S2_S2_S2_21rocsparse_index_base_PKT2_PKT3_PKS2_S3_PS4_PS7_PS2_.kd
    .uniform_work_group_size: 1
    .uses_dynamic_stack: false
    .vgpr_count:     68
    .vgpr_spill_count: 0
    .wavefront_size: 32
  - .args:
      - .offset:         0
        .size:           4
        .value_kind:     by_value
      - .offset:         8
        .size:           8
        .value_kind:     by_value
      - .offset:         16
        .size:           8
        .value_kind:     by_value
      - .offset:         24
        .size:           8
        .value_kind:     by_value
      - .offset:         32
        .size:           8
        .value_kind:     by_value
      - .offset:         40
        .size:           8
        .value_kind:     by_value
      - .offset:         48
        .size:           4
        .value_kind:     by_value
      - .actual_access:  read_only
        .address_space:  global
        .offset:         56
        .size:           8
        .value_kind:     global_buffer
      - .actual_access:  read_only
        .address_space:  global
        .offset:         64
        .size:           8
        .value_kind:     global_buffer
      - .actual_access:  read_only
        .address_space:  global
        .offset:         72
        .size:           8
        .value_kind:     global_buffer
      - .offset:         80
        .size:           4
        .value_kind:     by_value
      - .actual_access:  write_only
        .address_space:  global
        .offset:         88
        .size:           8
        .value_kind:     global_buffer
      - .actual_access:  read_only
        .address_space:  global
        .offset:         96
        .size:           8
        .value_kind:     global_buffer
      - .actual_access:  write_only
        .address_space:  global
        .offset:         104
        .size:           8
        .value_kind:     global_buffer
    .group_segment_fixed_size: 4100
    .kernarg_segment_align: 8
    .kernarg_segment_size: 112
    .language:       OpenCL C
    .language_version:
      - 2
      - 0
    .max_flat_workgroup_size: 256
    .name:           _ZN9rocsparseL38csr2bsr_block_per_row_multipass_kernelILj256ELj32EillEEv20rocsparse_direction_T3_S2_S2_S2_S2_21rocsparse_index_base_PKT1_PKT2_PKS2_S3_PS4_PS7_PS2_
    .private_segment_fixed_size: 0
    .sgpr_count:     56
    .sgpr_spill_count: 0
    .symbol:         _ZN9rocsparseL38csr2bsr_block_per_row_multipass_kernelILj256ELj32EillEEv20rocsparse_direction_T3_S2_S2_S2_S2_21rocsparse_index_base_PKT1_PKT2_PKS2_S3_PS4_PS7_PS2_.kd
    .uniform_work_group_size: 1
    .uses_dynamic_stack: false
    .vgpr_count:     56
    .vgpr_spill_count: 0
    .wavefront_size: 32
  - .args:
      - .offset:         0
        .size:           4
        .value_kind:     by_value
      - .offset:         8
        .size:           8
        .value_kind:     by_value
      - .offset:         16
        .size:           8
        .value_kind:     by_value
      - .offset:         24
        .size:           8
        .value_kind:     by_value
      - .offset:         32
        .size:           8
        .value_kind:     by_value
      - .offset:         40
        .size:           8
        .value_kind:     by_value
      - .offset:         48
        .size:           4
        .value_kind:     by_value
      - .actual_access:  read_only
        .address_space:  global
        .offset:         56
        .size:           8
        .value_kind:     global_buffer
      - .actual_access:  read_only
        .address_space:  global
        .offset:         64
        .size:           8
        .value_kind:     global_buffer
      - .actual_access:  read_only
        .address_space:  global
        .offset:         72
        .size:           8
        .value_kind:     global_buffer
      - .offset:         80
        .size:           4
        .value_kind:     by_value
      - .actual_access:  write_only
        .address_space:  global
        .offset:         88
        .size:           8
        .value_kind:     global_buffer
      - .actual_access:  read_only
        .address_space:  global
        .offset:         96
        .size:           8
        .value_kind:     global_buffer
      - .actual_access:  write_only
        .address_space:  global
        .offset:         104
        .size:           8
        .value_kind:     global_buffer
    .group_segment_fixed_size: 16388
    .kernarg_segment_align: 8
    .kernarg_segment_size: 112
    .language:       OpenCL C
    .language_version:
      - 2
      - 0
    .max_flat_workgroup_size: 256
    .name:           _ZN9rocsparseL38csr2bsr_block_per_row_multipass_kernelILj256ELj64EillEEv20rocsparse_direction_T3_S2_S2_S2_S2_21rocsparse_index_base_PKT1_PKT2_PKS2_S3_PS4_PS7_PS2_
    .private_segment_fixed_size: 0
    .sgpr_count:     56
    .sgpr_spill_count: 0
    .symbol:         _ZN9rocsparseL38csr2bsr_block_per_row_multipass_kernelILj256ELj64EillEEv20rocsparse_direction_T3_S2_S2_S2_S2_21rocsparse_index_base_PKT1_PKT2_PKS2_S3_PS4_PS7_PS2_.kd
    .uniform_work_group_size: 1
    .uses_dynamic_stack: false
    .vgpr_count:     54
    .vgpr_spill_count: 0
    .wavefront_size: 32
  - .args:
      - .offset:         0
        .size:           4
        .value_kind:     by_value
      - .offset:         8
        .size:           8
        .value_kind:     by_value
      - .offset:         16
        .size:           8
        .value_kind:     by_value
      - .offset:         24
        .size:           8
        .value_kind:     by_value
      - .offset:         32
        .size:           8
        .value_kind:     by_value
      - .offset:         40
        .size:           8
        .value_kind:     by_value
      - .offset:         48
        .size:           8
        .value_kind:     by_value
      - .offset:         56
        .size:           4
        .value_kind:     by_value
      - .actual_access:  read_only
        .address_space:  global
        .offset:         64
        .size:           8
        .value_kind:     global_buffer
      - .actual_access:  read_only
        .address_space:  global
        .offset:         72
        .size:           8
        .value_kind:     global_buffer
      - .actual_access:  read_only
        .address_space:  global
        .offset:         80
        .size:           8
        .value_kind:     global_buffer
      - .offset:         88
        .size:           4
        .value_kind:     by_value
      - .actual_access:  write_only
        .address_space:  global
        .offset:         96
        .size:           8
        .value_kind:     global_buffer
      - .actual_access:  read_only
        .address_space:  global
        .offset:         104
        .size:           8
        .value_kind:     global_buffer
      - .actual_access:  write_only
        .address_space:  global
        .offset:         112
        .size:           8
        .value_kind:     global_buffer
      - .address_space:  global
        .offset:         120
        .size:           8
        .value_kind:     global_buffer
      - .address_space:  global
        .offset:         128
        .size:           8
        .value_kind:     global_buffer
      - .address_space:  global
        .offset:         136
        .size:           8
        .value_kind:     global_buffer
    .group_segment_fixed_size: 0
    .kernarg_segment_align: 8
    .kernarg_segment_size: 144
    .language:       OpenCL C
    .language_version:
      - 2
      - 0
    .max_flat_workgroup_size: 32
    .name:           _ZN9rocsparseL21csr2bsr_65_inf_kernelILj32EillEEv20rocsparse_direction_T2_S2_S2_S2_S2_S2_21rocsparse_index_base_PKT0_PKT1_PKS2_S3_PS4_PS7_PS2_SD_SE_SC_
    .private_segment_fixed_size: 0
    .sgpr_count:     54
    .sgpr_spill_count: 0
    .symbol:         _ZN9rocsparseL21csr2bsr_65_inf_kernelILj32EillEEv20rocsparse_direction_T2_S2_S2_S2_S2_S2_21rocsparse_index_base_PKT0_PKT1_PKS2_S3_PS4_PS7_PS2_SD_SE_SC_.kd
    .uniform_work_group_size: 1
    .uses_dynamic_stack: false
    .vgpr_count:     56
    .vgpr_spill_count: 0
    .wavefront_size: 32
  - .args:
      - .offset:         0
        .size:           4
        .value_kind:     by_value
      - .offset:         4
        .size:           4
        .value_kind:     by_value
      - .offset:         8
        .size:           4
        .value_kind:     by_value
      - .offset:         12
        .size:           4
        .value_kind:     by_value
      - .offset:         16
        .size:           4
        .value_kind:     by_value
      - .address_space:  global
        .offset:         24
        .size:           8
        .value_kind:     global_buffer
      - .address_space:  global
        .offset:         32
        .size:           8
        .value_kind:     global_buffer
      - .address_space:  global
        .offset:         40
        .size:           8
        .value_kind:     global_buffer
      - .offset:         48
        .size:           4
        .value_kind:     by_value
      - .address_space:  global
        .offset:         56
        .size:           8
        .value_kind:     global_buffer
      - .address_space:  global
        .offset:         64
        .size:           8
        .value_kind:     global_buffer
      - .address_space:  global
        .offset:         72
        .size:           8
        .value_kind:     global_buffer
      - .offset:         80
        .size:           4
        .value_kind:     hidden_block_count_x
      - .offset:         84
        .size:           4
        .value_kind:     hidden_block_count_y
      - .offset:         88
        .size:           4
        .value_kind:     hidden_block_count_z
      - .offset:         92
        .size:           2
        .value_kind:     hidden_group_size_x
      - .offset:         94
        .size:           2
        .value_kind:     hidden_group_size_y
      - .offset:         96
        .size:           2
        .value_kind:     hidden_group_size_z
      - .offset:         98
        .size:           2
        .value_kind:     hidden_remainder_x
      - .offset:         100
        .size:           2
        .value_kind:     hidden_remainder_y
      - .offset:         102
        .size:           2
        .value_kind:     hidden_remainder_z
      - .offset:         120
        .size:           8
        .value_kind:     hidden_global_offset_x
      - .offset:         128
        .size:           8
        .value_kind:     hidden_global_offset_y
      - .offset:         136
        .size:           8
        .value_kind:     hidden_global_offset_z
      - .offset:         144
        .size:           2
        .value_kind:     hidden_grid_dims
    .group_segment_fixed_size: 0
    .kernarg_segment_align: 8
    .kernarg_segment_size: 336
    .language:       OpenCL C
    .language_version:
      - 2
      - 0
    .max_flat_workgroup_size: 256
    .name:           _ZN9rocsparseL35csr2bsr_block_dim_equals_one_kernelILj256EfiiEEvT2_S1_S1_S1_21rocsparse_index_base_PKT0_PKT1_PKS1_S2_PS3_PS6_PS1_
    .private_segment_fixed_size: 0
    .sgpr_count:     17
    .sgpr_spill_count: 0
    .symbol:         _ZN9rocsparseL35csr2bsr_block_dim_equals_one_kernelILj256EfiiEEvT2_S1_S1_S1_21rocsparse_index_base_PKT0_PKT1_PKS1_S2_PS3_PS6_PS1_.kd
    .uniform_work_group_size: 1
    .uses_dynamic_stack: false
    .vgpr_count:     3
    .vgpr_spill_count: 0
    .wavefront_size: 32
  - .args:
      - .offset:         0
        .size:           4
        .value_kind:     by_value
      - .offset:         4
        .size:           4
        .value_kind:     by_value
      - .offset:         8
        .size:           4
        .value_kind:     by_value
      - .offset:         12
        .size:           4
        .value_kind:     by_value
      - .offset:         16
        .size:           4
        .value_kind:     by_value
      - .offset:         20
        .size:           4
        .value_kind:     by_value
      - .offset:         24
        .size:           4
        .value_kind:     by_value
      - .actual_access:  read_only
        .address_space:  global
        .offset:         32
        .size:           8
        .value_kind:     global_buffer
      - .actual_access:  read_only
        .address_space:  global
        .offset:         40
        .size:           8
        .value_kind:     global_buffer
      - .actual_access:  read_only
        .address_space:  global
        .offset:         48
        .size:           8
        .value_kind:     global_buffer
      - .offset:         56
        .size:           4
        .value_kind:     by_value
      - .actual_access:  write_only
        .address_space:  global
        .offset:         64
        .size:           8
        .value_kind:     global_buffer
      - .actual_access:  read_only
        .address_space:  global
        .offset:         72
        .size:           8
        .value_kind:     global_buffer
      - .actual_access:  write_only
        .address_space:  global
        .offset:         80
        .size:           8
        .value_kind:     global_buffer
    .group_segment_fixed_size: 1040
    .kernarg_segment_align: 8
    .kernarg_segment_size: 88
    .language:       OpenCL C
    .language_version:
      - 2
      - 0
    .max_flat_workgroup_size: 256
    .name:           _ZN9rocsparseL42csr2bsr_wavefront_per_row_multipass_kernelILj256ELj16ELj4EfiiEEv20rocsparse_direction_T4_S2_S2_S2_S2_21rocsparse_index_base_PKT2_PKT3_PKS2_S3_PS4_PS7_PS2_
    .private_segment_fixed_size: 0
    .sgpr_count:     25
    .sgpr_spill_count: 0
    .symbol:         _ZN9rocsparseL42csr2bsr_wavefront_per_row_multipass_kernelILj256ELj16ELj4EfiiEEv20rocsparse_direction_T4_S2_S2_S2_S2_21rocsparse_index_base_PKT2_PKT3_PKS2_S3_PS4_PS7_PS2_.kd
    .uniform_work_group_size: 1
    .uses_dynamic_stack: false
    .vgpr_count:     28
    .vgpr_spill_count: 0
    .wavefront_size: 32
  - .args:
      - .offset:         0
        .size:           4
        .value_kind:     by_value
      - .offset:         4
        .size:           4
        .value_kind:     by_value
      - .offset:         8
        .size:           4
        .value_kind:     by_value
      - .offset:         12
        .size:           4
        .value_kind:     by_value
      - .offset:         16
        .size:           4
        .value_kind:     by_value
      - .offset:         20
        .size:           4
        .value_kind:     by_value
      - .offset:         24
        .size:           4
        .value_kind:     by_value
      - .actual_access:  read_only
        .address_space:  global
        .offset:         32
        .size:           8
        .value_kind:     global_buffer
      - .actual_access:  read_only
        .address_space:  global
        .offset:         40
        .size:           8
        .value_kind:     global_buffer
      - .actual_access:  read_only
        .address_space:  global
        .offset:         48
        .size:           8
        .value_kind:     global_buffer
      - .offset:         56
        .size:           4
        .value_kind:     by_value
      - .actual_access:  write_only
        .address_space:  global
        .offset:         64
        .size:           8
        .value_kind:     global_buffer
      - .actual_access:  read_only
        .address_space:  global
        .offset:         72
        .size:           8
        .value_kind:     global_buffer
      - .actual_access:  write_only
        .address_space:  global
        .offset:         80
        .size:           8
        .value_kind:     global_buffer
    .group_segment_fixed_size: 1028
    .kernarg_segment_align: 8
    .kernarg_segment_size: 88
    .language:       OpenCL C
    .language_version:
      - 2
      - 0
    .max_flat_workgroup_size: 256
    .name:           _ZN9rocsparseL42csr2bsr_wavefront_per_row_multipass_kernelILj256ELj64ELj8EfiiEEv20rocsparse_direction_T4_S2_S2_S2_S2_21rocsparse_index_base_PKT2_PKT3_PKS2_S3_PS4_PS7_PS2_
    .private_segment_fixed_size: 0
    .sgpr_count:     25
    .sgpr_spill_count: 0
    .symbol:         _ZN9rocsparseL42csr2bsr_wavefront_per_row_multipass_kernelILj256ELj64ELj8EfiiEEv20rocsparse_direction_T4_S2_S2_S2_S2_21rocsparse_index_base_PKT2_PKT3_PKS2_S3_PS4_PS7_PS2_.kd
    .uniform_work_group_size: 1
    .uses_dynamic_stack: false
    .vgpr_count:     30
    .vgpr_spill_count: 0
    .wavefront_size: 32
  - .args:
      - .offset:         0
        .size:           4
        .value_kind:     by_value
      - .offset:         4
        .size:           4
        .value_kind:     by_value
      - .offset:         8
        .size:           4
        .value_kind:     by_value
      - .offset:         12
        .size:           4
        .value_kind:     by_value
      - .offset:         16
        .size:           4
        .value_kind:     by_value
      - .offset:         20
        .size:           4
        .value_kind:     by_value
      - .offset:         24
        .size:           4
        .value_kind:     by_value
      - .actual_access:  read_only
        .address_space:  global
        .offset:         32
        .size:           8
        .value_kind:     global_buffer
      - .actual_access:  read_only
        .address_space:  global
        .offset:         40
        .size:           8
        .value_kind:     global_buffer
      - .actual_access:  read_only
        .address_space:  global
        .offset:         48
        .size:           8
        .value_kind:     global_buffer
      - .offset:         56
        .size:           4
        .value_kind:     by_value
      - .actual_access:  write_only
        .address_space:  global
        .offset:         64
        .size:           8
        .value_kind:     global_buffer
      - .actual_access:  read_only
        .address_space:  global
        .offset:         72
        .size:           8
        .value_kind:     global_buffer
      - .actual_access:  write_only
        .address_space:  global
        .offset:         80
        .size:           8
        .value_kind:     global_buffer
    .group_segment_fixed_size: 2056
    .kernarg_segment_align: 8
    .kernarg_segment_size: 88
    .language:       OpenCL C
    .language_version:
      - 2
      - 0
    .max_flat_workgroup_size: 256
    .name:           _ZN9rocsparseL42csr2bsr_wavefront_per_row_multipass_kernelILj256ELj32ELj8EfiiEEv20rocsparse_direction_T4_S2_S2_S2_S2_21rocsparse_index_base_PKT2_PKT3_PKS2_S3_PS4_PS7_PS2_
    .private_segment_fixed_size: 0
    .sgpr_count:     26
    .sgpr_spill_count: 0
    .symbol:         _ZN9rocsparseL42csr2bsr_wavefront_per_row_multipass_kernelILj256ELj32ELj8EfiiEEv20rocsparse_direction_T4_S2_S2_S2_S2_21rocsparse_index_base_PKT2_PKT3_PKS2_S3_PS4_PS7_PS2_.kd
    .uniform_work_group_size: 1
    .uses_dynamic_stack: false
    .vgpr_count:     34
    .vgpr_spill_count: 0
    .wavefront_size: 32
  - .args:
      - .offset:         0
        .size:           4
        .value_kind:     by_value
      - .offset:         4
        .size:           4
        .value_kind:     by_value
      - .offset:         8
        .size:           4
        .value_kind:     by_value
      - .offset:         12
        .size:           4
        .value_kind:     by_value
      - .offset:         16
        .size:           4
        .value_kind:     by_value
      - .offset:         20
        .size:           4
        .value_kind:     by_value
      - .offset:         24
        .size:           4
        .value_kind:     by_value
      - .actual_access:  read_only
        .address_space:  global
        .offset:         32
        .size:           8
        .value_kind:     global_buffer
      - .actual_access:  read_only
        .address_space:  global
        .offset:         40
        .size:           8
        .value_kind:     global_buffer
      - .actual_access:  read_only
        .address_space:  global
        .offset:         48
        .size:           8
        .value_kind:     global_buffer
      - .offset:         56
        .size:           4
        .value_kind:     by_value
      - .actual_access:  write_only
        .address_space:  global
        .offset:         64
        .size:           8
        .value_kind:     global_buffer
      - .actual_access:  read_only
        .address_space:  global
        .offset:         72
        .size:           8
        .value_kind:     global_buffer
      - .actual_access:  write_only
        .address_space:  global
        .offset:         80
        .size:           8
        .value_kind:     global_buffer
    .group_segment_fixed_size: 4100
    .kernarg_segment_align: 8
    .kernarg_segment_size: 88
    .language:       OpenCL C
    .language_version:
      - 2
      - 0
    .max_flat_workgroup_size: 256
    .name:           _ZN9rocsparseL42csr2bsr_wavefront_per_row_multipass_kernelILj256ELj64ELj16EfiiEEv20rocsparse_direction_T4_S2_S2_S2_S2_21rocsparse_index_base_PKT2_PKT3_PKS2_S3_PS4_PS7_PS2_
    .private_segment_fixed_size: 0
    .sgpr_count:     28
    .sgpr_spill_count: 0
    .symbol:         _ZN9rocsparseL42csr2bsr_wavefront_per_row_multipass_kernelILj256ELj64ELj16EfiiEEv20rocsparse_direction_T4_S2_S2_S2_S2_21rocsparse_index_base_PKT2_PKT3_PKS2_S3_PS4_PS7_PS2_.kd
    .uniform_work_group_size: 1
    .uses_dynamic_stack: false
    .vgpr_count:     40
    .vgpr_spill_count: 0
    .wavefront_size: 32
  - .args:
      - .offset:         0
        .size:           4
        .value_kind:     by_value
      - .offset:         4
        .size:           4
        .value_kind:     by_value
      - .offset:         8
        .size:           4
        .value_kind:     by_value
      - .offset:         12
        .size:           4
        .value_kind:     by_value
      - .offset:         16
        .size:           4
        .value_kind:     by_value
      - .offset:         20
        .size:           4
        .value_kind:     by_value
      - .offset:         24
        .size:           4
        .value_kind:     by_value
      - .actual_access:  read_only
        .address_space:  global
        .offset:         32
        .size:           8
        .value_kind:     global_buffer
      - .actual_access:  read_only
        .address_space:  global
        .offset:         40
        .size:           8
        .value_kind:     global_buffer
      - .actual_access:  read_only
        .address_space:  global
        .offset:         48
        .size:           8
        .value_kind:     global_buffer
      - .offset:         56
        .size:           4
        .value_kind:     by_value
      - .actual_access:  write_only
        .address_space:  global
        .offset:         64
        .size:           8
        .value_kind:     global_buffer
      - .actual_access:  read_only
        .address_space:  global
        .offset:         72
        .size:           8
        .value_kind:     global_buffer
      - .actual_access:  write_only
        .address_space:  global
        .offset:         80
        .size:           8
        .value_kind:     global_buffer
    .group_segment_fixed_size: 8200
    .kernarg_segment_align: 8
    .kernarg_segment_size: 88
    .language:       OpenCL C
    .language_version:
      - 2
      - 0
    .max_flat_workgroup_size: 256
    .name:           _ZN9rocsparseL42csr2bsr_wavefront_per_row_multipass_kernelILj256ELj32ELj16EfiiEEv20rocsparse_direction_T4_S2_S2_S2_S2_21rocsparse_index_base_PKT2_PKT3_PKS2_S3_PS4_PS7_PS2_
    .private_segment_fixed_size: 0
    .sgpr_count:     32
    .sgpr_spill_count: 0
    .symbol:         _ZN9rocsparseL42csr2bsr_wavefront_per_row_multipass_kernelILj256ELj32ELj16EfiiEEv20rocsparse_direction_T4_S2_S2_S2_S2_21rocsparse_index_base_PKT2_PKT3_PKS2_S3_PS4_PS7_PS2_.kd
    .uniform_work_group_size: 1
    .uses_dynamic_stack: false
    .vgpr_count:     48
    .vgpr_spill_count: 0
    .wavefront_size: 32
  - .args:
      - .offset:         0
        .size:           4
        .value_kind:     by_value
      - .offset:         4
        .size:           4
        .value_kind:     by_value
      - .offset:         8
        .size:           4
        .value_kind:     by_value
      - .offset:         12
        .size:           4
        .value_kind:     by_value
      - .offset:         16
        .size:           4
        .value_kind:     by_value
      - .offset:         20
        .size:           4
        .value_kind:     by_value
      - .offset:         24
        .size:           4
        .value_kind:     by_value
      - .actual_access:  read_only
        .address_space:  global
        .offset:         32
        .size:           8
        .value_kind:     global_buffer
      - .actual_access:  read_only
        .address_space:  global
        .offset:         40
        .size:           8
        .value_kind:     global_buffer
      - .actual_access:  read_only
        .address_space:  global
        .offset:         48
        .size:           8
        .value_kind:     global_buffer
      - .offset:         56
        .size:           4
        .value_kind:     by_value
      - .actual_access:  write_only
        .address_space:  global
        .offset:         64
        .size:           8
        .value_kind:     global_buffer
      - .actual_access:  read_only
        .address_space:  global
        .offset:         72
        .size:           8
        .value_kind:     global_buffer
      - .actual_access:  write_only
        .address_space:  global
        .offset:         80
        .size:           8
        .value_kind:     global_buffer
    .group_segment_fixed_size: 4100
    .kernarg_segment_align: 8
    .kernarg_segment_size: 88
    .language:       OpenCL C
    .language_version:
      - 2
      - 0
    .max_flat_workgroup_size: 256
    .name:           _ZN9rocsparseL38csr2bsr_block_per_row_multipass_kernelILj256ELj32EfiiEEv20rocsparse_direction_T3_S2_S2_S2_S2_21rocsparse_index_base_PKT1_PKT2_PKS2_S3_PS4_PS7_PS2_
    .private_segment_fixed_size: 0
    .sgpr_count:     38
    .sgpr_spill_count: 0
    .symbol:         _ZN9rocsparseL38csr2bsr_block_per_row_multipass_kernelILj256ELj32EfiiEEv20rocsparse_direction_T3_S2_S2_S2_S2_21rocsparse_index_base_PKT1_PKT2_PKS2_S3_PS4_PS7_PS2_.kd
    .uniform_work_group_size: 1
    .uses_dynamic_stack: false
    .vgpr_count:     33
    .vgpr_spill_count: 0
    .wavefront_size: 32
  - .args:
      - .offset:         0
        .size:           4
        .value_kind:     by_value
      - .offset:         4
        .size:           4
        .value_kind:     by_value
      - .offset:         8
        .size:           4
        .value_kind:     by_value
      - .offset:         12
        .size:           4
        .value_kind:     by_value
      - .offset:         16
        .size:           4
        .value_kind:     by_value
      - .offset:         20
        .size:           4
        .value_kind:     by_value
      - .offset:         24
        .size:           4
        .value_kind:     by_value
      - .actual_access:  read_only
        .address_space:  global
        .offset:         32
        .size:           8
        .value_kind:     global_buffer
      - .actual_access:  read_only
        .address_space:  global
        .offset:         40
        .size:           8
        .value_kind:     global_buffer
      - .actual_access:  read_only
        .address_space:  global
        .offset:         48
        .size:           8
        .value_kind:     global_buffer
      - .offset:         56
        .size:           4
        .value_kind:     by_value
      - .actual_access:  write_only
        .address_space:  global
        .offset:         64
        .size:           8
        .value_kind:     global_buffer
      - .actual_access:  read_only
        .address_space:  global
        .offset:         72
        .size:           8
        .value_kind:     global_buffer
      - .actual_access:  write_only
        .address_space:  global
        .offset:         80
        .size:           8
        .value_kind:     global_buffer
    .group_segment_fixed_size: 16388
    .kernarg_segment_align: 8
    .kernarg_segment_size: 88
    .language:       OpenCL C
    .language_version:
      - 2
      - 0
    .max_flat_workgroup_size: 256
    .name:           _ZN9rocsparseL38csr2bsr_block_per_row_multipass_kernelILj256ELj64EfiiEEv20rocsparse_direction_T3_S2_S2_S2_S2_21rocsparse_index_base_PKT1_PKT2_PKS2_S3_PS4_PS7_PS2_
    .private_segment_fixed_size: 0
    .sgpr_count:     50
    .sgpr_spill_count: 0
    .symbol:         _ZN9rocsparseL38csr2bsr_block_per_row_multipass_kernelILj256ELj64EfiiEEv20rocsparse_direction_T3_S2_S2_S2_S2_21rocsparse_index_base_PKT1_PKT2_PKS2_S3_PS4_PS7_PS2_.kd
    .uniform_work_group_size: 1
    .uses_dynamic_stack: false
    .vgpr_count:     56
    .vgpr_spill_count: 0
    .wavefront_size: 32
  - .args:
      - .offset:         0
        .size:           4
        .value_kind:     by_value
      - .offset:         4
        .size:           4
        .value_kind:     by_value
      - .offset:         8
        .size:           4
        .value_kind:     by_value
      - .offset:         12
        .size:           4
        .value_kind:     by_value
      - .offset:         16
        .size:           4
        .value_kind:     by_value
      - .offset:         20
        .size:           4
        .value_kind:     by_value
      - .offset:         24
        .size:           4
        .value_kind:     by_value
      - .offset:         28
        .size:           4
        .value_kind:     by_value
      - .actual_access:  read_only
        .address_space:  global
        .offset:         32
        .size:           8
        .value_kind:     global_buffer
      - .actual_access:  read_only
        .address_space:  global
        .offset:         40
        .size:           8
        .value_kind:     global_buffer
      - .actual_access:  read_only
        .address_space:  global
        .offset:         48
        .size:           8
        .value_kind:     global_buffer
      - .offset:         56
        .size:           4
        .value_kind:     by_value
      - .actual_access:  write_only
        .address_space:  global
        .offset:         64
        .size:           8
        .value_kind:     global_buffer
      - .actual_access:  read_only
        .address_space:  global
        .offset:         72
        .size:           8
        .value_kind:     global_buffer
      - .actual_access:  write_only
        .address_space:  global
        .offset:         80
        .size:           8
        .value_kind:     global_buffer
      - .address_space:  global
        .offset:         88
        .size:           8
        .value_kind:     global_buffer
      - .address_space:  global
        .offset:         96
        .size:           8
        .value_kind:     global_buffer
      - .address_space:  global
        .offset:         104
        .size:           8
        .value_kind:     global_buffer
    .group_segment_fixed_size: 0
    .kernarg_segment_align: 8
    .kernarg_segment_size: 112
    .language:       OpenCL C
    .language_version:
      - 2
      - 0
    .max_flat_workgroup_size: 32
    .name:           _ZN9rocsparseL21csr2bsr_65_inf_kernelILj32EfiiEEv20rocsparse_direction_T2_S2_S2_S2_S2_S2_21rocsparse_index_base_PKT0_PKT1_PKS2_S3_PS4_PS7_PS2_SD_SE_SC_
    .private_segment_fixed_size: 0
    .sgpr_count:     38
    .sgpr_spill_count: 0
    .symbol:         _ZN9rocsparseL21csr2bsr_65_inf_kernelILj32EfiiEEv20rocsparse_direction_T2_S2_S2_S2_S2_S2_21rocsparse_index_base_PKT0_PKT1_PKS2_S3_PS4_PS7_PS2_SD_SE_SC_.kd
    .uniform_work_group_size: 1
    .uses_dynamic_stack: false
    .vgpr_count:     38
    .vgpr_spill_count: 0
    .wavefront_size: 32
  - .args:
      - .offset:         0
        .size:           4
        .value_kind:     by_value
      - .offset:         4
        .size:           4
        .value_kind:     by_value
      - .offset:         8
        .size:           4
        .value_kind:     by_value
      - .offset:         12
        .size:           4
        .value_kind:     by_value
      - .offset:         16
        .size:           4
        .value_kind:     by_value
      - .address_space:  global
        .offset:         24
        .size:           8
        .value_kind:     global_buffer
      - .address_space:  global
        .offset:         32
        .size:           8
        .value_kind:     global_buffer
      - .address_space:  global
        .offset:         40
        .size:           8
        .value_kind:     global_buffer
      - .offset:         48
        .size:           4
        .value_kind:     by_value
      - .address_space:  global
        .offset:         56
        .size:           8
        .value_kind:     global_buffer
      - .address_space:  global
        .offset:         64
        .size:           8
        .value_kind:     global_buffer
      - .address_space:  global
        .offset:         72
        .size:           8
        .value_kind:     global_buffer
      - .offset:         80
        .size:           4
        .value_kind:     hidden_block_count_x
      - .offset:         84
        .size:           4
        .value_kind:     hidden_block_count_y
      - .offset:         88
        .size:           4
        .value_kind:     hidden_block_count_z
      - .offset:         92
        .size:           2
        .value_kind:     hidden_group_size_x
      - .offset:         94
        .size:           2
        .value_kind:     hidden_group_size_y
      - .offset:         96
        .size:           2
        .value_kind:     hidden_group_size_z
      - .offset:         98
        .size:           2
        .value_kind:     hidden_remainder_x
      - .offset:         100
        .size:           2
        .value_kind:     hidden_remainder_y
      - .offset:         102
        .size:           2
        .value_kind:     hidden_remainder_z
      - .offset:         120
        .size:           8
        .value_kind:     hidden_global_offset_x
      - .offset:         128
        .size:           8
        .value_kind:     hidden_global_offset_y
      - .offset:         136
        .size:           8
        .value_kind:     hidden_global_offset_z
      - .offset:         144
        .size:           2
        .value_kind:     hidden_grid_dims
    .group_segment_fixed_size: 0
    .kernarg_segment_align: 8
    .kernarg_segment_size: 336
    .language:       OpenCL C
    .language_version:
      - 2
      - 0
    .max_flat_workgroup_size: 256
    .name:           _ZN9rocsparseL35csr2bsr_block_dim_equals_one_kernelILj256EfliEEvT2_S1_S1_S1_21rocsparse_index_base_PKT0_PKT1_PKS1_S2_PS3_PS6_PS1_
    .private_segment_fixed_size: 0
    .sgpr_count:     20
    .sgpr_spill_count: 0
    .symbol:         _ZN9rocsparseL35csr2bsr_block_dim_equals_one_kernelILj256EfliEEvT2_S1_S1_S1_21rocsparse_index_base_PKT0_PKT1_PKS1_S2_PS3_PS6_PS1_.kd
    .uniform_work_group_size: 1
    .uses_dynamic_stack: false
    .vgpr_count:     10
    .vgpr_spill_count: 0
    .wavefront_size: 32
  - .args:
      - .offset:         0
        .size:           4
        .value_kind:     by_value
      - .offset:         4
        .size:           4
        .value_kind:     by_value
      - .offset:         8
        .size:           4
        .value_kind:     by_value
      - .offset:         12
        .size:           4
        .value_kind:     by_value
      - .offset:         16
        .size:           4
        .value_kind:     by_value
      - .offset:         20
        .size:           4
        .value_kind:     by_value
      - .offset:         24
        .size:           4
        .value_kind:     by_value
      - .actual_access:  read_only
        .address_space:  global
        .offset:         32
        .size:           8
        .value_kind:     global_buffer
      - .actual_access:  read_only
        .address_space:  global
        .offset:         40
        .size:           8
        .value_kind:     global_buffer
      - .actual_access:  read_only
        .address_space:  global
        .offset:         48
        .size:           8
        .value_kind:     global_buffer
      - .offset:         56
        .size:           4
        .value_kind:     by_value
      - .actual_access:  write_only
        .address_space:  global
        .offset:         64
        .size:           8
        .value_kind:     global_buffer
      - .actual_access:  read_only
        .address_space:  global
        .offset:         72
        .size:           8
        .value_kind:     global_buffer
      - .actual_access:  write_only
        .address_space:  global
        .offset:         80
        .size:           8
        .value_kind:     global_buffer
    .group_segment_fixed_size: 1040
    .kernarg_segment_align: 8
    .kernarg_segment_size: 88
    .language:       OpenCL C
    .language_version:
      - 2
      - 0
    .max_flat_workgroup_size: 256
    .name:           _ZN9rocsparseL42csr2bsr_wavefront_per_row_multipass_kernelILj256ELj16ELj4EfliEEv20rocsparse_direction_T4_S2_S2_S2_S2_21rocsparse_index_base_PKT2_PKT3_PKS2_S3_PS4_PS7_PS2_
    .private_segment_fixed_size: 0
    .sgpr_count:     25
    .sgpr_spill_count: 0
    .symbol:         _ZN9rocsparseL42csr2bsr_wavefront_per_row_multipass_kernelILj256ELj16ELj4EfliEEv20rocsparse_direction_T4_S2_S2_S2_S2_21rocsparse_index_base_PKT2_PKT3_PKS2_S3_PS4_PS7_PS2_.kd
    .uniform_work_group_size: 1
    .uses_dynamic_stack: false
    .vgpr_count:     38
    .vgpr_spill_count: 0
    .wavefront_size: 32
  - .args:
      - .offset:         0
        .size:           4
        .value_kind:     by_value
      - .offset:         4
        .size:           4
        .value_kind:     by_value
      - .offset:         8
        .size:           4
        .value_kind:     by_value
      - .offset:         12
        .size:           4
        .value_kind:     by_value
      - .offset:         16
        .size:           4
        .value_kind:     by_value
      - .offset:         20
        .size:           4
        .value_kind:     by_value
      - .offset:         24
        .size:           4
        .value_kind:     by_value
      - .actual_access:  read_only
        .address_space:  global
        .offset:         32
        .size:           8
        .value_kind:     global_buffer
      - .actual_access:  read_only
        .address_space:  global
        .offset:         40
        .size:           8
        .value_kind:     global_buffer
      - .actual_access:  read_only
        .address_space:  global
        .offset:         48
        .size:           8
        .value_kind:     global_buffer
      - .offset:         56
        .size:           4
        .value_kind:     by_value
      - .actual_access:  write_only
        .address_space:  global
        .offset:         64
        .size:           8
        .value_kind:     global_buffer
      - .actual_access:  read_only
        .address_space:  global
        .offset:         72
        .size:           8
        .value_kind:     global_buffer
      - .actual_access:  write_only
        .address_space:  global
        .offset:         80
        .size:           8
        .value_kind:     global_buffer
    .group_segment_fixed_size: 1028
    .kernarg_segment_align: 8
    .kernarg_segment_size: 88
    .language:       OpenCL C
    .language_version:
      - 2
      - 0
    .max_flat_workgroup_size: 256
    .name:           _ZN9rocsparseL42csr2bsr_wavefront_per_row_multipass_kernelILj256ELj64ELj8EfliEEv20rocsparse_direction_T4_S2_S2_S2_S2_21rocsparse_index_base_PKT2_PKT3_PKS2_S3_PS4_PS7_PS2_
    .private_segment_fixed_size: 0
    .sgpr_count:     25
    .sgpr_spill_count: 0
    .symbol:         _ZN9rocsparseL42csr2bsr_wavefront_per_row_multipass_kernelILj256ELj64ELj8EfliEEv20rocsparse_direction_T4_S2_S2_S2_S2_21rocsparse_index_base_PKT2_PKT3_PKS2_S3_PS4_PS7_PS2_.kd
    .uniform_work_group_size: 1
    .uses_dynamic_stack: false
    .vgpr_count:     40
    .vgpr_spill_count: 0
    .wavefront_size: 32
  - .args:
      - .offset:         0
        .size:           4
        .value_kind:     by_value
      - .offset:         4
        .size:           4
        .value_kind:     by_value
      - .offset:         8
        .size:           4
        .value_kind:     by_value
      - .offset:         12
        .size:           4
        .value_kind:     by_value
      - .offset:         16
        .size:           4
        .value_kind:     by_value
      - .offset:         20
        .size:           4
        .value_kind:     by_value
      - .offset:         24
        .size:           4
        .value_kind:     by_value
      - .actual_access:  read_only
        .address_space:  global
        .offset:         32
        .size:           8
        .value_kind:     global_buffer
      - .actual_access:  read_only
        .address_space:  global
        .offset:         40
        .size:           8
        .value_kind:     global_buffer
      - .actual_access:  read_only
        .address_space:  global
        .offset:         48
        .size:           8
        .value_kind:     global_buffer
      - .offset:         56
        .size:           4
        .value_kind:     by_value
      - .actual_access:  write_only
        .address_space:  global
        .offset:         64
        .size:           8
        .value_kind:     global_buffer
      - .actual_access:  read_only
        .address_space:  global
        .offset:         72
        .size:           8
        .value_kind:     global_buffer
      - .actual_access:  write_only
        .address_space:  global
        .offset:         80
        .size:           8
        .value_kind:     global_buffer
    .group_segment_fixed_size: 2056
    .kernarg_segment_align: 8
    .kernarg_segment_size: 88
    .language:       OpenCL C
    .language_version:
      - 2
      - 0
    .max_flat_workgroup_size: 256
    .name:           _ZN9rocsparseL42csr2bsr_wavefront_per_row_multipass_kernelILj256ELj32ELj8EfliEEv20rocsparse_direction_T4_S2_S2_S2_S2_21rocsparse_index_base_PKT2_PKT3_PKS2_S3_PS4_PS7_PS2_
    .private_segment_fixed_size: 0
    .sgpr_count:     26
    .sgpr_spill_count: 0
    .symbol:         _ZN9rocsparseL42csr2bsr_wavefront_per_row_multipass_kernelILj256ELj32ELj8EfliEEv20rocsparse_direction_T4_S2_S2_S2_S2_21rocsparse_index_base_PKT2_PKT3_PKS2_S3_PS4_PS7_PS2_.kd
    .uniform_work_group_size: 1
    .uses_dynamic_stack: false
    .vgpr_count:     43
    .vgpr_spill_count: 0
    .wavefront_size: 32
  - .args:
      - .offset:         0
        .size:           4
        .value_kind:     by_value
      - .offset:         4
        .size:           4
        .value_kind:     by_value
      - .offset:         8
        .size:           4
        .value_kind:     by_value
      - .offset:         12
        .size:           4
        .value_kind:     by_value
      - .offset:         16
        .size:           4
        .value_kind:     by_value
      - .offset:         20
        .size:           4
        .value_kind:     by_value
      - .offset:         24
        .size:           4
        .value_kind:     by_value
      - .actual_access:  read_only
        .address_space:  global
        .offset:         32
        .size:           8
        .value_kind:     global_buffer
      - .actual_access:  read_only
        .address_space:  global
        .offset:         40
        .size:           8
        .value_kind:     global_buffer
      - .actual_access:  read_only
        .address_space:  global
        .offset:         48
        .size:           8
        .value_kind:     global_buffer
      - .offset:         56
        .size:           4
        .value_kind:     by_value
      - .actual_access:  write_only
        .address_space:  global
        .offset:         64
        .size:           8
        .value_kind:     global_buffer
      - .actual_access:  read_only
        .address_space:  global
        .offset:         72
        .size:           8
        .value_kind:     global_buffer
      - .actual_access:  write_only
        .address_space:  global
        .offset:         80
        .size:           8
        .value_kind:     global_buffer
    .group_segment_fixed_size: 4100
    .kernarg_segment_align: 8
    .kernarg_segment_size: 88
    .language:       OpenCL C
    .language_version:
      - 2
      - 0
    .max_flat_workgroup_size: 256
    .name:           _ZN9rocsparseL42csr2bsr_wavefront_per_row_multipass_kernelILj256ELj64ELj16EfliEEv20rocsparse_direction_T4_S2_S2_S2_S2_21rocsparse_index_base_PKT2_PKT3_PKS2_S3_PS4_PS7_PS2_
    .private_segment_fixed_size: 0
    .sgpr_count:     28
    .sgpr_spill_count: 0
    .symbol:         _ZN9rocsparseL42csr2bsr_wavefront_per_row_multipass_kernelILj256ELj64ELj16EfliEEv20rocsparse_direction_T4_S2_S2_S2_S2_21rocsparse_index_base_PKT2_PKT3_PKS2_S3_PS4_PS7_PS2_.kd
    .uniform_work_group_size: 1
    .uses_dynamic_stack: false
    .vgpr_count:     48
    .vgpr_spill_count: 0
    .wavefront_size: 32
  - .args:
      - .offset:         0
        .size:           4
        .value_kind:     by_value
      - .offset:         4
        .size:           4
        .value_kind:     by_value
      - .offset:         8
        .size:           4
        .value_kind:     by_value
      - .offset:         12
        .size:           4
        .value_kind:     by_value
      - .offset:         16
        .size:           4
        .value_kind:     by_value
      - .offset:         20
        .size:           4
        .value_kind:     by_value
      - .offset:         24
        .size:           4
        .value_kind:     by_value
      - .actual_access:  read_only
        .address_space:  global
        .offset:         32
        .size:           8
        .value_kind:     global_buffer
      - .actual_access:  read_only
        .address_space:  global
        .offset:         40
        .size:           8
        .value_kind:     global_buffer
      - .actual_access:  read_only
        .address_space:  global
        .offset:         48
        .size:           8
        .value_kind:     global_buffer
      - .offset:         56
        .size:           4
        .value_kind:     by_value
      - .actual_access:  write_only
        .address_space:  global
        .offset:         64
        .size:           8
        .value_kind:     global_buffer
      - .actual_access:  read_only
        .address_space:  global
        .offset:         72
        .size:           8
        .value_kind:     global_buffer
      - .actual_access:  write_only
        .address_space:  global
        .offset:         80
        .size:           8
        .value_kind:     global_buffer
    .group_segment_fixed_size: 8200
    .kernarg_segment_align: 8
    .kernarg_segment_size: 88
    .language:       OpenCL C
    .language_version:
      - 2
      - 0
    .max_flat_workgroup_size: 256
    .name:           _ZN9rocsparseL42csr2bsr_wavefront_per_row_multipass_kernelILj256ELj32ELj16EfliEEv20rocsparse_direction_T4_S2_S2_S2_S2_21rocsparse_index_base_PKT2_PKT3_PKS2_S3_PS4_PS7_PS2_
    .private_segment_fixed_size: 0
    .sgpr_count:     32
    .sgpr_spill_count: 0
    .symbol:         _ZN9rocsparseL42csr2bsr_wavefront_per_row_multipass_kernelILj256ELj32ELj16EfliEEv20rocsparse_direction_T4_S2_S2_S2_S2_21rocsparse_index_base_PKT2_PKT3_PKS2_S3_PS4_PS7_PS2_.kd
    .uniform_work_group_size: 1
    .uses_dynamic_stack: false
    .vgpr_count:     55
    .vgpr_spill_count: 0
    .wavefront_size: 32
  - .args:
      - .offset:         0
        .size:           4
        .value_kind:     by_value
      - .offset:         4
        .size:           4
        .value_kind:     by_value
      - .offset:         8
        .size:           4
        .value_kind:     by_value
      - .offset:         12
        .size:           4
        .value_kind:     by_value
      - .offset:         16
        .size:           4
        .value_kind:     by_value
      - .offset:         20
        .size:           4
        .value_kind:     by_value
      - .offset:         24
        .size:           4
        .value_kind:     by_value
      - .actual_access:  read_only
        .address_space:  global
        .offset:         32
        .size:           8
        .value_kind:     global_buffer
      - .actual_access:  read_only
        .address_space:  global
        .offset:         40
        .size:           8
        .value_kind:     global_buffer
      - .actual_access:  read_only
        .address_space:  global
        .offset:         48
        .size:           8
        .value_kind:     global_buffer
      - .offset:         56
        .size:           4
        .value_kind:     by_value
      - .actual_access:  write_only
        .address_space:  global
        .offset:         64
        .size:           8
        .value_kind:     global_buffer
      - .actual_access:  read_only
        .address_space:  global
        .offset:         72
        .size:           8
        .value_kind:     global_buffer
      - .actual_access:  write_only
        .address_space:  global
        .offset:         80
        .size:           8
        .value_kind:     global_buffer
    .group_segment_fixed_size: 4100
    .kernarg_segment_align: 8
    .kernarg_segment_size: 88
    .language:       OpenCL C
    .language_version:
      - 2
      - 0
    .max_flat_workgroup_size: 256
    .name:           _ZN9rocsparseL38csr2bsr_block_per_row_multipass_kernelILj256ELj32EfliEEv20rocsparse_direction_T3_S2_S2_S2_S2_21rocsparse_index_base_PKT1_PKT2_PKS2_S3_PS4_PS7_PS2_
    .private_segment_fixed_size: 0
    .sgpr_count:     38
    .sgpr_spill_count: 0
    .symbol:         _ZN9rocsparseL38csr2bsr_block_per_row_multipass_kernelILj256ELj32EfliEEv20rocsparse_direction_T3_S2_S2_S2_S2_21rocsparse_index_base_PKT1_PKT2_PKS2_S3_PS4_PS7_PS2_.kd
    .uniform_work_group_size: 1
    .uses_dynamic_stack: false
    .vgpr_count:     42
    .vgpr_spill_count: 0
    .wavefront_size: 32
  - .args:
      - .offset:         0
        .size:           4
        .value_kind:     by_value
      - .offset:         4
        .size:           4
        .value_kind:     by_value
      - .offset:         8
        .size:           4
        .value_kind:     by_value
      - .offset:         12
        .size:           4
        .value_kind:     by_value
      - .offset:         16
        .size:           4
        .value_kind:     by_value
      - .offset:         20
        .size:           4
        .value_kind:     by_value
      - .offset:         24
        .size:           4
        .value_kind:     by_value
      - .actual_access:  read_only
        .address_space:  global
        .offset:         32
        .size:           8
        .value_kind:     global_buffer
      - .actual_access:  read_only
        .address_space:  global
        .offset:         40
        .size:           8
        .value_kind:     global_buffer
      - .actual_access:  read_only
        .address_space:  global
        .offset:         48
        .size:           8
        .value_kind:     global_buffer
      - .offset:         56
        .size:           4
        .value_kind:     by_value
      - .actual_access:  write_only
        .address_space:  global
        .offset:         64
        .size:           8
        .value_kind:     global_buffer
      - .actual_access:  read_only
        .address_space:  global
        .offset:         72
        .size:           8
        .value_kind:     global_buffer
      - .actual_access:  write_only
        .address_space:  global
        .offset:         80
        .size:           8
        .value_kind:     global_buffer
    .group_segment_fixed_size: 16388
    .kernarg_segment_align: 8
    .kernarg_segment_size: 88
    .language:       OpenCL C
    .language_version:
      - 2
      - 0
    .max_flat_workgroup_size: 256
    .name:           _ZN9rocsparseL38csr2bsr_block_per_row_multipass_kernelILj256ELj64EfliEEv20rocsparse_direction_T3_S2_S2_S2_S2_21rocsparse_index_base_PKT1_PKT2_PKS2_S3_PS4_PS7_PS2_
    .private_segment_fixed_size: 0
    .sgpr_count:     50
    .sgpr_spill_count: 0
    .symbol:         _ZN9rocsparseL38csr2bsr_block_per_row_multipass_kernelILj256ELj64EfliEEv20rocsparse_direction_T3_S2_S2_S2_S2_21rocsparse_index_base_PKT1_PKT2_PKS2_S3_PS4_PS7_PS2_.kd
    .uniform_work_group_size: 1
    .uses_dynamic_stack: false
    .vgpr_count:     65
    .vgpr_spill_count: 0
    .wavefront_size: 32
  - .args:
      - .offset:         0
        .size:           4
        .value_kind:     by_value
      - .offset:         4
        .size:           4
        .value_kind:     by_value
      - .offset:         8
        .size:           4
        .value_kind:     by_value
      - .offset:         12
        .size:           4
        .value_kind:     by_value
      - .offset:         16
        .size:           4
        .value_kind:     by_value
      - .offset:         20
        .size:           4
        .value_kind:     by_value
      - .offset:         24
        .size:           4
        .value_kind:     by_value
      - .offset:         28
        .size:           4
        .value_kind:     by_value
      - .actual_access:  read_only
        .address_space:  global
        .offset:         32
        .size:           8
        .value_kind:     global_buffer
      - .actual_access:  read_only
        .address_space:  global
        .offset:         40
        .size:           8
        .value_kind:     global_buffer
      - .actual_access:  read_only
        .address_space:  global
        .offset:         48
        .size:           8
        .value_kind:     global_buffer
      - .offset:         56
        .size:           4
        .value_kind:     by_value
      - .actual_access:  write_only
        .address_space:  global
        .offset:         64
        .size:           8
        .value_kind:     global_buffer
      - .actual_access:  read_only
        .address_space:  global
        .offset:         72
        .size:           8
        .value_kind:     global_buffer
      - .actual_access:  write_only
        .address_space:  global
        .offset:         80
        .size:           8
        .value_kind:     global_buffer
      - .address_space:  global
        .offset:         88
        .size:           8
        .value_kind:     global_buffer
      - .address_space:  global
        .offset:         96
        .size:           8
        .value_kind:     global_buffer
      - .address_space:  global
        .offset:         104
        .size:           8
        .value_kind:     global_buffer
    .group_segment_fixed_size: 0
    .kernarg_segment_align: 8
    .kernarg_segment_size: 112
    .language:       OpenCL C
    .language_version:
      - 2
      - 0
    .max_flat_workgroup_size: 32
    .name:           _ZN9rocsparseL21csr2bsr_65_inf_kernelILj32EfliEEv20rocsparse_direction_T2_S2_S2_S2_S2_S2_21rocsparse_index_base_PKT0_PKT1_PKS2_S3_PS4_PS7_PS2_SD_SE_SC_
    .private_segment_fixed_size: 0
    .sgpr_count:     38
    .sgpr_spill_count: 0
    .symbol:         _ZN9rocsparseL21csr2bsr_65_inf_kernelILj32EfliEEv20rocsparse_direction_T2_S2_S2_S2_S2_S2_21rocsparse_index_base_PKT0_PKT1_PKS2_S3_PS4_PS7_PS2_SD_SE_SC_.kd
    .uniform_work_group_size: 1
    .uses_dynamic_stack: false
    .vgpr_count:     38
    .vgpr_spill_count: 0
    .wavefront_size: 32
  - .args:
      - .offset:         0
        .size:           8
        .value_kind:     by_value
      - .offset:         8
        .size:           8
        .value_kind:     by_value
      - .offset:         16
        .size:           8
        .value_kind:     by_value
      - .offset:         24
        .size:           8
        .value_kind:     by_value
      - .offset:         32
        .size:           4
        .value_kind:     by_value
      - .address_space:  global
        .offset:         40
        .size:           8
        .value_kind:     global_buffer
      - .address_space:  global
        .offset:         48
        .size:           8
        .value_kind:     global_buffer
      - .address_space:  global
        .offset:         56
        .size:           8
        .value_kind:     global_buffer
      - .offset:         64
        .size:           4
        .value_kind:     by_value
      - .address_space:  global
        .offset:         72
        .size:           8
        .value_kind:     global_buffer
      - .address_space:  global
        .offset:         80
        .size:           8
        .value_kind:     global_buffer
      - .address_space:  global
        .offset:         88
        .size:           8
        .value_kind:     global_buffer
      - .offset:         96
        .size:           4
        .value_kind:     hidden_block_count_x
      - .offset:         100
        .size:           4
        .value_kind:     hidden_block_count_y
      - .offset:         104
        .size:           4
        .value_kind:     hidden_block_count_z
      - .offset:         108
        .size:           2
        .value_kind:     hidden_group_size_x
      - .offset:         110
        .size:           2
        .value_kind:     hidden_group_size_y
      - .offset:         112
        .size:           2
        .value_kind:     hidden_group_size_z
      - .offset:         114
        .size:           2
        .value_kind:     hidden_remainder_x
      - .offset:         116
        .size:           2
        .value_kind:     hidden_remainder_y
      - .offset:         118
        .size:           2
        .value_kind:     hidden_remainder_z
      - .offset:         136
        .size:           8
        .value_kind:     hidden_global_offset_x
      - .offset:         144
        .size:           8
        .value_kind:     hidden_global_offset_y
      - .offset:         152
        .size:           8
        .value_kind:     hidden_global_offset_z
      - .offset:         160
        .size:           2
        .value_kind:     hidden_grid_dims
    .group_segment_fixed_size: 0
    .kernarg_segment_align: 8
    .kernarg_segment_size: 352
    .language:       OpenCL C
    .language_version:
      - 2
      - 0
    .max_flat_workgroup_size: 256
    .name:           _ZN9rocsparseL35csr2bsr_block_dim_equals_one_kernelILj256EfilEEvT2_S1_S1_S1_21rocsparse_index_base_PKT0_PKT1_PKS1_S2_PS3_PS6_PS1_
    .private_segment_fixed_size: 0
    .sgpr_count:     17
    .sgpr_spill_count: 0
    .symbol:         _ZN9rocsparseL35csr2bsr_block_dim_equals_one_kernelILj256EfilEEvT2_S1_S1_S1_21rocsparse_index_base_PKT0_PKT1_PKS1_S2_PS3_PS6_PS1_.kd
    .uniform_work_group_size: 1
    .uses_dynamic_stack: false
    .vgpr_count:     4
    .vgpr_spill_count: 0
    .wavefront_size: 32
  - .args:
      - .offset:         0
        .size:           4
        .value_kind:     by_value
      - .offset:         8
        .size:           8
        .value_kind:     by_value
      - .offset:         16
        .size:           8
        .value_kind:     by_value
      - .offset:         24
        .size:           8
        .value_kind:     by_value
      - .offset:         32
        .size:           8
        .value_kind:     by_value
      - .offset:         40
        .size:           8
        .value_kind:     by_value
      - .offset:         48
        .size:           4
        .value_kind:     by_value
      - .actual_access:  read_only
        .address_space:  global
        .offset:         56
        .size:           8
        .value_kind:     global_buffer
      - .actual_access:  read_only
        .address_space:  global
        .offset:         64
        .size:           8
        .value_kind:     global_buffer
      - .actual_access:  read_only
        .address_space:  global
        .offset:         72
        .size:           8
        .value_kind:     global_buffer
      - .offset:         80
        .size:           4
        .value_kind:     by_value
      - .actual_access:  write_only
        .address_space:  global
        .offset:         88
        .size:           8
        .value_kind:     global_buffer
      - .actual_access:  read_only
        .address_space:  global
        .offset:         96
        .size:           8
        .value_kind:     global_buffer
      - .actual_access:  write_only
        .address_space:  global
        .offset:         104
        .size:           8
        .value_kind:     global_buffer
    .group_segment_fixed_size: 1040
    .kernarg_segment_align: 8
    .kernarg_segment_size: 112
    .language:       OpenCL C
    .language_version:
      - 2
      - 0
    .max_flat_workgroup_size: 256
    .name:           _ZN9rocsparseL42csr2bsr_wavefront_per_row_multipass_kernelILj256ELj16ELj4EfilEEv20rocsparse_direction_T4_S2_S2_S2_S2_21rocsparse_index_base_PKT2_PKT3_PKS2_S3_PS4_PS7_PS2_
    .private_segment_fixed_size: 0
    .sgpr_count:     43
    .sgpr_spill_count: 0
    .symbol:         _ZN9rocsparseL42csr2bsr_wavefront_per_row_multipass_kernelILj256ELj16ELj4EfilEEv20rocsparse_direction_T4_S2_S2_S2_S2_21rocsparse_index_base_PKT2_PKT3_PKS2_S3_PS4_PS7_PS2_.kd
    .uniform_work_group_size: 1
    .uses_dynamic_stack: false
    .vgpr_count:     44
    .vgpr_spill_count: 0
    .wavefront_size: 32
  - .args:
      - .offset:         0
        .size:           4
        .value_kind:     by_value
      - .offset:         8
        .size:           8
        .value_kind:     by_value
      - .offset:         16
        .size:           8
        .value_kind:     by_value
      - .offset:         24
        .size:           8
        .value_kind:     by_value
      - .offset:         32
        .size:           8
        .value_kind:     by_value
      - .offset:         40
        .size:           8
        .value_kind:     by_value
      - .offset:         48
        .size:           4
        .value_kind:     by_value
      - .actual_access:  read_only
        .address_space:  global
        .offset:         56
        .size:           8
        .value_kind:     global_buffer
      - .actual_access:  read_only
        .address_space:  global
        .offset:         64
        .size:           8
        .value_kind:     global_buffer
      - .actual_access:  read_only
        .address_space:  global
        .offset:         72
        .size:           8
        .value_kind:     global_buffer
      - .offset:         80
        .size:           4
        .value_kind:     by_value
      - .actual_access:  write_only
        .address_space:  global
        .offset:         88
        .size:           8
        .value_kind:     global_buffer
      - .actual_access:  read_only
        .address_space:  global
        .offset:         96
        .size:           8
        .value_kind:     global_buffer
      - .actual_access:  write_only
        .address_space:  global
        .offset:         104
        .size:           8
        .value_kind:     global_buffer
    .group_segment_fixed_size: 1028
    .kernarg_segment_align: 8
    .kernarg_segment_size: 112
    .language:       OpenCL C
    .language_version:
      - 2
      - 0
    .max_flat_workgroup_size: 256
    .name:           _ZN9rocsparseL42csr2bsr_wavefront_per_row_multipass_kernelILj256ELj64ELj8EfilEEv20rocsparse_direction_T4_S2_S2_S2_S2_21rocsparse_index_base_PKT2_PKT3_PKS2_S3_PS4_PS7_PS2_
    .private_segment_fixed_size: 0
    .sgpr_count:     43
    .sgpr_spill_count: 0
    .symbol:         _ZN9rocsparseL42csr2bsr_wavefront_per_row_multipass_kernelILj256ELj64ELj8EfilEEv20rocsparse_direction_T4_S2_S2_S2_S2_21rocsparse_index_base_PKT2_PKT3_PKS2_S3_PS4_PS7_PS2_.kd
    .uniform_work_group_size: 1
    .uses_dynamic_stack: false
    .vgpr_count:     46
    .vgpr_spill_count: 0
    .wavefront_size: 32
  - .args:
      - .offset:         0
        .size:           4
        .value_kind:     by_value
      - .offset:         8
        .size:           8
        .value_kind:     by_value
      - .offset:         16
        .size:           8
        .value_kind:     by_value
      - .offset:         24
        .size:           8
        .value_kind:     by_value
      - .offset:         32
        .size:           8
        .value_kind:     by_value
      - .offset:         40
        .size:           8
        .value_kind:     by_value
      - .offset:         48
        .size:           4
        .value_kind:     by_value
      - .actual_access:  read_only
        .address_space:  global
        .offset:         56
        .size:           8
        .value_kind:     global_buffer
      - .actual_access:  read_only
        .address_space:  global
        .offset:         64
        .size:           8
        .value_kind:     global_buffer
      - .actual_access:  read_only
        .address_space:  global
        .offset:         72
        .size:           8
        .value_kind:     global_buffer
      - .offset:         80
        .size:           4
        .value_kind:     by_value
      - .actual_access:  write_only
        .address_space:  global
        .offset:         88
        .size:           8
        .value_kind:     global_buffer
      - .actual_access:  read_only
        .address_space:  global
        .offset:         96
        .size:           8
        .value_kind:     global_buffer
      - .actual_access:  write_only
        .address_space:  global
        .offset:         104
        .size:           8
        .value_kind:     global_buffer
    .group_segment_fixed_size: 2056
    .kernarg_segment_align: 8
    .kernarg_segment_size: 112
    .language:       OpenCL C
    .language_version:
      - 2
      - 0
    .max_flat_workgroup_size: 256
    .name:           _ZN9rocsparseL42csr2bsr_wavefront_per_row_multipass_kernelILj256ELj32ELj8EfilEEv20rocsparse_direction_T4_S2_S2_S2_S2_21rocsparse_index_base_PKT2_PKT3_PKS2_S3_PS4_PS7_PS2_
    .private_segment_fixed_size: 0
    .sgpr_count:     44
    .sgpr_spill_count: 0
    .symbol:         _ZN9rocsparseL42csr2bsr_wavefront_per_row_multipass_kernelILj256ELj32ELj8EfilEEv20rocsparse_direction_T4_S2_S2_S2_S2_21rocsparse_index_base_PKT2_PKT3_PKS2_S3_PS4_PS7_PS2_.kd
    .uniform_work_group_size: 1
    .uses_dynamic_stack: false
    .vgpr_count:     50
    .vgpr_spill_count: 0
    .wavefront_size: 32
  - .args:
      - .offset:         0
        .size:           4
        .value_kind:     by_value
      - .offset:         8
        .size:           8
        .value_kind:     by_value
      - .offset:         16
        .size:           8
        .value_kind:     by_value
      - .offset:         24
        .size:           8
        .value_kind:     by_value
      - .offset:         32
        .size:           8
        .value_kind:     by_value
      - .offset:         40
        .size:           8
        .value_kind:     by_value
      - .offset:         48
        .size:           4
        .value_kind:     by_value
      - .actual_access:  read_only
        .address_space:  global
        .offset:         56
        .size:           8
        .value_kind:     global_buffer
      - .actual_access:  read_only
        .address_space:  global
        .offset:         64
        .size:           8
        .value_kind:     global_buffer
      - .actual_access:  read_only
        .address_space:  global
        .offset:         72
        .size:           8
        .value_kind:     global_buffer
      - .offset:         80
        .size:           4
        .value_kind:     by_value
      - .actual_access:  write_only
        .address_space:  global
        .offset:         88
        .size:           8
        .value_kind:     global_buffer
      - .actual_access:  read_only
        .address_space:  global
        .offset:         96
        .size:           8
        .value_kind:     global_buffer
      - .actual_access:  write_only
        .address_space:  global
        .offset:         104
        .size:           8
        .value_kind:     global_buffer
    .group_segment_fixed_size: 4100
    .kernarg_segment_align: 8
    .kernarg_segment_size: 112
    .language:       OpenCL C
    .language_version:
      - 2
      - 0
    .max_flat_workgroup_size: 256
    .name:           _ZN9rocsparseL42csr2bsr_wavefront_per_row_multipass_kernelILj256ELj64ELj16EfilEEv20rocsparse_direction_T4_S2_S2_S2_S2_21rocsparse_index_base_PKT2_PKT3_PKS2_S3_PS4_PS7_PS2_
    .private_segment_fixed_size: 0
    .sgpr_count:     46
    .sgpr_spill_count: 0
    .symbol:         _ZN9rocsparseL42csr2bsr_wavefront_per_row_multipass_kernelILj256ELj64ELj16EfilEEv20rocsparse_direction_T4_S2_S2_S2_S2_21rocsparse_index_base_PKT2_PKT3_PKS2_S3_PS4_PS7_PS2_.kd
    .uniform_work_group_size: 1
    .uses_dynamic_stack: false
    .vgpr_count:     56
    .vgpr_spill_count: 0
    .wavefront_size: 32
  - .args:
      - .offset:         0
        .size:           4
        .value_kind:     by_value
      - .offset:         8
        .size:           8
        .value_kind:     by_value
      - .offset:         16
        .size:           8
        .value_kind:     by_value
      - .offset:         24
        .size:           8
        .value_kind:     by_value
      - .offset:         32
        .size:           8
        .value_kind:     by_value
      - .offset:         40
        .size:           8
        .value_kind:     by_value
      - .offset:         48
        .size:           4
        .value_kind:     by_value
      - .actual_access:  read_only
        .address_space:  global
        .offset:         56
        .size:           8
        .value_kind:     global_buffer
      - .actual_access:  read_only
        .address_space:  global
        .offset:         64
        .size:           8
        .value_kind:     global_buffer
      - .actual_access:  read_only
        .address_space:  global
        .offset:         72
        .size:           8
        .value_kind:     global_buffer
      - .offset:         80
        .size:           4
        .value_kind:     by_value
      - .actual_access:  write_only
        .address_space:  global
        .offset:         88
        .size:           8
        .value_kind:     global_buffer
      - .actual_access:  read_only
        .address_space:  global
        .offset:         96
        .size:           8
        .value_kind:     global_buffer
      - .actual_access:  write_only
        .address_space:  global
        .offset:         104
        .size:           8
        .value_kind:     global_buffer
    .group_segment_fixed_size: 8200
    .kernarg_segment_align: 8
    .kernarg_segment_size: 112
    .language:       OpenCL C
    .language_version:
      - 2
      - 0
    .max_flat_workgroup_size: 256
    .name:           _ZN9rocsparseL42csr2bsr_wavefront_per_row_multipass_kernelILj256ELj32ELj16EfilEEv20rocsparse_direction_T4_S2_S2_S2_S2_21rocsparse_index_base_PKT2_PKT3_PKS2_S3_PS4_PS7_PS2_
    .private_segment_fixed_size: 0
    .sgpr_count:     50
    .sgpr_spill_count: 0
    .symbol:         _ZN9rocsparseL42csr2bsr_wavefront_per_row_multipass_kernelILj256ELj32ELj16EfilEEv20rocsparse_direction_T4_S2_S2_S2_S2_21rocsparse_index_base_PKT2_PKT3_PKS2_S3_PS4_PS7_PS2_.kd
    .uniform_work_group_size: 1
    .uses_dynamic_stack: false
    .vgpr_count:     62
    .vgpr_spill_count: 0
    .wavefront_size: 32
  - .args:
      - .offset:         0
        .size:           4
        .value_kind:     by_value
      - .offset:         8
        .size:           8
        .value_kind:     by_value
      - .offset:         16
        .size:           8
        .value_kind:     by_value
      - .offset:         24
        .size:           8
        .value_kind:     by_value
      - .offset:         32
        .size:           8
        .value_kind:     by_value
      - .offset:         40
        .size:           8
        .value_kind:     by_value
      - .offset:         48
        .size:           4
        .value_kind:     by_value
      - .actual_access:  read_only
        .address_space:  global
        .offset:         56
        .size:           8
        .value_kind:     global_buffer
      - .actual_access:  read_only
        .address_space:  global
        .offset:         64
        .size:           8
        .value_kind:     global_buffer
      - .actual_access:  read_only
        .address_space:  global
        .offset:         72
        .size:           8
        .value_kind:     global_buffer
      - .offset:         80
        .size:           4
        .value_kind:     by_value
      - .actual_access:  write_only
        .address_space:  global
        .offset:         88
        .size:           8
        .value_kind:     global_buffer
      - .actual_access:  read_only
        .address_space:  global
        .offset:         96
        .size:           8
        .value_kind:     global_buffer
      - .actual_access:  write_only
        .address_space:  global
        .offset:         104
        .size:           8
        .value_kind:     global_buffer
    .group_segment_fixed_size: 4100
    .kernarg_segment_align: 8
    .kernarg_segment_size: 112
    .language:       OpenCL C
    .language_version:
      - 2
      - 0
    .max_flat_workgroup_size: 256
    .name:           _ZN9rocsparseL38csr2bsr_block_per_row_multipass_kernelILj256ELj32EfilEEv20rocsparse_direction_T3_S2_S2_S2_S2_21rocsparse_index_base_PKT1_PKT2_PKS2_S3_PS4_PS7_PS2_
    .private_segment_fixed_size: 0
    .sgpr_count:     54
    .sgpr_spill_count: 0
    .symbol:         _ZN9rocsparseL38csr2bsr_block_per_row_multipass_kernelILj256ELj32EfilEEv20rocsparse_direction_T3_S2_S2_S2_S2_21rocsparse_index_base_PKT1_PKT2_PKS2_S3_PS4_PS7_PS2_.kd
    .uniform_work_group_size: 1
    .uses_dynamic_stack: false
    .vgpr_count:     50
    .vgpr_spill_count: 0
    .wavefront_size: 32
  - .args:
      - .offset:         0
        .size:           4
        .value_kind:     by_value
      - .offset:         8
        .size:           8
        .value_kind:     by_value
      - .offset:         16
        .size:           8
        .value_kind:     by_value
      - .offset:         24
        .size:           8
        .value_kind:     by_value
      - .offset:         32
        .size:           8
        .value_kind:     by_value
      - .offset:         40
        .size:           8
        .value_kind:     by_value
      - .offset:         48
        .size:           4
        .value_kind:     by_value
      - .actual_access:  read_only
        .address_space:  global
        .offset:         56
        .size:           8
        .value_kind:     global_buffer
      - .actual_access:  read_only
        .address_space:  global
        .offset:         64
        .size:           8
        .value_kind:     global_buffer
      - .actual_access:  read_only
        .address_space:  global
        .offset:         72
        .size:           8
        .value_kind:     global_buffer
      - .offset:         80
        .size:           4
        .value_kind:     by_value
      - .actual_access:  write_only
        .address_space:  global
        .offset:         88
        .size:           8
        .value_kind:     global_buffer
      - .actual_access:  read_only
        .address_space:  global
        .offset:         96
        .size:           8
        .value_kind:     global_buffer
      - .actual_access:  write_only
        .address_space:  global
        .offset:         104
        .size:           8
        .value_kind:     global_buffer
    .group_segment_fixed_size: 16388
    .kernarg_segment_align: 8
    .kernarg_segment_size: 112
    .language:       OpenCL C
    .language_version:
      - 2
      - 0
    .max_flat_workgroup_size: 256
    .name:           _ZN9rocsparseL38csr2bsr_block_per_row_multipass_kernelILj256ELj64EfilEEv20rocsparse_direction_T3_S2_S2_S2_S2_21rocsparse_index_base_PKT1_PKT2_PKS2_S3_PS4_PS7_PS2_
    .private_segment_fixed_size: 0
    .sgpr_count:     54
    .sgpr_spill_count: 0
    .symbol:         _ZN9rocsparseL38csr2bsr_block_per_row_multipass_kernelILj256ELj64EfilEEv20rocsparse_direction_T3_S2_S2_S2_S2_21rocsparse_index_base_PKT1_PKT2_PKS2_S3_PS4_PS7_PS2_.kd
    .uniform_work_group_size: 1
    .uses_dynamic_stack: false
    .vgpr_count:     50
    .vgpr_spill_count: 0
    .wavefront_size: 32
  - .args:
      - .offset:         0
        .size:           4
        .value_kind:     by_value
      - .offset:         8
        .size:           8
        .value_kind:     by_value
      - .offset:         16
        .size:           8
        .value_kind:     by_value
      - .offset:         24
        .size:           8
        .value_kind:     by_value
      - .offset:         32
        .size:           8
        .value_kind:     by_value
      - .offset:         40
        .size:           8
        .value_kind:     by_value
      - .offset:         48
        .size:           8
        .value_kind:     by_value
      - .offset:         56
        .size:           4
        .value_kind:     by_value
      - .actual_access:  read_only
        .address_space:  global
        .offset:         64
        .size:           8
        .value_kind:     global_buffer
      - .actual_access:  read_only
        .address_space:  global
        .offset:         72
        .size:           8
        .value_kind:     global_buffer
      - .actual_access:  read_only
        .address_space:  global
        .offset:         80
        .size:           8
        .value_kind:     global_buffer
      - .offset:         88
        .size:           4
        .value_kind:     by_value
      - .actual_access:  write_only
        .address_space:  global
        .offset:         96
        .size:           8
        .value_kind:     global_buffer
      - .actual_access:  read_only
        .address_space:  global
        .offset:         104
        .size:           8
        .value_kind:     global_buffer
      - .actual_access:  write_only
        .address_space:  global
        .offset:         112
        .size:           8
        .value_kind:     global_buffer
      - .address_space:  global
        .offset:         120
        .size:           8
        .value_kind:     global_buffer
      - .address_space:  global
        .offset:         128
        .size:           8
        .value_kind:     global_buffer
      - .address_space:  global
        .offset:         136
        .size:           8
        .value_kind:     global_buffer
    .group_segment_fixed_size: 0
    .kernarg_segment_align: 8
    .kernarg_segment_size: 144
    .language:       OpenCL C
    .language_version:
      - 2
      - 0
    .max_flat_workgroup_size: 32
    .name:           _ZN9rocsparseL21csr2bsr_65_inf_kernelILj32EfilEEv20rocsparse_direction_T2_S2_S2_S2_S2_S2_21rocsparse_index_base_PKT0_PKT1_PKS2_S3_PS4_PS7_PS2_SD_SE_SC_
    .private_segment_fixed_size: 0
    .sgpr_count:     54
    .sgpr_spill_count: 0
    .symbol:         _ZN9rocsparseL21csr2bsr_65_inf_kernelILj32EfilEEv20rocsparse_direction_T2_S2_S2_S2_S2_S2_21rocsparse_index_base_PKT0_PKT1_PKS2_S3_PS4_PS7_PS2_SD_SE_SC_.kd
    .uniform_work_group_size: 1
    .uses_dynamic_stack: false
    .vgpr_count:     56
    .vgpr_spill_count: 0
    .wavefront_size: 32
  - .args:
      - .offset:         0
        .size:           8
        .value_kind:     by_value
      - .offset:         8
        .size:           8
        .value_kind:     by_value
      - .offset:         16
        .size:           8
        .value_kind:     by_value
      - .offset:         24
        .size:           8
        .value_kind:     by_value
      - .offset:         32
        .size:           4
        .value_kind:     by_value
      - .address_space:  global
        .offset:         40
        .size:           8
        .value_kind:     global_buffer
      - .address_space:  global
        .offset:         48
        .size:           8
        .value_kind:     global_buffer
      - .address_space:  global
        .offset:         56
        .size:           8
        .value_kind:     global_buffer
      - .offset:         64
        .size:           4
        .value_kind:     by_value
      - .address_space:  global
        .offset:         72
        .size:           8
        .value_kind:     global_buffer
      - .address_space:  global
        .offset:         80
        .size:           8
        .value_kind:     global_buffer
      - .address_space:  global
        .offset:         88
        .size:           8
        .value_kind:     global_buffer
      - .offset:         96
        .size:           4
        .value_kind:     hidden_block_count_x
      - .offset:         100
        .size:           4
        .value_kind:     hidden_block_count_y
      - .offset:         104
        .size:           4
        .value_kind:     hidden_block_count_z
      - .offset:         108
        .size:           2
        .value_kind:     hidden_group_size_x
      - .offset:         110
        .size:           2
        .value_kind:     hidden_group_size_y
      - .offset:         112
        .size:           2
        .value_kind:     hidden_group_size_z
      - .offset:         114
        .size:           2
        .value_kind:     hidden_remainder_x
      - .offset:         116
        .size:           2
        .value_kind:     hidden_remainder_y
      - .offset:         118
        .size:           2
        .value_kind:     hidden_remainder_z
      - .offset:         136
        .size:           8
        .value_kind:     hidden_global_offset_x
      - .offset:         144
        .size:           8
        .value_kind:     hidden_global_offset_y
      - .offset:         152
        .size:           8
        .value_kind:     hidden_global_offset_z
      - .offset:         160
        .size:           2
        .value_kind:     hidden_grid_dims
    .group_segment_fixed_size: 0
    .kernarg_segment_align: 8
    .kernarg_segment_size: 352
    .language:       OpenCL C
    .language_version:
      - 2
      - 0
    .max_flat_workgroup_size: 256
    .name:           _ZN9rocsparseL35csr2bsr_block_dim_equals_one_kernelILj256EfllEEvT2_S1_S1_S1_21rocsparse_index_base_PKT0_PKT1_PKS1_S2_PS3_PS6_PS1_
    .private_segment_fixed_size: 0
    .sgpr_count:     21
    .sgpr_spill_count: 0
    .symbol:         _ZN9rocsparseL35csr2bsr_block_dim_equals_one_kernelILj256EfllEEvT2_S1_S1_S1_21rocsparse_index_base_PKT0_PKT1_PKS1_S2_PS3_PS6_PS1_.kd
    .uniform_work_group_size: 1
    .uses_dynamic_stack: false
    .vgpr_count:     13
    .vgpr_spill_count: 0
    .wavefront_size: 32
  - .args:
      - .offset:         0
        .size:           4
        .value_kind:     by_value
      - .offset:         8
        .size:           8
        .value_kind:     by_value
      - .offset:         16
        .size:           8
        .value_kind:     by_value
      - .offset:         24
        .size:           8
        .value_kind:     by_value
      - .offset:         32
        .size:           8
        .value_kind:     by_value
      - .offset:         40
        .size:           8
        .value_kind:     by_value
      - .offset:         48
        .size:           4
        .value_kind:     by_value
      - .actual_access:  read_only
        .address_space:  global
        .offset:         56
        .size:           8
        .value_kind:     global_buffer
      - .actual_access:  read_only
        .address_space:  global
        .offset:         64
        .size:           8
        .value_kind:     global_buffer
      - .actual_access:  read_only
        .address_space:  global
        .offset:         72
        .size:           8
        .value_kind:     global_buffer
      - .offset:         80
        .size:           4
        .value_kind:     by_value
      - .actual_access:  write_only
        .address_space:  global
        .offset:         88
        .size:           8
        .value_kind:     global_buffer
      - .actual_access:  read_only
        .address_space:  global
        .offset:         96
        .size:           8
        .value_kind:     global_buffer
      - .actual_access:  write_only
        .address_space:  global
        .offset:         104
        .size:           8
        .value_kind:     global_buffer
    .group_segment_fixed_size: 1040
    .kernarg_segment_align: 8
    .kernarg_segment_size: 112
    .language:       OpenCL C
    .language_version:
      - 2
      - 0
    .max_flat_workgroup_size: 256
    .name:           _ZN9rocsparseL42csr2bsr_wavefront_per_row_multipass_kernelILj256ELj16ELj4EfllEEv20rocsparse_direction_T4_S2_S2_S2_S2_21rocsparse_index_base_PKT2_PKT3_PKS2_S3_PS4_PS7_PS2_
    .private_segment_fixed_size: 0
    .sgpr_count:     44
    .sgpr_spill_count: 0
    .symbol:         _ZN9rocsparseL42csr2bsr_wavefront_per_row_multipass_kernelILj256ELj16ELj4EfllEEv20rocsparse_direction_T4_S2_S2_S2_S2_21rocsparse_index_base_PKT2_PKT3_PKS2_S3_PS4_PS7_PS2_.kd
    .uniform_work_group_size: 1
    .uses_dynamic_stack: false
    .vgpr_count:     52
    .vgpr_spill_count: 0
    .wavefront_size: 32
  - .args:
      - .offset:         0
        .size:           4
        .value_kind:     by_value
      - .offset:         8
        .size:           8
        .value_kind:     by_value
      - .offset:         16
        .size:           8
        .value_kind:     by_value
      - .offset:         24
        .size:           8
        .value_kind:     by_value
      - .offset:         32
        .size:           8
        .value_kind:     by_value
      - .offset:         40
        .size:           8
        .value_kind:     by_value
      - .offset:         48
        .size:           4
        .value_kind:     by_value
      - .actual_access:  read_only
        .address_space:  global
        .offset:         56
        .size:           8
        .value_kind:     global_buffer
      - .actual_access:  read_only
        .address_space:  global
        .offset:         64
        .size:           8
        .value_kind:     global_buffer
      - .actual_access:  read_only
        .address_space:  global
        .offset:         72
        .size:           8
        .value_kind:     global_buffer
      - .offset:         80
        .size:           4
        .value_kind:     by_value
      - .actual_access:  write_only
        .address_space:  global
        .offset:         88
        .size:           8
        .value_kind:     global_buffer
      - .actual_access:  read_only
        .address_space:  global
        .offset:         96
        .size:           8
        .value_kind:     global_buffer
      - .actual_access:  write_only
        .address_space:  global
        .offset:         104
        .size:           8
        .value_kind:     global_buffer
    .group_segment_fixed_size: 1028
    .kernarg_segment_align: 8
    .kernarg_segment_size: 112
    .language:       OpenCL C
    .language_version:
      - 2
      - 0
    .max_flat_workgroup_size: 256
    .name:           _ZN9rocsparseL42csr2bsr_wavefront_per_row_multipass_kernelILj256ELj64ELj8EfllEEv20rocsparse_direction_T4_S2_S2_S2_S2_21rocsparse_index_base_PKT2_PKT3_PKS2_S3_PS4_PS7_PS2_
    .private_segment_fixed_size: 0
    .sgpr_count:     44
    .sgpr_spill_count: 0
    .symbol:         _ZN9rocsparseL42csr2bsr_wavefront_per_row_multipass_kernelILj256ELj64ELj8EfllEEv20rocsparse_direction_T4_S2_S2_S2_S2_21rocsparse_index_base_PKT2_PKT3_PKS2_S3_PS4_PS7_PS2_.kd
    .uniform_work_group_size: 1
    .uses_dynamic_stack: false
    .vgpr_count:     54
    .vgpr_spill_count: 0
    .wavefront_size: 32
  - .args:
      - .offset:         0
        .size:           4
        .value_kind:     by_value
      - .offset:         8
        .size:           8
        .value_kind:     by_value
      - .offset:         16
        .size:           8
        .value_kind:     by_value
      - .offset:         24
        .size:           8
        .value_kind:     by_value
      - .offset:         32
        .size:           8
        .value_kind:     by_value
      - .offset:         40
        .size:           8
        .value_kind:     by_value
      - .offset:         48
        .size:           4
        .value_kind:     by_value
      - .actual_access:  read_only
        .address_space:  global
        .offset:         56
        .size:           8
        .value_kind:     global_buffer
      - .actual_access:  read_only
        .address_space:  global
        .offset:         64
        .size:           8
        .value_kind:     global_buffer
      - .actual_access:  read_only
        .address_space:  global
        .offset:         72
        .size:           8
        .value_kind:     global_buffer
      - .offset:         80
        .size:           4
        .value_kind:     by_value
      - .actual_access:  write_only
        .address_space:  global
        .offset:         88
        .size:           8
        .value_kind:     global_buffer
      - .actual_access:  read_only
        .address_space:  global
        .offset:         96
        .size:           8
        .value_kind:     global_buffer
      - .actual_access:  write_only
        .address_space:  global
        .offset:         104
        .size:           8
        .value_kind:     global_buffer
    .group_segment_fixed_size: 2056
    .kernarg_segment_align: 8
    .kernarg_segment_size: 112
    .language:       OpenCL C
    .language_version:
      - 2
      - 0
    .max_flat_workgroup_size: 256
    .name:           _ZN9rocsparseL42csr2bsr_wavefront_per_row_multipass_kernelILj256ELj32ELj8EfllEEv20rocsparse_direction_T4_S2_S2_S2_S2_21rocsparse_index_base_PKT2_PKT3_PKS2_S3_PS4_PS7_PS2_
    .private_segment_fixed_size: 0
    .sgpr_count:     45
    .sgpr_spill_count: 0
    .symbol:         _ZN9rocsparseL42csr2bsr_wavefront_per_row_multipass_kernelILj256ELj32ELj8EfllEEv20rocsparse_direction_T4_S2_S2_S2_S2_21rocsparse_index_base_PKT2_PKT3_PKS2_S3_PS4_PS7_PS2_.kd
    .uniform_work_group_size: 1
    .uses_dynamic_stack: false
    .vgpr_count:     58
    .vgpr_spill_count: 0
    .wavefront_size: 32
  - .args:
      - .offset:         0
        .size:           4
        .value_kind:     by_value
      - .offset:         8
        .size:           8
        .value_kind:     by_value
      - .offset:         16
        .size:           8
        .value_kind:     by_value
      - .offset:         24
        .size:           8
        .value_kind:     by_value
      - .offset:         32
        .size:           8
        .value_kind:     by_value
      - .offset:         40
        .size:           8
        .value_kind:     by_value
      - .offset:         48
        .size:           4
        .value_kind:     by_value
      - .actual_access:  read_only
        .address_space:  global
        .offset:         56
        .size:           8
        .value_kind:     global_buffer
      - .actual_access:  read_only
        .address_space:  global
        .offset:         64
        .size:           8
        .value_kind:     global_buffer
      - .actual_access:  read_only
        .address_space:  global
        .offset:         72
        .size:           8
        .value_kind:     global_buffer
      - .offset:         80
        .size:           4
        .value_kind:     by_value
      - .actual_access:  write_only
        .address_space:  global
        .offset:         88
        .size:           8
        .value_kind:     global_buffer
      - .actual_access:  read_only
        .address_space:  global
        .offset:         96
        .size:           8
        .value_kind:     global_buffer
      - .actual_access:  write_only
        .address_space:  global
        .offset:         104
        .size:           8
        .value_kind:     global_buffer
    .group_segment_fixed_size: 4100
    .kernarg_segment_align: 8
    .kernarg_segment_size: 112
    .language:       OpenCL C
    .language_version:
      - 2
      - 0
    .max_flat_workgroup_size: 256
    .name:           _ZN9rocsparseL42csr2bsr_wavefront_per_row_multipass_kernelILj256ELj64ELj16EfllEEv20rocsparse_direction_T4_S2_S2_S2_S2_21rocsparse_index_base_PKT2_PKT3_PKS2_S3_PS4_PS7_PS2_
    .private_segment_fixed_size: 0
    .sgpr_count:     47
    .sgpr_spill_count: 0
    .symbol:         _ZN9rocsparseL42csr2bsr_wavefront_per_row_multipass_kernelILj256ELj64ELj16EfllEEv20rocsparse_direction_T4_S2_S2_S2_S2_21rocsparse_index_base_PKT2_PKT3_PKS2_S3_PS4_PS7_PS2_.kd
    .uniform_work_group_size: 1
    .uses_dynamic_stack: false
    .vgpr_count:     62
    .vgpr_spill_count: 0
    .wavefront_size: 32
  - .args:
      - .offset:         0
        .size:           4
        .value_kind:     by_value
      - .offset:         8
        .size:           8
        .value_kind:     by_value
      - .offset:         16
        .size:           8
        .value_kind:     by_value
      - .offset:         24
        .size:           8
        .value_kind:     by_value
      - .offset:         32
        .size:           8
        .value_kind:     by_value
      - .offset:         40
        .size:           8
        .value_kind:     by_value
      - .offset:         48
        .size:           4
        .value_kind:     by_value
      - .actual_access:  read_only
        .address_space:  global
        .offset:         56
        .size:           8
        .value_kind:     global_buffer
      - .actual_access:  read_only
        .address_space:  global
        .offset:         64
        .size:           8
        .value_kind:     global_buffer
      - .actual_access:  read_only
        .address_space:  global
        .offset:         72
        .size:           8
        .value_kind:     global_buffer
      - .offset:         80
        .size:           4
        .value_kind:     by_value
      - .actual_access:  write_only
        .address_space:  global
        .offset:         88
        .size:           8
        .value_kind:     global_buffer
      - .actual_access:  read_only
        .address_space:  global
        .offset:         96
        .size:           8
        .value_kind:     global_buffer
      - .actual_access:  write_only
        .address_space:  global
        .offset:         104
        .size:           8
        .value_kind:     global_buffer
    .group_segment_fixed_size: 8200
    .kernarg_segment_align: 8
    .kernarg_segment_size: 112
    .language:       OpenCL C
    .language_version:
      - 2
      - 0
    .max_flat_workgroup_size: 256
    .name:           _ZN9rocsparseL42csr2bsr_wavefront_per_row_multipass_kernelILj256ELj32ELj16EfllEEv20rocsparse_direction_T4_S2_S2_S2_S2_21rocsparse_index_base_PKT2_PKT3_PKS2_S3_PS4_PS7_PS2_
    .private_segment_fixed_size: 0
    .sgpr_count:     50
    .sgpr_spill_count: 0
    .symbol:         _ZN9rocsparseL42csr2bsr_wavefront_per_row_multipass_kernelILj256ELj32ELj16EfllEEv20rocsparse_direction_T4_S2_S2_S2_S2_21rocsparse_index_base_PKT2_PKT3_PKS2_S3_PS4_PS7_PS2_.kd
    .uniform_work_group_size: 1
    .uses_dynamic_stack: false
    .vgpr_count:     68
    .vgpr_spill_count: 0
    .wavefront_size: 32
  - .args:
      - .offset:         0
        .size:           4
        .value_kind:     by_value
      - .offset:         8
        .size:           8
        .value_kind:     by_value
      - .offset:         16
        .size:           8
        .value_kind:     by_value
      - .offset:         24
        .size:           8
        .value_kind:     by_value
      - .offset:         32
        .size:           8
        .value_kind:     by_value
      - .offset:         40
        .size:           8
        .value_kind:     by_value
      - .offset:         48
        .size:           4
        .value_kind:     by_value
      - .actual_access:  read_only
        .address_space:  global
        .offset:         56
        .size:           8
        .value_kind:     global_buffer
      - .actual_access:  read_only
        .address_space:  global
        .offset:         64
        .size:           8
        .value_kind:     global_buffer
      - .actual_access:  read_only
        .address_space:  global
        .offset:         72
        .size:           8
        .value_kind:     global_buffer
      - .offset:         80
        .size:           4
        .value_kind:     by_value
      - .actual_access:  write_only
        .address_space:  global
        .offset:         88
        .size:           8
        .value_kind:     global_buffer
      - .actual_access:  read_only
        .address_space:  global
        .offset:         96
        .size:           8
        .value_kind:     global_buffer
      - .actual_access:  write_only
        .address_space:  global
        .offset:         104
        .size:           8
        .value_kind:     global_buffer
    .group_segment_fixed_size: 4100
    .kernarg_segment_align: 8
    .kernarg_segment_size: 112
    .language:       OpenCL C
    .language_version:
      - 2
      - 0
    .max_flat_workgroup_size: 256
    .name:           _ZN9rocsparseL38csr2bsr_block_per_row_multipass_kernelILj256ELj32EfllEEv20rocsparse_direction_T3_S2_S2_S2_S2_21rocsparse_index_base_PKT1_PKT2_PKS2_S3_PS4_PS7_PS2_
    .private_segment_fixed_size: 0
    .sgpr_count:     56
    .sgpr_spill_count: 0
    .symbol:         _ZN9rocsparseL38csr2bsr_block_per_row_multipass_kernelILj256ELj32EfllEEv20rocsparse_direction_T3_S2_S2_S2_S2_21rocsparse_index_base_PKT1_PKT2_PKS2_S3_PS4_PS7_PS2_.kd
    .uniform_work_group_size: 1
    .uses_dynamic_stack: false
    .vgpr_count:     56
    .vgpr_spill_count: 0
    .wavefront_size: 32
  - .args:
      - .offset:         0
        .size:           4
        .value_kind:     by_value
      - .offset:         8
        .size:           8
        .value_kind:     by_value
      - .offset:         16
        .size:           8
        .value_kind:     by_value
      - .offset:         24
        .size:           8
        .value_kind:     by_value
      - .offset:         32
        .size:           8
        .value_kind:     by_value
      - .offset:         40
        .size:           8
        .value_kind:     by_value
      - .offset:         48
        .size:           4
        .value_kind:     by_value
      - .actual_access:  read_only
        .address_space:  global
        .offset:         56
        .size:           8
        .value_kind:     global_buffer
      - .actual_access:  read_only
        .address_space:  global
        .offset:         64
        .size:           8
        .value_kind:     global_buffer
      - .actual_access:  read_only
        .address_space:  global
        .offset:         72
        .size:           8
        .value_kind:     global_buffer
      - .offset:         80
        .size:           4
        .value_kind:     by_value
      - .actual_access:  write_only
        .address_space:  global
        .offset:         88
        .size:           8
        .value_kind:     global_buffer
      - .actual_access:  read_only
        .address_space:  global
        .offset:         96
        .size:           8
        .value_kind:     global_buffer
      - .actual_access:  write_only
        .address_space:  global
        .offset:         104
        .size:           8
        .value_kind:     global_buffer
    .group_segment_fixed_size: 16388
    .kernarg_segment_align: 8
    .kernarg_segment_size: 112
    .language:       OpenCL C
    .language_version:
      - 2
      - 0
    .max_flat_workgroup_size: 256
    .name:           _ZN9rocsparseL38csr2bsr_block_per_row_multipass_kernelILj256ELj64EfllEEv20rocsparse_direction_T3_S2_S2_S2_S2_21rocsparse_index_base_PKT1_PKT2_PKS2_S3_PS4_PS7_PS2_
    .private_segment_fixed_size: 0
    .sgpr_count:     56
    .sgpr_spill_count: 0
    .symbol:         _ZN9rocsparseL38csr2bsr_block_per_row_multipass_kernelILj256ELj64EfllEEv20rocsparse_direction_T3_S2_S2_S2_S2_21rocsparse_index_base_PKT1_PKT2_PKS2_S3_PS4_PS7_PS2_.kd
    .uniform_work_group_size: 1
    .uses_dynamic_stack: false
    .vgpr_count:     54
    .vgpr_spill_count: 0
    .wavefront_size: 32
  - .args:
      - .offset:         0
        .size:           4
        .value_kind:     by_value
      - .offset:         8
        .size:           8
        .value_kind:     by_value
      - .offset:         16
        .size:           8
        .value_kind:     by_value
      - .offset:         24
        .size:           8
        .value_kind:     by_value
      - .offset:         32
        .size:           8
        .value_kind:     by_value
      - .offset:         40
        .size:           8
        .value_kind:     by_value
      - .offset:         48
        .size:           8
        .value_kind:     by_value
      - .offset:         56
        .size:           4
        .value_kind:     by_value
      - .actual_access:  read_only
        .address_space:  global
        .offset:         64
        .size:           8
        .value_kind:     global_buffer
      - .actual_access:  read_only
        .address_space:  global
        .offset:         72
        .size:           8
        .value_kind:     global_buffer
      - .actual_access:  read_only
        .address_space:  global
        .offset:         80
        .size:           8
        .value_kind:     global_buffer
      - .offset:         88
        .size:           4
        .value_kind:     by_value
      - .actual_access:  write_only
        .address_space:  global
        .offset:         96
        .size:           8
        .value_kind:     global_buffer
      - .actual_access:  read_only
        .address_space:  global
        .offset:         104
        .size:           8
        .value_kind:     global_buffer
      - .actual_access:  write_only
        .address_space:  global
        .offset:         112
        .size:           8
        .value_kind:     global_buffer
      - .address_space:  global
        .offset:         120
        .size:           8
        .value_kind:     global_buffer
      - .address_space:  global
        .offset:         128
        .size:           8
        .value_kind:     global_buffer
      - .address_space:  global
        .offset:         136
        .size:           8
        .value_kind:     global_buffer
    .group_segment_fixed_size: 0
    .kernarg_segment_align: 8
    .kernarg_segment_size: 144
    .language:       OpenCL C
    .language_version:
      - 2
      - 0
    .max_flat_workgroup_size: 32
    .name:           _ZN9rocsparseL21csr2bsr_65_inf_kernelILj32EfllEEv20rocsparse_direction_T2_S2_S2_S2_S2_S2_21rocsparse_index_base_PKT0_PKT1_PKS2_S3_PS4_PS7_PS2_SD_SE_SC_
    .private_segment_fixed_size: 0
    .sgpr_count:     54
    .sgpr_spill_count: 0
    .symbol:         _ZN9rocsparseL21csr2bsr_65_inf_kernelILj32EfllEEv20rocsparse_direction_T2_S2_S2_S2_S2_S2_21rocsparse_index_base_PKT0_PKT1_PKS2_S3_PS4_PS7_PS2_SD_SE_SC_.kd
    .uniform_work_group_size: 1
    .uses_dynamic_stack: false
    .vgpr_count:     56
    .vgpr_spill_count: 0
    .wavefront_size: 32
  - .args:
      - .offset:         0
        .size:           4
        .value_kind:     by_value
      - .offset:         4
        .size:           4
        .value_kind:     by_value
      - .offset:         8
        .size:           4
        .value_kind:     by_value
      - .offset:         12
        .size:           4
        .value_kind:     by_value
      - .offset:         16
        .size:           4
        .value_kind:     by_value
      - .address_space:  global
        .offset:         24
        .size:           8
        .value_kind:     global_buffer
      - .address_space:  global
        .offset:         32
        .size:           8
        .value_kind:     global_buffer
      - .address_space:  global
        .offset:         40
        .size:           8
        .value_kind:     global_buffer
      - .offset:         48
        .size:           4
        .value_kind:     by_value
      - .address_space:  global
        .offset:         56
        .size:           8
        .value_kind:     global_buffer
      - .address_space:  global
        .offset:         64
        .size:           8
        .value_kind:     global_buffer
      - .address_space:  global
        .offset:         72
        .size:           8
        .value_kind:     global_buffer
      - .offset:         80
        .size:           4
        .value_kind:     hidden_block_count_x
      - .offset:         84
        .size:           4
        .value_kind:     hidden_block_count_y
      - .offset:         88
        .size:           4
        .value_kind:     hidden_block_count_z
      - .offset:         92
        .size:           2
        .value_kind:     hidden_group_size_x
      - .offset:         94
        .size:           2
        .value_kind:     hidden_group_size_y
      - .offset:         96
        .size:           2
        .value_kind:     hidden_group_size_z
      - .offset:         98
        .size:           2
        .value_kind:     hidden_remainder_x
      - .offset:         100
        .size:           2
        .value_kind:     hidden_remainder_y
      - .offset:         102
        .size:           2
        .value_kind:     hidden_remainder_z
      - .offset:         120
        .size:           8
        .value_kind:     hidden_global_offset_x
      - .offset:         128
        .size:           8
        .value_kind:     hidden_global_offset_y
      - .offset:         136
        .size:           8
        .value_kind:     hidden_global_offset_z
      - .offset:         144
        .size:           2
        .value_kind:     hidden_grid_dims
    .group_segment_fixed_size: 0
    .kernarg_segment_align: 8
    .kernarg_segment_size: 336
    .language:       OpenCL C
    .language_version:
      - 2
      - 0
    .max_flat_workgroup_size: 256
    .name:           _ZN9rocsparseL35csr2bsr_block_dim_equals_one_kernelILj256E21rocsparse_complex_numIfEiiEEvT2_S3_S3_S3_21rocsparse_index_base_PKT0_PKT1_PKS3_S4_PS5_PS8_PS3_
    .private_segment_fixed_size: 0
    .sgpr_count:     17
    .sgpr_spill_count: 0
    .symbol:         _ZN9rocsparseL35csr2bsr_block_dim_equals_one_kernelILj256E21rocsparse_complex_numIfEiiEEvT2_S3_S3_S3_21rocsparse_index_base_PKT0_PKT1_PKS3_S4_PS5_PS8_PS3_.kd
    .uniform_work_group_size: 1
    .uses_dynamic_stack: false
    .vgpr_count:     4
    .vgpr_spill_count: 0
    .wavefront_size: 32
  - .args:
      - .offset:         0
        .size:           4
        .value_kind:     by_value
      - .offset:         4
        .size:           4
        .value_kind:     by_value
      - .offset:         8
        .size:           4
        .value_kind:     by_value
      - .offset:         12
        .size:           4
        .value_kind:     by_value
      - .offset:         16
        .size:           4
        .value_kind:     by_value
      - .offset:         20
        .size:           4
        .value_kind:     by_value
      - .offset:         24
        .size:           4
        .value_kind:     by_value
      - .actual_access:  read_only
        .address_space:  global
        .offset:         32
        .size:           8
        .value_kind:     global_buffer
      - .actual_access:  read_only
        .address_space:  global
        .offset:         40
        .size:           8
        .value_kind:     global_buffer
      - .actual_access:  read_only
        .address_space:  global
        .offset:         48
        .size:           8
        .value_kind:     global_buffer
      - .offset:         56
        .size:           4
        .value_kind:     by_value
      - .actual_access:  write_only
        .address_space:  global
        .offset:         64
        .size:           8
        .value_kind:     global_buffer
      - .actual_access:  read_only
        .address_space:  global
        .offset:         72
        .size:           8
        .value_kind:     global_buffer
      - .actual_access:  write_only
        .address_space:  global
        .offset:         80
        .size:           8
        .value_kind:     global_buffer
    .group_segment_fixed_size: 2064
    .kernarg_segment_align: 8
    .kernarg_segment_size: 88
    .language:       OpenCL C
    .language_version:
      - 2
      - 0
    .max_flat_workgroup_size: 256
    .name:           _ZN9rocsparseL42csr2bsr_wavefront_per_row_multipass_kernelILj256ELj16ELj4E21rocsparse_complex_numIfEiiEEv20rocsparse_direction_T4_S4_S4_S4_S4_21rocsparse_index_base_PKT2_PKT3_PKS4_S5_PS6_PS9_PS4_
    .private_segment_fixed_size: 0
    .sgpr_count:     25
    .sgpr_spill_count: 0
    .symbol:         _ZN9rocsparseL42csr2bsr_wavefront_per_row_multipass_kernelILj256ELj16ELj4E21rocsparse_complex_numIfEiiEEv20rocsparse_direction_T4_S4_S4_S4_S4_21rocsparse_index_base_PKT2_PKT3_PKS4_S5_PS6_PS9_PS4_.kd
    .uniform_work_group_size: 1
    .uses_dynamic_stack: false
    .vgpr_count:     30
    .vgpr_spill_count: 0
    .wavefront_size: 32
  - .args:
      - .offset:         0
        .size:           4
        .value_kind:     by_value
      - .offset:         4
        .size:           4
        .value_kind:     by_value
      - .offset:         8
        .size:           4
        .value_kind:     by_value
      - .offset:         12
        .size:           4
        .value_kind:     by_value
      - .offset:         16
        .size:           4
        .value_kind:     by_value
      - .offset:         20
        .size:           4
        .value_kind:     by_value
      - .offset:         24
        .size:           4
        .value_kind:     by_value
      - .actual_access:  read_only
        .address_space:  global
        .offset:         32
        .size:           8
        .value_kind:     global_buffer
      - .actual_access:  read_only
        .address_space:  global
        .offset:         40
        .size:           8
        .value_kind:     global_buffer
      - .actual_access:  read_only
        .address_space:  global
        .offset:         48
        .size:           8
        .value_kind:     global_buffer
      - .offset:         56
        .size:           4
        .value_kind:     by_value
      - .actual_access:  write_only
        .address_space:  global
        .offset:         64
        .size:           8
        .value_kind:     global_buffer
      - .actual_access:  read_only
        .address_space:  global
        .offset:         72
        .size:           8
        .value_kind:     global_buffer
      - .actual_access:  write_only
        .address_space:  global
        .offset:         80
        .size:           8
        .value_kind:     global_buffer
    .group_segment_fixed_size: 2052
    .kernarg_segment_align: 8
    .kernarg_segment_size: 88
    .language:       OpenCL C
    .language_version:
      - 2
      - 0
    .max_flat_workgroup_size: 256
    .name:           _ZN9rocsparseL42csr2bsr_wavefront_per_row_multipass_kernelILj256ELj64ELj8E21rocsparse_complex_numIfEiiEEv20rocsparse_direction_T4_S4_S4_S4_S4_21rocsparse_index_base_PKT2_PKT3_PKS4_S5_PS6_PS9_PS4_
    .private_segment_fixed_size: 0
    .sgpr_count:     25
    .sgpr_spill_count: 0
    .symbol:         _ZN9rocsparseL42csr2bsr_wavefront_per_row_multipass_kernelILj256ELj64ELj8E21rocsparse_complex_numIfEiiEEv20rocsparse_direction_T4_S4_S4_S4_S4_21rocsparse_index_base_PKT2_PKT3_PKS4_S5_PS6_PS9_PS4_.kd
    .uniform_work_group_size: 1
    .uses_dynamic_stack: false
    .vgpr_count:     32
    .vgpr_spill_count: 0
    .wavefront_size: 32
  - .args:
      - .offset:         0
        .size:           4
        .value_kind:     by_value
      - .offset:         4
        .size:           4
        .value_kind:     by_value
      - .offset:         8
        .size:           4
        .value_kind:     by_value
      - .offset:         12
        .size:           4
        .value_kind:     by_value
      - .offset:         16
        .size:           4
        .value_kind:     by_value
      - .offset:         20
        .size:           4
        .value_kind:     by_value
      - .offset:         24
        .size:           4
        .value_kind:     by_value
      - .actual_access:  read_only
        .address_space:  global
        .offset:         32
        .size:           8
        .value_kind:     global_buffer
      - .actual_access:  read_only
        .address_space:  global
        .offset:         40
        .size:           8
        .value_kind:     global_buffer
      - .actual_access:  read_only
        .address_space:  global
        .offset:         48
        .size:           8
        .value_kind:     global_buffer
      - .offset:         56
        .size:           4
        .value_kind:     by_value
      - .actual_access:  write_only
        .address_space:  global
        .offset:         64
        .size:           8
        .value_kind:     global_buffer
      - .actual_access:  read_only
        .address_space:  global
        .offset:         72
        .size:           8
        .value_kind:     global_buffer
      - .actual_access:  write_only
        .address_space:  global
        .offset:         80
        .size:           8
        .value_kind:     global_buffer
    .group_segment_fixed_size: 4104
    .kernarg_segment_align: 8
    .kernarg_segment_size: 88
    .language:       OpenCL C
    .language_version:
      - 2
      - 0
    .max_flat_workgroup_size: 256
    .name:           _ZN9rocsparseL42csr2bsr_wavefront_per_row_multipass_kernelILj256ELj32ELj8E21rocsparse_complex_numIfEiiEEv20rocsparse_direction_T4_S4_S4_S4_S4_21rocsparse_index_base_PKT2_PKT3_PKS4_S5_PS6_PS9_PS4_
    .private_segment_fixed_size: 0
    .sgpr_count:     26
    .sgpr_spill_count: 0
    .symbol:         _ZN9rocsparseL42csr2bsr_wavefront_per_row_multipass_kernelILj256ELj32ELj8E21rocsparse_complex_numIfEiiEEv20rocsparse_direction_T4_S4_S4_S4_S4_21rocsparse_index_base_PKT2_PKT3_PKS4_S5_PS6_PS9_PS4_.kd
    .uniform_work_group_size: 1
    .uses_dynamic_stack: false
    .vgpr_count:     38
    .vgpr_spill_count: 0
    .wavefront_size: 32
  - .args:
      - .offset:         0
        .size:           4
        .value_kind:     by_value
      - .offset:         4
        .size:           4
        .value_kind:     by_value
      - .offset:         8
        .size:           4
        .value_kind:     by_value
      - .offset:         12
        .size:           4
        .value_kind:     by_value
      - .offset:         16
        .size:           4
        .value_kind:     by_value
      - .offset:         20
        .size:           4
        .value_kind:     by_value
      - .offset:         24
        .size:           4
        .value_kind:     by_value
      - .actual_access:  read_only
        .address_space:  global
        .offset:         32
        .size:           8
        .value_kind:     global_buffer
      - .actual_access:  read_only
        .address_space:  global
        .offset:         40
        .size:           8
        .value_kind:     global_buffer
      - .actual_access:  read_only
        .address_space:  global
        .offset:         48
        .size:           8
        .value_kind:     global_buffer
      - .offset:         56
        .size:           4
        .value_kind:     by_value
      - .actual_access:  write_only
        .address_space:  global
        .offset:         64
        .size:           8
        .value_kind:     global_buffer
      - .actual_access:  read_only
        .address_space:  global
        .offset:         72
        .size:           8
        .value_kind:     global_buffer
      - .actual_access:  write_only
        .address_space:  global
        .offset:         80
        .size:           8
        .value_kind:     global_buffer
    .group_segment_fixed_size: 8196
    .kernarg_segment_align: 8
    .kernarg_segment_size: 88
    .language:       OpenCL C
    .language_version:
      - 2
      - 0
    .max_flat_workgroup_size: 256
    .name:           _ZN9rocsparseL42csr2bsr_wavefront_per_row_multipass_kernelILj256ELj64ELj16E21rocsparse_complex_numIfEiiEEv20rocsparse_direction_T4_S4_S4_S4_S4_21rocsparse_index_base_PKT2_PKT3_PKS4_S5_PS6_PS9_PS4_
    .private_segment_fixed_size: 0
    .sgpr_count:     28
    .sgpr_spill_count: 0
    .symbol:         _ZN9rocsparseL42csr2bsr_wavefront_per_row_multipass_kernelILj256ELj64ELj16E21rocsparse_complex_numIfEiiEEv20rocsparse_direction_T4_S4_S4_S4_S4_21rocsparse_index_base_PKT2_PKT3_PKS4_S5_PS6_PS9_PS4_.kd
    .uniform_work_group_size: 1
    .uses_dynamic_stack: false
    .vgpr_count:     44
    .vgpr_spill_count: 0
    .wavefront_size: 32
  - .args:
      - .offset:         0
        .size:           4
        .value_kind:     by_value
      - .offset:         4
        .size:           4
        .value_kind:     by_value
      - .offset:         8
        .size:           4
        .value_kind:     by_value
      - .offset:         12
        .size:           4
        .value_kind:     by_value
      - .offset:         16
        .size:           4
        .value_kind:     by_value
      - .offset:         20
        .size:           4
        .value_kind:     by_value
      - .offset:         24
        .size:           4
        .value_kind:     by_value
      - .actual_access:  read_only
        .address_space:  global
        .offset:         32
        .size:           8
        .value_kind:     global_buffer
      - .actual_access:  read_only
        .address_space:  global
        .offset:         40
        .size:           8
        .value_kind:     global_buffer
      - .actual_access:  read_only
        .address_space:  global
        .offset:         48
        .size:           8
        .value_kind:     global_buffer
      - .offset:         56
        .size:           4
        .value_kind:     by_value
      - .actual_access:  write_only
        .address_space:  global
        .offset:         64
        .size:           8
        .value_kind:     global_buffer
      - .actual_access:  read_only
        .address_space:  global
        .offset:         72
        .size:           8
        .value_kind:     global_buffer
      - .actual_access:  write_only
        .address_space:  global
        .offset:         80
        .size:           8
        .value_kind:     global_buffer
    .group_segment_fixed_size: 16392
    .kernarg_segment_align: 8
    .kernarg_segment_size: 88
    .language:       OpenCL C
    .language_version:
      - 2
      - 0
    .max_flat_workgroup_size: 256
    .name:           _ZN9rocsparseL42csr2bsr_wavefront_per_row_multipass_kernelILj256ELj32ELj16E21rocsparse_complex_numIfEiiEEv20rocsparse_direction_T4_S4_S4_S4_S4_21rocsparse_index_base_PKT2_PKT3_PKS4_S5_PS6_PS9_PS4_
    .private_segment_fixed_size: 0
    .sgpr_count:     32
    .sgpr_spill_count: 0
    .symbol:         _ZN9rocsparseL42csr2bsr_wavefront_per_row_multipass_kernelILj256ELj32ELj16E21rocsparse_complex_numIfEiiEEv20rocsparse_direction_T4_S4_S4_S4_S4_21rocsparse_index_base_PKT2_PKT3_PKS4_S5_PS6_PS9_PS4_.kd
    .uniform_work_group_size: 1
    .uses_dynamic_stack: false
    .vgpr_count:     52
    .vgpr_spill_count: 0
    .wavefront_size: 32
  - .args:
      - .offset:         0
        .size:           4
        .value_kind:     by_value
      - .offset:         4
        .size:           4
        .value_kind:     by_value
      - .offset:         8
        .size:           4
        .value_kind:     by_value
      - .offset:         12
        .size:           4
        .value_kind:     by_value
      - .offset:         16
        .size:           4
        .value_kind:     by_value
      - .offset:         20
        .size:           4
        .value_kind:     by_value
      - .offset:         24
        .size:           4
        .value_kind:     by_value
      - .actual_access:  read_only
        .address_space:  global
        .offset:         32
        .size:           8
        .value_kind:     global_buffer
      - .actual_access:  read_only
        .address_space:  global
        .offset:         40
        .size:           8
        .value_kind:     global_buffer
      - .actual_access:  read_only
        .address_space:  global
        .offset:         48
        .size:           8
        .value_kind:     global_buffer
      - .offset:         56
        .size:           4
        .value_kind:     by_value
      - .actual_access:  write_only
        .address_space:  global
        .offset:         64
        .size:           8
        .value_kind:     global_buffer
      - .actual_access:  read_only
        .address_space:  global
        .offset:         72
        .size:           8
        .value_kind:     global_buffer
      - .actual_access:  write_only
        .address_space:  global
        .offset:         80
        .size:           8
        .value_kind:     global_buffer
    .group_segment_fixed_size: 8196
    .kernarg_segment_align: 8
    .kernarg_segment_size: 88
    .language:       OpenCL C
    .language_version:
      - 2
      - 0
    .max_flat_workgroup_size: 256
    .name:           _ZN9rocsparseL38csr2bsr_block_per_row_multipass_kernelILj256ELj32E21rocsparse_complex_numIfEiiEEv20rocsparse_direction_T3_S4_S4_S4_S4_21rocsparse_index_base_PKT1_PKT2_PKS4_S5_PS6_PS9_PS4_
    .private_segment_fixed_size: 0
    .sgpr_count:     38
    .sgpr_spill_count: 0
    .symbol:         _ZN9rocsparseL38csr2bsr_block_per_row_multipass_kernelILj256ELj32E21rocsparse_complex_numIfEiiEEv20rocsparse_direction_T3_S4_S4_S4_S4_21rocsparse_index_base_PKT1_PKT2_PKS4_S5_PS6_PS9_PS4_.kd
    .uniform_work_group_size: 1
    .uses_dynamic_stack: false
    .vgpr_count:     36
    .vgpr_spill_count: 0
    .wavefront_size: 32
  - .args:
      - .offset:         0
        .size:           4
        .value_kind:     by_value
      - .offset:         4
        .size:           4
        .value_kind:     by_value
      - .offset:         8
        .size:           4
        .value_kind:     by_value
      - .offset:         12
        .size:           4
        .value_kind:     by_value
      - .offset:         16
        .size:           4
        .value_kind:     by_value
      - .offset:         20
        .size:           4
        .value_kind:     by_value
      - .offset:         24
        .size:           4
        .value_kind:     by_value
      - .actual_access:  read_only
        .address_space:  global
        .offset:         32
        .size:           8
        .value_kind:     global_buffer
      - .actual_access:  read_only
        .address_space:  global
        .offset:         40
        .size:           8
        .value_kind:     global_buffer
      - .actual_access:  read_only
        .address_space:  global
        .offset:         48
        .size:           8
        .value_kind:     global_buffer
      - .offset:         56
        .size:           4
        .value_kind:     by_value
      - .actual_access:  write_only
        .address_space:  global
        .offset:         64
        .size:           8
        .value_kind:     global_buffer
      - .actual_access:  read_only
        .address_space:  global
        .offset:         72
        .size:           8
        .value_kind:     global_buffer
      - .actual_access:  write_only
        .address_space:  global
        .offset:         80
        .size:           8
        .value_kind:     global_buffer
    .group_segment_fixed_size: 32772
    .kernarg_segment_align: 8
    .kernarg_segment_size: 88
    .language:       OpenCL C
    .language_version:
      - 2
      - 0
    .max_flat_workgroup_size: 256
    .name:           _ZN9rocsparseL38csr2bsr_block_per_row_multipass_kernelILj256ELj64E21rocsparse_complex_numIfEiiEEv20rocsparse_direction_T3_S4_S4_S4_S4_21rocsparse_index_base_PKT1_PKT2_PKS4_S5_PS6_PS9_PS4_
    .private_segment_fixed_size: 0
    .sgpr_count:     50
    .sgpr_spill_count: 0
    .symbol:         _ZN9rocsparseL38csr2bsr_block_per_row_multipass_kernelILj256ELj64E21rocsparse_complex_numIfEiiEEv20rocsparse_direction_T3_S4_S4_S4_S4_21rocsparse_index_base_PKT1_PKT2_PKS4_S5_PS6_PS9_PS4_.kd
    .uniform_work_group_size: 1
    .uses_dynamic_stack: false
    .vgpr_count:     60
    .vgpr_spill_count: 0
    .wavefront_size: 32
  - .args:
      - .offset:         0
        .size:           4
        .value_kind:     by_value
      - .offset:         4
        .size:           4
        .value_kind:     by_value
      - .offset:         8
        .size:           4
        .value_kind:     by_value
      - .offset:         12
        .size:           4
        .value_kind:     by_value
      - .offset:         16
        .size:           4
        .value_kind:     by_value
      - .offset:         20
        .size:           4
        .value_kind:     by_value
      - .offset:         24
        .size:           4
        .value_kind:     by_value
      - .offset:         28
        .size:           4
        .value_kind:     by_value
      - .actual_access:  read_only
        .address_space:  global
        .offset:         32
        .size:           8
        .value_kind:     global_buffer
      - .actual_access:  read_only
        .address_space:  global
        .offset:         40
        .size:           8
        .value_kind:     global_buffer
      - .actual_access:  read_only
        .address_space:  global
        .offset:         48
        .size:           8
        .value_kind:     global_buffer
      - .offset:         56
        .size:           4
        .value_kind:     by_value
      - .actual_access:  write_only
        .address_space:  global
        .offset:         64
        .size:           8
        .value_kind:     global_buffer
      - .actual_access:  read_only
        .address_space:  global
        .offset:         72
        .size:           8
        .value_kind:     global_buffer
      - .actual_access:  write_only
        .address_space:  global
        .offset:         80
        .size:           8
        .value_kind:     global_buffer
      - .address_space:  global
        .offset:         88
        .size:           8
        .value_kind:     global_buffer
      - .address_space:  global
        .offset:         96
        .size:           8
        .value_kind:     global_buffer
      - .address_space:  global
        .offset:         104
        .size:           8
        .value_kind:     global_buffer
    .group_segment_fixed_size: 0
    .kernarg_segment_align: 8
    .kernarg_segment_size: 112
    .language:       OpenCL C
    .language_version:
      - 2
      - 0
    .max_flat_workgroup_size: 32
    .name:           _ZN9rocsparseL21csr2bsr_65_inf_kernelILj32E21rocsparse_complex_numIfEiiEEv20rocsparse_direction_T2_S4_S4_S4_S4_S4_21rocsparse_index_base_PKT0_PKT1_PKS4_S5_PS6_PS9_PS4_SF_SG_SE_
    .private_segment_fixed_size: 0
    .sgpr_count:     38
    .sgpr_spill_count: 0
    .symbol:         _ZN9rocsparseL21csr2bsr_65_inf_kernelILj32E21rocsparse_complex_numIfEiiEEv20rocsparse_direction_T2_S4_S4_S4_S4_S4_21rocsparse_index_base_PKT0_PKT1_PKS4_S5_PS6_PS9_PS4_SF_SG_SE_.kd
    .uniform_work_group_size: 1
    .uses_dynamic_stack: false
    .vgpr_count:     41
    .vgpr_spill_count: 0
    .wavefront_size: 32
  - .args:
      - .offset:         0
        .size:           4
        .value_kind:     by_value
      - .offset:         4
        .size:           4
        .value_kind:     by_value
      - .offset:         8
        .size:           4
        .value_kind:     by_value
      - .offset:         12
        .size:           4
        .value_kind:     by_value
      - .offset:         16
        .size:           4
        .value_kind:     by_value
      - .address_space:  global
        .offset:         24
        .size:           8
        .value_kind:     global_buffer
      - .address_space:  global
        .offset:         32
        .size:           8
        .value_kind:     global_buffer
      - .address_space:  global
        .offset:         40
        .size:           8
        .value_kind:     global_buffer
      - .offset:         48
        .size:           4
        .value_kind:     by_value
      - .address_space:  global
        .offset:         56
        .size:           8
        .value_kind:     global_buffer
      - .address_space:  global
        .offset:         64
        .size:           8
        .value_kind:     global_buffer
      - .address_space:  global
        .offset:         72
        .size:           8
        .value_kind:     global_buffer
      - .offset:         80
        .size:           4
        .value_kind:     hidden_block_count_x
      - .offset:         84
        .size:           4
        .value_kind:     hidden_block_count_y
      - .offset:         88
        .size:           4
        .value_kind:     hidden_block_count_z
      - .offset:         92
        .size:           2
        .value_kind:     hidden_group_size_x
      - .offset:         94
        .size:           2
        .value_kind:     hidden_group_size_y
      - .offset:         96
        .size:           2
        .value_kind:     hidden_group_size_z
      - .offset:         98
        .size:           2
        .value_kind:     hidden_remainder_x
      - .offset:         100
        .size:           2
        .value_kind:     hidden_remainder_y
      - .offset:         102
        .size:           2
        .value_kind:     hidden_remainder_z
      - .offset:         120
        .size:           8
        .value_kind:     hidden_global_offset_x
      - .offset:         128
        .size:           8
        .value_kind:     hidden_global_offset_y
      - .offset:         136
        .size:           8
        .value_kind:     hidden_global_offset_z
      - .offset:         144
        .size:           2
        .value_kind:     hidden_grid_dims
    .group_segment_fixed_size: 0
    .kernarg_segment_align: 8
    .kernarg_segment_size: 336
    .language:       OpenCL C
    .language_version:
      - 2
      - 0
    .max_flat_workgroup_size: 256
    .name:           _ZN9rocsparseL35csr2bsr_block_dim_equals_one_kernelILj256E21rocsparse_complex_numIfEliEEvT2_S3_S3_S3_21rocsparse_index_base_PKT0_PKT1_PKS3_S4_PS5_PS8_PS3_
    .private_segment_fixed_size: 0
    .sgpr_count:     20
    .sgpr_spill_count: 0
    .symbol:         _ZN9rocsparseL35csr2bsr_block_dim_equals_one_kernelILj256E21rocsparse_complex_numIfEliEEvT2_S3_S3_S3_21rocsparse_index_base_PKT0_PKT1_PKS3_S4_PS5_PS8_PS3_.kd
    .uniform_work_group_size: 1
    .uses_dynamic_stack: false
    .vgpr_count:     11
    .vgpr_spill_count: 0
    .wavefront_size: 32
  - .args:
      - .offset:         0
        .size:           4
        .value_kind:     by_value
      - .offset:         4
        .size:           4
        .value_kind:     by_value
      - .offset:         8
        .size:           4
        .value_kind:     by_value
      - .offset:         12
        .size:           4
        .value_kind:     by_value
      - .offset:         16
        .size:           4
        .value_kind:     by_value
      - .offset:         20
        .size:           4
        .value_kind:     by_value
      - .offset:         24
        .size:           4
        .value_kind:     by_value
      - .actual_access:  read_only
        .address_space:  global
        .offset:         32
        .size:           8
        .value_kind:     global_buffer
      - .actual_access:  read_only
        .address_space:  global
        .offset:         40
        .size:           8
        .value_kind:     global_buffer
      - .actual_access:  read_only
        .address_space:  global
        .offset:         48
        .size:           8
        .value_kind:     global_buffer
      - .offset:         56
        .size:           4
        .value_kind:     by_value
      - .actual_access:  write_only
        .address_space:  global
        .offset:         64
        .size:           8
        .value_kind:     global_buffer
      - .actual_access:  read_only
        .address_space:  global
        .offset:         72
        .size:           8
        .value_kind:     global_buffer
      - .actual_access:  write_only
        .address_space:  global
        .offset:         80
        .size:           8
        .value_kind:     global_buffer
    .group_segment_fixed_size: 2064
    .kernarg_segment_align: 8
    .kernarg_segment_size: 88
    .language:       OpenCL C
    .language_version:
      - 2
      - 0
    .max_flat_workgroup_size: 256
    .name:           _ZN9rocsparseL42csr2bsr_wavefront_per_row_multipass_kernelILj256ELj16ELj4E21rocsparse_complex_numIfEliEEv20rocsparse_direction_T4_S4_S4_S4_S4_21rocsparse_index_base_PKT2_PKT3_PKS4_S5_PS6_PS9_PS4_
    .private_segment_fixed_size: 0
    .sgpr_count:     25
    .sgpr_spill_count: 0
    .symbol:         _ZN9rocsparseL42csr2bsr_wavefront_per_row_multipass_kernelILj256ELj16ELj4E21rocsparse_complex_numIfEliEEv20rocsparse_direction_T4_S4_S4_S4_S4_21rocsparse_index_base_PKT2_PKT3_PKS4_S5_PS6_PS9_PS4_.kd
    .uniform_work_group_size: 1
    .uses_dynamic_stack: false
    .vgpr_count:     42
    .vgpr_spill_count: 0
    .wavefront_size: 32
  - .args:
      - .offset:         0
        .size:           4
        .value_kind:     by_value
      - .offset:         4
        .size:           4
        .value_kind:     by_value
      - .offset:         8
        .size:           4
        .value_kind:     by_value
      - .offset:         12
        .size:           4
        .value_kind:     by_value
      - .offset:         16
        .size:           4
        .value_kind:     by_value
      - .offset:         20
        .size:           4
        .value_kind:     by_value
      - .offset:         24
        .size:           4
        .value_kind:     by_value
      - .actual_access:  read_only
        .address_space:  global
        .offset:         32
        .size:           8
        .value_kind:     global_buffer
      - .actual_access:  read_only
        .address_space:  global
        .offset:         40
        .size:           8
        .value_kind:     global_buffer
      - .actual_access:  read_only
        .address_space:  global
        .offset:         48
        .size:           8
        .value_kind:     global_buffer
      - .offset:         56
        .size:           4
        .value_kind:     by_value
      - .actual_access:  write_only
        .address_space:  global
        .offset:         64
        .size:           8
        .value_kind:     global_buffer
      - .actual_access:  read_only
        .address_space:  global
        .offset:         72
        .size:           8
        .value_kind:     global_buffer
      - .actual_access:  write_only
        .address_space:  global
        .offset:         80
        .size:           8
        .value_kind:     global_buffer
    .group_segment_fixed_size: 2052
    .kernarg_segment_align: 8
    .kernarg_segment_size: 88
    .language:       OpenCL C
    .language_version:
      - 2
      - 0
    .max_flat_workgroup_size: 256
    .name:           _ZN9rocsparseL42csr2bsr_wavefront_per_row_multipass_kernelILj256ELj64ELj8E21rocsparse_complex_numIfEliEEv20rocsparse_direction_T4_S4_S4_S4_S4_21rocsparse_index_base_PKT2_PKT3_PKS4_S5_PS6_PS9_PS4_
    .private_segment_fixed_size: 0
    .sgpr_count:     25
    .sgpr_spill_count: 0
    .symbol:         _ZN9rocsparseL42csr2bsr_wavefront_per_row_multipass_kernelILj256ELj64ELj8E21rocsparse_complex_numIfEliEEv20rocsparse_direction_T4_S4_S4_S4_S4_21rocsparse_index_base_PKT2_PKT3_PKS4_S5_PS6_PS9_PS4_.kd
    .uniform_work_group_size: 1
    .uses_dynamic_stack: false
    .vgpr_count:     44
    .vgpr_spill_count: 0
    .wavefront_size: 32
  - .args:
      - .offset:         0
        .size:           4
        .value_kind:     by_value
      - .offset:         4
        .size:           4
        .value_kind:     by_value
      - .offset:         8
        .size:           4
        .value_kind:     by_value
      - .offset:         12
        .size:           4
        .value_kind:     by_value
      - .offset:         16
        .size:           4
        .value_kind:     by_value
      - .offset:         20
        .size:           4
        .value_kind:     by_value
      - .offset:         24
        .size:           4
        .value_kind:     by_value
      - .actual_access:  read_only
        .address_space:  global
        .offset:         32
        .size:           8
        .value_kind:     global_buffer
      - .actual_access:  read_only
        .address_space:  global
        .offset:         40
        .size:           8
        .value_kind:     global_buffer
      - .actual_access:  read_only
        .address_space:  global
        .offset:         48
        .size:           8
        .value_kind:     global_buffer
      - .offset:         56
        .size:           4
        .value_kind:     by_value
      - .actual_access:  write_only
        .address_space:  global
        .offset:         64
        .size:           8
        .value_kind:     global_buffer
      - .actual_access:  read_only
        .address_space:  global
        .offset:         72
        .size:           8
        .value_kind:     global_buffer
      - .actual_access:  write_only
        .address_space:  global
        .offset:         80
        .size:           8
        .value_kind:     global_buffer
    .group_segment_fixed_size: 4104
    .kernarg_segment_align: 8
    .kernarg_segment_size: 88
    .language:       OpenCL C
    .language_version:
      - 2
      - 0
    .max_flat_workgroup_size: 256
    .name:           _ZN9rocsparseL42csr2bsr_wavefront_per_row_multipass_kernelILj256ELj32ELj8E21rocsparse_complex_numIfEliEEv20rocsparse_direction_T4_S4_S4_S4_S4_21rocsparse_index_base_PKT2_PKT3_PKS4_S5_PS6_PS9_PS4_
    .private_segment_fixed_size: 0
    .sgpr_count:     26
    .sgpr_spill_count: 0
    .symbol:         _ZN9rocsparseL42csr2bsr_wavefront_per_row_multipass_kernelILj256ELj32ELj8E21rocsparse_complex_numIfEliEEv20rocsparse_direction_T4_S4_S4_S4_S4_21rocsparse_index_base_PKT2_PKT3_PKS4_S5_PS6_PS9_PS4_.kd
    .uniform_work_group_size: 1
    .uses_dynamic_stack: false
    .vgpr_count:     48
    .vgpr_spill_count: 0
    .wavefront_size: 32
  - .args:
      - .offset:         0
        .size:           4
        .value_kind:     by_value
      - .offset:         4
        .size:           4
        .value_kind:     by_value
      - .offset:         8
        .size:           4
        .value_kind:     by_value
      - .offset:         12
        .size:           4
        .value_kind:     by_value
      - .offset:         16
        .size:           4
        .value_kind:     by_value
      - .offset:         20
        .size:           4
        .value_kind:     by_value
      - .offset:         24
        .size:           4
        .value_kind:     by_value
      - .actual_access:  read_only
        .address_space:  global
        .offset:         32
        .size:           8
        .value_kind:     global_buffer
      - .actual_access:  read_only
        .address_space:  global
        .offset:         40
        .size:           8
        .value_kind:     global_buffer
      - .actual_access:  read_only
        .address_space:  global
        .offset:         48
        .size:           8
        .value_kind:     global_buffer
      - .offset:         56
        .size:           4
        .value_kind:     by_value
      - .actual_access:  write_only
        .address_space:  global
        .offset:         64
        .size:           8
        .value_kind:     global_buffer
      - .actual_access:  read_only
        .address_space:  global
        .offset:         72
        .size:           8
        .value_kind:     global_buffer
      - .actual_access:  write_only
        .address_space:  global
        .offset:         80
        .size:           8
        .value_kind:     global_buffer
    .group_segment_fixed_size: 8196
    .kernarg_segment_align: 8
    .kernarg_segment_size: 88
    .language:       OpenCL C
    .language_version:
      - 2
      - 0
    .max_flat_workgroup_size: 256
    .name:           _ZN9rocsparseL42csr2bsr_wavefront_per_row_multipass_kernelILj256ELj64ELj16E21rocsparse_complex_numIfEliEEv20rocsparse_direction_T4_S4_S4_S4_S4_21rocsparse_index_base_PKT2_PKT3_PKS4_S5_PS6_PS9_PS4_
    .private_segment_fixed_size: 0
    .sgpr_count:     28
    .sgpr_spill_count: 0
    .symbol:         _ZN9rocsparseL42csr2bsr_wavefront_per_row_multipass_kernelILj256ELj64ELj16E21rocsparse_complex_numIfEliEEv20rocsparse_direction_T4_S4_S4_S4_S4_21rocsparse_index_base_PKT2_PKT3_PKS4_S5_PS6_PS9_PS4_.kd
    .uniform_work_group_size: 1
    .uses_dynamic_stack: false
    .vgpr_count:     54
    .vgpr_spill_count: 0
    .wavefront_size: 32
  - .args:
      - .offset:         0
        .size:           4
        .value_kind:     by_value
      - .offset:         4
        .size:           4
        .value_kind:     by_value
      - .offset:         8
        .size:           4
        .value_kind:     by_value
      - .offset:         12
        .size:           4
        .value_kind:     by_value
      - .offset:         16
        .size:           4
        .value_kind:     by_value
      - .offset:         20
        .size:           4
        .value_kind:     by_value
      - .offset:         24
        .size:           4
        .value_kind:     by_value
      - .actual_access:  read_only
        .address_space:  global
        .offset:         32
        .size:           8
        .value_kind:     global_buffer
      - .actual_access:  read_only
        .address_space:  global
        .offset:         40
        .size:           8
        .value_kind:     global_buffer
      - .actual_access:  read_only
        .address_space:  global
        .offset:         48
        .size:           8
        .value_kind:     global_buffer
      - .offset:         56
        .size:           4
        .value_kind:     by_value
      - .actual_access:  write_only
        .address_space:  global
        .offset:         64
        .size:           8
        .value_kind:     global_buffer
      - .actual_access:  read_only
        .address_space:  global
        .offset:         72
        .size:           8
        .value_kind:     global_buffer
      - .actual_access:  write_only
        .address_space:  global
        .offset:         80
        .size:           8
        .value_kind:     global_buffer
    .group_segment_fixed_size: 16392
    .kernarg_segment_align: 8
    .kernarg_segment_size: 88
    .language:       OpenCL C
    .language_version:
      - 2
      - 0
    .max_flat_workgroup_size: 256
    .name:           _ZN9rocsparseL42csr2bsr_wavefront_per_row_multipass_kernelILj256ELj32ELj16E21rocsparse_complex_numIfEliEEv20rocsparse_direction_T4_S4_S4_S4_S4_21rocsparse_index_base_PKT2_PKT3_PKS4_S5_PS6_PS9_PS4_
    .private_segment_fixed_size: 0
    .sgpr_count:     32
    .sgpr_spill_count: 0
    .symbol:         _ZN9rocsparseL42csr2bsr_wavefront_per_row_multipass_kernelILj256ELj32ELj16E21rocsparse_complex_numIfEliEEv20rocsparse_direction_T4_S4_S4_S4_S4_21rocsparse_index_base_PKT2_PKT3_PKS4_S5_PS6_PS9_PS4_.kd
    .uniform_work_group_size: 1
    .uses_dynamic_stack: false
    .vgpr_count:     60
    .vgpr_spill_count: 0
    .wavefront_size: 32
  - .args:
      - .offset:         0
        .size:           4
        .value_kind:     by_value
      - .offset:         4
        .size:           4
        .value_kind:     by_value
      - .offset:         8
        .size:           4
        .value_kind:     by_value
      - .offset:         12
        .size:           4
        .value_kind:     by_value
      - .offset:         16
        .size:           4
        .value_kind:     by_value
      - .offset:         20
        .size:           4
        .value_kind:     by_value
      - .offset:         24
        .size:           4
        .value_kind:     by_value
      - .actual_access:  read_only
        .address_space:  global
        .offset:         32
        .size:           8
        .value_kind:     global_buffer
      - .actual_access:  read_only
        .address_space:  global
        .offset:         40
        .size:           8
        .value_kind:     global_buffer
      - .actual_access:  read_only
        .address_space:  global
        .offset:         48
        .size:           8
        .value_kind:     global_buffer
      - .offset:         56
        .size:           4
        .value_kind:     by_value
      - .actual_access:  write_only
        .address_space:  global
        .offset:         64
        .size:           8
        .value_kind:     global_buffer
      - .actual_access:  read_only
        .address_space:  global
        .offset:         72
        .size:           8
        .value_kind:     global_buffer
      - .actual_access:  write_only
        .address_space:  global
        .offset:         80
        .size:           8
        .value_kind:     global_buffer
    .group_segment_fixed_size: 8196
    .kernarg_segment_align: 8
    .kernarg_segment_size: 88
    .language:       OpenCL C
    .language_version:
      - 2
      - 0
    .max_flat_workgroup_size: 256
    .name:           _ZN9rocsparseL38csr2bsr_block_per_row_multipass_kernelILj256ELj32E21rocsparse_complex_numIfEliEEv20rocsparse_direction_T3_S4_S4_S4_S4_21rocsparse_index_base_PKT1_PKT2_PKS4_S5_PS6_PS9_PS4_
    .private_segment_fixed_size: 0
    .sgpr_count:     38
    .sgpr_spill_count: 0
    .symbol:         _ZN9rocsparseL38csr2bsr_block_per_row_multipass_kernelILj256ELj32E21rocsparse_complex_numIfEliEEv20rocsparse_direction_T3_S4_S4_S4_S4_21rocsparse_index_base_PKT1_PKT2_PKS4_S5_PS6_PS9_PS4_.kd
    .uniform_work_group_size: 1
    .uses_dynamic_stack: false
    .vgpr_count:     46
    .vgpr_spill_count: 0
    .wavefront_size: 32
  - .args:
      - .offset:         0
        .size:           4
        .value_kind:     by_value
      - .offset:         4
        .size:           4
        .value_kind:     by_value
      - .offset:         8
        .size:           4
        .value_kind:     by_value
      - .offset:         12
        .size:           4
        .value_kind:     by_value
      - .offset:         16
        .size:           4
        .value_kind:     by_value
      - .offset:         20
        .size:           4
        .value_kind:     by_value
      - .offset:         24
        .size:           4
        .value_kind:     by_value
      - .actual_access:  read_only
        .address_space:  global
        .offset:         32
        .size:           8
        .value_kind:     global_buffer
      - .actual_access:  read_only
        .address_space:  global
        .offset:         40
        .size:           8
        .value_kind:     global_buffer
      - .actual_access:  read_only
        .address_space:  global
        .offset:         48
        .size:           8
        .value_kind:     global_buffer
      - .offset:         56
        .size:           4
        .value_kind:     by_value
      - .actual_access:  write_only
        .address_space:  global
        .offset:         64
        .size:           8
        .value_kind:     global_buffer
      - .actual_access:  read_only
        .address_space:  global
        .offset:         72
        .size:           8
        .value_kind:     global_buffer
      - .actual_access:  write_only
        .address_space:  global
        .offset:         80
        .size:           8
        .value_kind:     global_buffer
    .group_segment_fixed_size: 32772
    .kernarg_segment_align: 8
    .kernarg_segment_size: 88
    .language:       OpenCL C
    .language_version:
      - 2
      - 0
    .max_flat_workgroup_size: 256
    .name:           _ZN9rocsparseL38csr2bsr_block_per_row_multipass_kernelILj256ELj64E21rocsparse_complex_numIfEliEEv20rocsparse_direction_T3_S4_S4_S4_S4_21rocsparse_index_base_PKT1_PKT2_PKS4_S5_PS6_PS9_PS4_
    .private_segment_fixed_size: 0
    .sgpr_count:     50
    .sgpr_spill_count: 0
    .symbol:         _ZN9rocsparseL38csr2bsr_block_per_row_multipass_kernelILj256ELj64E21rocsparse_complex_numIfEliEEv20rocsparse_direction_T3_S4_S4_S4_S4_21rocsparse_index_base_PKT1_PKT2_PKS4_S5_PS6_PS9_PS4_.kd
    .uniform_work_group_size: 1
    .uses_dynamic_stack: false
    .vgpr_count:     70
    .vgpr_spill_count: 0
    .wavefront_size: 32
  - .args:
      - .offset:         0
        .size:           4
        .value_kind:     by_value
      - .offset:         4
        .size:           4
        .value_kind:     by_value
      - .offset:         8
        .size:           4
        .value_kind:     by_value
      - .offset:         12
        .size:           4
        .value_kind:     by_value
      - .offset:         16
        .size:           4
        .value_kind:     by_value
      - .offset:         20
        .size:           4
        .value_kind:     by_value
      - .offset:         24
        .size:           4
        .value_kind:     by_value
      - .offset:         28
        .size:           4
        .value_kind:     by_value
      - .actual_access:  read_only
        .address_space:  global
        .offset:         32
        .size:           8
        .value_kind:     global_buffer
      - .actual_access:  read_only
        .address_space:  global
        .offset:         40
        .size:           8
        .value_kind:     global_buffer
      - .actual_access:  read_only
        .address_space:  global
        .offset:         48
        .size:           8
        .value_kind:     global_buffer
      - .offset:         56
        .size:           4
        .value_kind:     by_value
      - .actual_access:  write_only
        .address_space:  global
        .offset:         64
        .size:           8
        .value_kind:     global_buffer
      - .actual_access:  read_only
        .address_space:  global
        .offset:         72
        .size:           8
        .value_kind:     global_buffer
      - .actual_access:  write_only
        .address_space:  global
        .offset:         80
        .size:           8
        .value_kind:     global_buffer
      - .address_space:  global
        .offset:         88
        .size:           8
        .value_kind:     global_buffer
      - .address_space:  global
        .offset:         96
        .size:           8
        .value_kind:     global_buffer
      - .address_space:  global
        .offset:         104
        .size:           8
        .value_kind:     global_buffer
    .group_segment_fixed_size: 0
    .kernarg_segment_align: 8
    .kernarg_segment_size: 112
    .language:       OpenCL C
    .language_version:
      - 2
      - 0
    .max_flat_workgroup_size: 32
    .name:           _ZN9rocsparseL21csr2bsr_65_inf_kernelILj32E21rocsparse_complex_numIfEliEEv20rocsparse_direction_T2_S4_S4_S4_S4_S4_21rocsparse_index_base_PKT0_PKT1_PKS4_S5_PS6_PS9_PS4_SF_SG_SE_
    .private_segment_fixed_size: 0
    .sgpr_count:     38
    .sgpr_spill_count: 0
    .symbol:         _ZN9rocsparseL21csr2bsr_65_inf_kernelILj32E21rocsparse_complex_numIfEliEEv20rocsparse_direction_T2_S4_S4_S4_S4_S4_21rocsparse_index_base_PKT0_PKT1_PKS4_S5_PS6_PS9_PS4_SF_SG_SE_.kd
    .uniform_work_group_size: 1
    .uses_dynamic_stack: false
    .vgpr_count:     41
    .vgpr_spill_count: 0
    .wavefront_size: 32
  - .args:
      - .offset:         0
        .size:           8
        .value_kind:     by_value
      - .offset:         8
        .size:           8
        .value_kind:     by_value
      - .offset:         16
        .size:           8
        .value_kind:     by_value
      - .offset:         24
        .size:           8
        .value_kind:     by_value
      - .offset:         32
        .size:           4
        .value_kind:     by_value
      - .address_space:  global
        .offset:         40
        .size:           8
        .value_kind:     global_buffer
      - .address_space:  global
        .offset:         48
        .size:           8
        .value_kind:     global_buffer
      - .address_space:  global
        .offset:         56
        .size:           8
        .value_kind:     global_buffer
      - .offset:         64
        .size:           4
        .value_kind:     by_value
      - .address_space:  global
        .offset:         72
        .size:           8
        .value_kind:     global_buffer
      - .address_space:  global
        .offset:         80
        .size:           8
        .value_kind:     global_buffer
      - .address_space:  global
        .offset:         88
        .size:           8
        .value_kind:     global_buffer
      - .offset:         96
        .size:           4
        .value_kind:     hidden_block_count_x
      - .offset:         100
        .size:           4
        .value_kind:     hidden_block_count_y
      - .offset:         104
        .size:           4
        .value_kind:     hidden_block_count_z
      - .offset:         108
        .size:           2
        .value_kind:     hidden_group_size_x
      - .offset:         110
        .size:           2
        .value_kind:     hidden_group_size_y
      - .offset:         112
        .size:           2
        .value_kind:     hidden_group_size_z
      - .offset:         114
        .size:           2
        .value_kind:     hidden_remainder_x
      - .offset:         116
        .size:           2
        .value_kind:     hidden_remainder_y
      - .offset:         118
        .size:           2
        .value_kind:     hidden_remainder_z
      - .offset:         136
        .size:           8
        .value_kind:     hidden_global_offset_x
      - .offset:         144
        .size:           8
        .value_kind:     hidden_global_offset_y
      - .offset:         152
        .size:           8
        .value_kind:     hidden_global_offset_z
      - .offset:         160
        .size:           2
        .value_kind:     hidden_grid_dims
    .group_segment_fixed_size: 0
    .kernarg_segment_align: 8
    .kernarg_segment_size: 352
    .language:       OpenCL C
    .language_version:
      - 2
      - 0
    .max_flat_workgroup_size: 256
    .name:           _ZN9rocsparseL35csr2bsr_block_dim_equals_one_kernelILj256E21rocsparse_complex_numIfEilEEvT2_S3_S3_S3_21rocsparse_index_base_PKT0_PKT1_PKS3_S4_PS5_PS8_PS3_
    .private_segment_fixed_size: 0
    .sgpr_count:     17
    .sgpr_spill_count: 0
    .symbol:         _ZN9rocsparseL35csr2bsr_block_dim_equals_one_kernelILj256E21rocsparse_complex_numIfEilEEvT2_S3_S3_S3_21rocsparse_index_base_PKT0_PKT1_PKS3_S4_PS5_PS8_PS3_.kd
    .uniform_work_group_size: 1
    .uses_dynamic_stack: false
    .vgpr_count:     4
    .vgpr_spill_count: 0
    .wavefront_size: 32
  - .args:
      - .offset:         0
        .size:           4
        .value_kind:     by_value
      - .offset:         8
        .size:           8
        .value_kind:     by_value
      - .offset:         16
        .size:           8
        .value_kind:     by_value
      - .offset:         24
        .size:           8
        .value_kind:     by_value
      - .offset:         32
        .size:           8
        .value_kind:     by_value
      - .offset:         40
        .size:           8
        .value_kind:     by_value
      - .offset:         48
        .size:           4
        .value_kind:     by_value
      - .actual_access:  read_only
        .address_space:  global
        .offset:         56
        .size:           8
        .value_kind:     global_buffer
      - .actual_access:  read_only
        .address_space:  global
        .offset:         64
        .size:           8
        .value_kind:     global_buffer
      - .actual_access:  read_only
        .address_space:  global
        .offset:         72
        .size:           8
        .value_kind:     global_buffer
      - .offset:         80
        .size:           4
        .value_kind:     by_value
      - .actual_access:  write_only
        .address_space:  global
        .offset:         88
        .size:           8
        .value_kind:     global_buffer
      - .actual_access:  read_only
        .address_space:  global
        .offset:         96
        .size:           8
        .value_kind:     global_buffer
      - .actual_access:  write_only
        .address_space:  global
        .offset:         104
        .size:           8
        .value_kind:     global_buffer
    .group_segment_fixed_size: 2064
    .kernarg_segment_align: 8
    .kernarg_segment_size: 112
    .language:       OpenCL C
    .language_version:
      - 2
      - 0
    .max_flat_workgroup_size: 256
    .name:           _ZN9rocsparseL42csr2bsr_wavefront_per_row_multipass_kernelILj256ELj16ELj4E21rocsparse_complex_numIfEilEEv20rocsparse_direction_T4_S4_S4_S4_S4_21rocsparse_index_base_PKT2_PKT3_PKS4_S5_PS6_PS9_PS4_
    .private_segment_fixed_size: 0
    .sgpr_count:     43
    .sgpr_spill_count: 0
    .symbol:         _ZN9rocsparseL42csr2bsr_wavefront_per_row_multipass_kernelILj256ELj16ELj4E21rocsparse_complex_numIfEilEEv20rocsparse_direction_T4_S4_S4_S4_S4_21rocsparse_index_base_PKT2_PKT3_PKS4_S5_PS6_PS9_PS4_.kd
    .uniform_work_group_size: 1
    .uses_dynamic_stack: false
    .vgpr_count:     46
    .vgpr_spill_count: 0
    .wavefront_size: 32
  - .args:
      - .offset:         0
        .size:           4
        .value_kind:     by_value
      - .offset:         8
        .size:           8
        .value_kind:     by_value
      - .offset:         16
        .size:           8
        .value_kind:     by_value
      - .offset:         24
        .size:           8
        .value_kind:     by_value
      - .offset:         32
        .size:           8
        .value_kind:     by_value
      - .offset:         40
        .size:           8
        .value_kind:     by_value
      - .offset:         48
        .size:           4
        .value_kind:     by_value
      - .actual_access:  read_only
        .address_space:  global
        .offset:         56
        .size:           8
        .value_kind:     global_buffer
      - .actual_access:  read_only
        .address_space:  global
        .offset:         64
        .size:           8
        .value_kind:     global_buffer
      - .actual_access:  read_only
        .address_space:  global
        .offset:         72
        .size:           8
        .value_kind:     global_buffer
      - .offset:         80
        .size:           4
        .value_kind:     by_value
      - .actual_access:  write_only
        .address_space:  global
        .offset:         88
        .size:           8
        .value_kind:     global_buffer
      - .actual_access:  read_only
        .address_space:  global
        .offset:         96
        .size:           8
        .value_kind:     global_buffer
      - .actual_access:  write_only
        .address_space:  global
        .offset:         104
        .size:           8
        .value_kind:     global_buffer
    .group_segment_fixed_size: 2052
    .kernarg_segment_align: 8
    .kernarg_segment_size: 112
    .language:       OpenCL C
    .language_version:
      - 2
      - 0
    .max_flat_workgroup_size: 256
    .name:           _ZN9rocsparseL42csr2bsr_wavefront_per_row_multipass_kernelILj256ELj64ELj8E21rocsparse_complex_numIfEilEEv20rocsparse_direction_T4_S4_S4_S4_S4_21rocsparse_index_base_PKT2_PKT3_PKS4_S5_PS6_PS9_PS4_
    .private_segment_fixed_size: 0
    .sgpr_count:     43
    .sgpr_spill_count: 0
    .symbol:         _ZN9rocsparseL42csr2bsr_wavefront_per_row_multipass_kernelILj256ELj64ELj8E21rocsparse_complex_numIfEilEEv20rocsparse_direction_T4_S4_S4_S4_S4_21rocsparse_index_base_PKT2_PKT3_PKS4_S5_PS6_PS9_PS4_.kd
    .uniform_work_group_size: 1
    .uses_dynamic_stack: false
    .vgpr_count:     48
    .vgpr_spill_count: 0
    .wavefront_size: 32
  - .args:
      - .offset:         0
        .size:           4
        .value_kind:     by_value
      - .offset:         8
        .size:           8
        .value_kind:     by_value
      - .offset:         16
        .size:           8
        .value_kind:     by_value
      - .offset:         24
        .size:           8
        .value_kind:     by_value
      - .offset:         32
        .size:           8
        .value_kind:     by_value
      - .offset:         40
        .size:           8
        .value_kind:     by_value
      - .offset:         48
        .size:           4
        .value_kind:     by_value
      - .actual_access:  read_only
        .address_space:  global
        .offset:         56
        .size:           8
        .value_kind:     global_buffer
      - .actual_access:  read_only
        .address_space:  global
        .offset:         64
        .size:           8
        .value_kind:     global_buffer
      - .actual_access:  read_only
        .address_space:  global
        .offset:         72
        .size:           8
        .value_kind:     global_buffer
      - .offset:         80
        .size:           4
        .value_kind:     by_value
      - .actual_access:  write_only
        .address_space:  global
        .offset:         88
        .size:           8
        .value_kind:     global_buffer
      - .actual_access:  read_only
        .address_space:  global
        .offset:         96
        .size:           8
        .value_kind:     global_buffer
      - .actual_access:  write_only
        .address_space:  global
        .offset:         104
        .size:           8
        .value_kind:     global_buffer
    .group_segment_fixed_size: 4104
    .kernarg_segment_align: 8
    .kernarg_segment_size: 112
    .language:       OpenCL C
    .language_version:
      - 2
      - 0
    .max_flat_workgroup_size: 256
    .name:           _ZN9rocsparseL42csr2bsr_wavefront_per_row_multipass_kernelILj256ELj32ELj8E21rocsparse_complex_numIfEilEEv20rocsparse_direction_T4_S4_S4_S4_S4_21rocsparse_index_base_PKT2_PKT3_PKS4_S5_PS6_PS9_PS4_
    .private_segment_fixed_size: 0
    .sgpr_count:     44
    .sgpr_spill_count: 0
    .symbol:         _ZN9rocsparseL42csr2bsr_wavefront_per_row_multipass_kernelILj256ELj32ELj8E21rocsparse_complex_numIfEilEEv20rocsparse_direction_T4_S4_S4_S4_S4_21rocsparse_index_base_PKT2_PKT3_PKS4_S5_PS6_PS9_PS4_.kd
    .uniform_work_group_size: 1
    .uses_dynamic_stack: false
    .vgpr_count:     52
    .vgpr_spill_count: 0
    .wavefront_size: 32
  - .args:
      - .offset:         0
        .size:           4
        .value_kind:     by_value
      - .offset:         8
        .size:           8
        .value_kind:     by_value
      - .offset:         16
        .size:           8
        .value_kind:     by_value
      - .offset:         24
        .size:           8
        .value_kind:     by_value
      - .offset:         32
        .size:           8
        .value_kind:     by_value
      - .offset:         40
        .size:           8
        .value_kind:     by_value
      - .offset:         48
        .size:           4
        .value_kind:     by_value
      - .actual_access:  read_only
        .address_space:  global
        .offset:         56
        .size:           8
        .value_kind:     global_buffer
      - .actual_access:  read_only
        .address_space:  global
        .offset:         64
        .size:           8
        .value_kind:     global_buffer
      - .actual_access:  read_only
        .address_space:  global
        .offset:         72
        .size:           8
        .value_kind:     global_buffer
      - .offset:         80
        .size:           4
        .value_kind:     by_value
      - .actual_access:  write_only
        .address_space:  global
        .offset:         88
        .size:           8
        .value_kind:     global_buffer
      - .actual_access:  read_only
        .address_space:  global
        .offset:         96
        .size:           8
        .value_kind:     global_buffer
      - .actual_access:  write_only
        .address_space:  global
        .offset:         104
        .size:           8
        .value_kind:     global_buffer
    .group_segment_fixed_size: 8196
    .kernarg_segment_align: 8
    .kernarg_segment_size: 112
    .language:       OpenCL C
    .language_version:
      - 2
      - 0
    .max_flat_workgroup_size: 256
    .name:           _ZN9rocsparseL42csr2bsr_wavefront_per_row_multipass_kernelILj256ELj64ELj16E21rocsparse_complex_numIfEilEEv20rocsparse_direction_T4_S4_S4_S4_S4_21rocsparse_index_base_PKT2_PKT3_PKS4_S5_PS6_PS9_PS4_
    .private_segment_fixed_size: 0
    .sgpr_count:     45
    .sgpr_spill_count: 0
    .symbol:         _ZN9rocsparseL42csr2bsr_wavefront_per_row_multipass_kernelILj256ELj64ELj16E21rocsparse_complex_numIfEilEEv20rocsparse_direction_T4_S4_S4_S4_S4_21rocsparse_index_base_PKT2_PKT3_PKS4_S5_PS6_PS9_PS4_.kd
    .uniform_work_group_size: 1
    .uses_dynamic_stack: false
    .vgpr_count:     58
    .vgpr_spill_count: 0
    .wavefront_size: 32
  - .args:
      - .offset:         0
        .size:           4
        .value_kind:     by_value
      - .offset:         8
        .size:           8
        .value_kind:     by_value
      - .offset:         16
        .size:           8
        .value_kind:     by_value
      - .offset:         24
        .size:           8
        .value_kind:     by_value
      - .offset:         32
        .size:           8
        .value_kind:     by_value
      - .offset:         40
        .size:           8
        .value_kind:     by_value
      - .offset:         48
        .size:           4
        .value_kind:     by_value
      - .actual_access:  read_only
        .address_space:  global
        .offset:         56
        .size:           8
        .value_kind:     global_buffer
      - .actual_access:  read_only
        .address_space:  global
        .offset:         64
        .size:           8
        .value_kind:     global_buffer
      - .actual_access:  read_only
        .address_space:  global
        .offset:         72
        .size:           8
        .value_kind:     global_buffer
      - .offset:         80
        .size:           4
        .value_kind:     by_value
      - .actual_access:  write_only
        .address_space:  global
        .offset:         88
        .size:           8
        .value_kind:     global_buffer
      - .actual_access:  read_only
        .address_space:  global
        .offset:         96
        .size:           8
        .value_kind:     global_buffer
      - .actual_access:  write_only
        .address_space:  global
        .offset:         104
        .size:           8
        .value_kind:     global_buffer
    .group_segment_fixed_size: 16392
    .kernarg_segment_align: 8
    .kernarg_segment_size: 112
    .language:       OpenCL C
    .language_version:
      - 2
      - 0
    .max_flat_workgroup_size: 256
    .name:           _ZN9rocsparseL42csr2bsr_wavefront_per_row_multipass_kernelILj256ELj32ELj16E21rocsparse_complex_numIfEilEEv20rocsparse_direction_T4_S4_S4_S4_S4_21rocsparse_index_base_PKT2_PKT3_PKS4_S5_PS6_PS9_PS4_
    .private_segment_fixed_size: 0
    .sgpr_count:     49
    .sgpr_spill_count: 0
    .symbol:         _ZN9rocsparseL42csr2bsr_wavefront_per_row_multipass_kernelILj256ELj32ELj16E21rocsparse_complex_numIfEilEEv20rocsparse_direction_T4_S4_S4_S4_S4_21rocsparse_index_base_PKT2_PKT3_PKS4_S5_PS6_PS9_PS4_.kd
    .uniform_work_group_size: 1
    .uses_dynamic_stack: false
    .vgpr_count:     66
    .vgpr_spill_count: 0
    .wavefront_size: 32
  - .args:
      - .offset:         0
        .size:           4
        .value_kind:     by_value
      - .offset:         8
        .size:           8
        .value_kind:     by_value
      - .offset:         16
        .size:           8
        .value_kind:     by_value
      - .offset:         24
        .size:           8
        .value_kind:     by_value
      - .offset:         32
        .size:           8
        .value_kind:     by_value
      - .offset:         40
        .size:           8
        .value_kind:     by_value
      - .offset:         48
        .size:           4
        .value_kind:     by_value
      - .actual_access:  read_only
        .address_space:  global
        .offset:         56
        .size:           8
        .value_kind:     global_buffer
      - .actual_access:  read_only
        .address_space:  global
        .offset:         64
        .size:           8
        .value_kind:     global_buffer
      - .actual_access:  read_only
        .address_space:  global
        .offset:         72
        .size:           8
        .value_kind:     global_buffer
      - .offset:         80
        .size:           4
        .value_kind:     by_value
      - .actual_access:  write_only
        .address_space:  global
        .offset:         88
        .size:           8
        .value_kind:     global_buffer
      - .actual_access:  read_only
        .address_space:  global
        .offset:         96
        .size:           8
        .value_kind:     global_buffer
      - .actual_access:  write_only
        .address_space:  global
        .offset:         104
        .size:           8
        .value_kind:     global_buffer
    .group_segment_fixed_size: 8196
    .kernarg_segment_align: 8
    .kernarg_segment_size: 112
    .language:       OpenCL C
    .language_version:
      - 2
      - 0
    .max_flat_workgroup_size: 256
    .name:           _ZN9rocsparseL38csr2bsr_block_per_row_multipass_kernelILj256ELj32E21rocsparse_complex_numIfEilEEv20rocsparse_direction_T3_S4_S4_S4_S4_21rocsparse_index_base_PKT1_PKT2_PKS4_S5_PS6_PS9_PS4_
    .private_segment_fixed_size: 0
    .sgpr_count:     53
    .sgpr_spill_count: 0
    .symbol:         _ZN9rocsparseL38csr2bsr_block_per_row_multipass_kernelILj256ELj32E21rocsparse_complex_numIfEilEEv20rocsparse_direction_T3_S4_S4_S4_S4_21rocsparse_index_base_PKT1_PKT2_PKS4_S5_PS6_PS9_PS4_.kd
    .uniform_work_group_size: 1
    .uses_dynamic_stack: false
    .vgpr_count:     52
    .vgpr_spill_count: 0
    .wavefront_size: 32
  - .args:
      - .offset:         0
        .size:           4
        .value_kind:     by_value
      - .offset:         8
        .size:           8
        .value_kind:     by_value
      - .offset:         16
        .size:           8
        .value_kind:     by_value
      - .offset:         24
        .size:           8
        .value_kind:     by_value
      - .offset:         32
        .size:           8
        .value_kind:     by_value
      - .offset:         40
        .size:           8
        .value_kind:     by_value
      - .offset:         48
        .size:           4
        .value_kind:     by_value
      - .actual_access:  read_only
        .address_space:  global
        .offset:         56
        .size:           8
        .value_kind:     global_buffer
      - .actual_access:  read_only
        .address_space:  global
        .offset:         64
        .size:           8
        .value_kind:     global_buffer
      - .actual_access:  read_only
        .address_space:  global
        .offset:         72
        .size:           8
        .value_kind:     global_buffer
      - .offset:         80
        .size:           4
        .value_kind:     by_value
      - .actual_access:  write_only
        .address_space:  global
        .offset:         88
        .size:           8
        .value_kind:     global_buffer
      - .actual_access:  read_only
        .address_space:  global
        .offset:         96
        .size:           8
        .value_kind:     global_buffer
      - .actual_access:  write_only
        .address_space:  global
        .offset:         104
        .size:           8
        .value_kind:     global_buffer
    .group_segment_fixed_size: 32772
    .kernarg_segment_align: 8
    .kernarg_segment_size: 112
    .language:       OpenCL C
    .language_version:
      - 2
      - 0
    .max_flat_workgroup_size: 256
    .name:           _ZN9rocsparseL38csr2bsr_block_per_row_multipass_kernelILj256ELj64E21rocsparse_complex_numIfEilEEv20rocsparse_direction_T3_S4_S4_S4_S4_21rocsparse_index_base_PKT1_PKT2_PKS4_S5_PS6_PS9_PS4_
    .private_segment_fixed_size: 0
    .sgpr_count:     54
    .sgpr_spill_count: 0
    .symbol:         _ZN9rocsparseL38csr2bsr_block_per_row_multipass_kernelILj256ELj64E21rocsparse_complex_numIfEilEEv20rocsparse_direction_T3_S4_S4_S4_S4_21rocsparse_index_base_PKT1_PKT2_PKS4_S5_PS6_PS9_PS4_.kd
    .uniform_work_group_size: 1
    .uses_dynamic_stack: false
    .vgpr_count:     52
    .vgpr_spill_count: 0
    .wavefront_size: 32
  - .args:
      - .offset:         0
        .size:           4
        .value_kind:     by_value
      - .offset:         8
        .size:           8
        .value_kind:     by_value
      - .offset:         16
        .size:           8
        .value_kind:     by_value
      - .offset:         24
        .size:           8
        .value_kind:     by_value
      - .offset:         32
        .size:           8
        .value_kind:     by_value
      - .offset:         40
        .size:           8
        .value_kind:     by_value
      - .offset:         48
        .size:           8
        .value_kind:     by_value
      - .offset:         56
        .size:           4
        .value_kind:     by_value
      - .actual_access:  read_only
        .address_space:  global
        .offset:         64
        .size:           8
        .value_kind:     global_buffer
      - .actual_access:  read_only
        .address_space:  global
        .offset:         72
        .size:           8
        .value_kind:     global_buffer
      - .actual_access:  read_only
        .address_space:  global
        .offset:         80
        .size:           8
        .value_kind:     global_buffer
      - .offset:         88
        .size:           4
        .value_kind:     by_value
      - .actual_access:  write_only
        .address_space:  global
        .offset:         96
        .size:           8
        .value_kind:     global_buffer
      - .actual_access:  read_only
        .address_space:  global
        .offset:         104
        .size:           8
        .value_kind:     global_buffer
      - .actual_access:  write_only
        .address_space:  global
        .offset:         112
        .size:           8
        .value_kind:     global_buffer
      - .address_space:  global
        .offset:         120
        .size:           8
        .value_kind:     global_buffer
      - .address_space:  global
        .offset:         128
        .size:           8
        .value_kind:     global_buffer
      - .address_space:  global
        .offset:         136
        .size:           8
        .value_kind:     global_buffer
    .group_segment_fixed_size: 0
    .kernarg_segment_align: 8
    .kernarg_segment_size: 144
    .language:       OpenCL C
    .language_version:
      - 2
      - 0
    .max_flat_workgroup_size: 32
    .name:           _ZN9rocsparseL21csr2bsr_65_inf_kernelILj32E21rocsparse_complex_numIfEilEEv20rocsparse_direction_T2_S4_S4_S4_S4_S4_21rocsparse_index_base_PKT0_PKT1_PKS4_S5_PS6_PS9_PS4_SF_SG_SE_
    .private_segment_fixed_size: 0
    .sgpr_count:     54
    .sgpr_spill_count: 0
    .symbol:         _ZN9rocsparseL21csr2bsr_65_inf_kernelILj32E21rocsparse_complex_numIfEilEEv20rocsparse_direction_T2_S4_S4_S4_S4_S4_21rocsparse_index_base_PKT0_PKT1_PKS4_S5_PS6_PS9_PS4_SF_SG_SE_.kd
    .uniform_work_group_size: 1
    .uses_dynamic_stack: false
    .vgpr_count:     58
    .vgpr_spill_count: 0
    .wavefront_size: 32
  - .args:
      - .offset:         0
        .size:           8
        .value_kind:     by_value
      - .offset:         8
        .size:           8
        .value_kind:     by_value
      - .offset:         16
        .size:           8
        .value_kind:     by_value
      - .offset:         24
        .size:           8
        .value_kind:     by_value
      - .offset:         32
        .size:           4
        .value_kind:     by_value
      - .address_space:  global
        .offset:         40
        .size:           8
        .value_kind:     global_buffer
      - .address_space:  global
        .offset:         48
        .size:           8
        .value_kind:     global_buffer
      - .address_space:  global
        .offset:         56
        .size:           8
        .value_kind:     global_buffer
      - .offset:         64
        .size:           4
        .value_kind:     by_value
      - .address_space:  global
        .offset:         72
        .size:           8
        .value_kind:     global_buffer
      - .address_space:  global
        .offset:         80
        .size:           8
        .value_kind:     global_buffer
      - .address_space:  global
        .offset:         88
        .size:           8
        .value_kind:     global_buffer
      - .offset:         96
        .size:           4
        .value_kind:     hidden_block_count_x
      - .offset:         100
        .size:           4
        .value_kind:     hidden_block_count_y
      - .offset:         104
        .size:           4
        .value_kind:     hidden_block_count_z
      - .offset:         108
        .size:           2
        .value_kind:     hidden_group_size_x
      - .offset:         110
        .size:           2
        .value_kind:     hidden_group_size_y
      - .offset:         112
        .size:           2
        .value_kind:     hidden_group_size_z
      - .offset:         114
        .size:           2
        .value_kind:     hidden_remainder_x
      - .offset:         116
        .size:           2
        .value_kind:     hidden_remainder_y
      - .offset:         118
        .size:           2
        .value_kind:     hidden_remainder_z
      - .offset:         136
        .size:           8
        .value_kind:     hidden_global_offset_x
      - .offset:         144
        .size:           8
        .value_kind:     hidden_global_offset_y
      - .offset:         152
        .size:           8
        .value_kind:     hidden_global_offset_z
      - .offset:         160
        .size:           2
        .value_kind:     hidden_grid_dims
    .group_segment_fixed_size: 0
    .kernarg_segment_align: 8
    .kernarg_segment_size: 352
    .language:       OpenCL C
    .language_version:
      - 2
      - 0
    .max_flat_workgroup_size: 256
    .name:           _ZN9rocsparseL35csr2bsr_block_dim_equals_one_kernelILj256E21rocsparse_complex_numIfEllEEvT2_S3_S3_S3_21rocsparse_index_base_PKT0_PKT1_PKS3_S4_PS5_PS8_PS3_
    .private_segment_fixed_size: 0
    .sgpr_count:     20
    .sgpr_spill_count: 0
    .symbol:         _ZN9rocsparseL35csr2bsr_block_dim_equals_one_kernelILj256E21rocsparse_complex_numIfEllEEvT2_S3_S3_S3_21rocsparse_index_base_PKT0_PKT1_PKS3_S4_PS5_PS8_PS3_.kd
    .uniform_work_group_size: 1
    .uses_dynamic_stack: false
    .vgpr_count:     10
    .vgpr_spill_count: 0
    .wavefront_size: 32
  - .args:
      - .offset:         0
        .size:           4
        .value_kind:     by_value
      - .offset:         8
        .size:           8
        .value_kind:     by_value
      - .offset:         16
        .size:           8
        .value_kind:     by_value
      - .offset:         24
        .size:           8
        .value_kind:     by_value
      - .offset:         32
        .size:           8
        .value_kind:     by_value
      - .offset:         40
        .size:           8
        .value_kind:     by_value
      - .offset:         48
        .size:           4
        .value_kind:     by_value
      - .actual_access:  read_only
        .address_space:  global
        .offset:         56
        .size:           8
        .value_kind:     global_buffer
      - .actual_access:  read_only
        .address_space:  global
        .offset:         64
        .size:           8
        .value_kind:     global_buffer
      - .actual_access:  read_only
        .address_space:  global
        .offset:         72
        .size:           8
        .value_kind:     global_buffer
      - .offset:         80
        .size:           4
        .value_kind:     by_value
      - .actual_access:  write_only
        .address_space:  global
        .offset:         88
        .size:           8
        .value_kind:     global_buffer
      - .actual_access:  read_only
        .address_space:  global
        .offset:         96
        .size:           8
        .value_kind:     global_buffer
      - .actual_access:  write_only
        .address_space:  global
        .offset:         104
        .size:           8
        .value_kind:     global_buffer
    .group_segment_fixed_size: 2064
    .kernarg_segment_align: 8
    .kernarg_segment_size: 112
    .language:       OpenCL C
    .language_version:
      - 2
      - 0
    .max_flat_workgroup_size: 256
    .name:           _ZN9rocsparseL42csr2bsr_wavefront_per_row_multipass_kernelILj256ELj16ELj4E21rocsparse_complex_numIfEllEEv20rocsparse_direction_T4_S4_S4_S4_S4_21rocsparse_index_base_PKT2_PKT3_PKS4_S5_PS6_PS9_PS4_
    .private_segment_fixed_size: 0
    .sgpr_count:     44
    .sgpr_spill_count: 0
    .symbol:         _ZN9rocsparseL42csr2bsr_wavefront_per_row_multipass_kernelILj256ELj16ELj4E21rocsparse_complex_numIfEllEEv20rocsparse_direction_T4_S4_S4_S4_S4_21rocsparse_index_base_PKT2_PKT3_PKS4_S5_PS6_PS9_PS4_.kd
    .uniform_work_group_size: 1
    .uses_dynamic_stack: false
    .vgpr_count:     54
    .vgpr_spill_count: 0
    .wavefront_size: 32
  - .args:
      - .offset:         0
        .size:           4
        .value_kind:     by_value
      - .offset:         8
        .size:           8
        .value_kind:     by_value
      - .offset:         16
        .size:           8
        .value_kind:     by_value
      - .offset:         24
        .size:           8
        .value_kind:     by_value
      - .offset:         32
        .size:           8
        .value_kind:     by_value
      - .offset:         40
        .size:           8
        .value_kind:     by_value
      - .offset:         48
        .size:           4
        .value_kind:     by_value
      - .actual_access:  read_only
        .address_space:  global
        .offset:         56
        .size:           8
        .value_kind:     global_buffer
      - .actual_access:  read_only
        .address_space:  global
        .offset:         64
        .size:           8
        .value_kind:     global_buffer
      - .actual_access:  read_only
        .address_space:  global
        .offset:         72
        .size:           8
        .value_kind:     global_buffer
      - .offset:         80
        .size:           4
        .value_kind:     by_value
      - .actual_access:  write_only
        .address_space:  global
        .offset:         88
        .size:           8
        .value_kind:     global_buffer
      - .actual_access:  read_only
        .address_space:  global
        .offset:         96
        .size:           8
        .value_kind:     global_buffer
      - .actual_access:  write_only
        .address_space:  global
        .offset:         104
        .size:           8
        .value_kind:     global_buffer
    .group_segment_fixed_size: 2052
    .kernarg_segment_align: 8
    .kernarg_segment_size: 112
    .language:       OpenCL C
    .language_version:
      - 2
      - 0
    .max_flat_workgroup_size: 256
    .name:           _ZN9rocsparseL42csr2bsr_wavefront_per_row_multipass_kernelILj256ELj64ELj8E21rocsparse_complex_numIfEllEEv20rocsparse_direction_T4_S4_S4_S4_S4_21rocsparse_index_base_PKT2_PKT3_PKS4_S5_PS6_PS9_PS4_
    .private_segment_fixed_size: 0
    .sgpr_count:     44
    .sgpr_spill_count: 0
    .symbol:         _ZN9rocsparseL42csr2bsr_wavefront_per_row_multipass_kernelILj256ELj64ELj8E21rocsparse_complex_numIfEllEEv20rocsparse_direction_T4_S4_S4_S4_S4_21rocsparse_index_base_PKT2_PKT3_PKS4_S5_PS6_PS9_PS4_.kd
    .uniform_work_group_size: 1
    .uses_dynamic_stack: false
    .vgpr_count:     56
    .vgpr_spill_count: 0
    .wavefront_size: 32
  - .args:
      - .offset:         0
        .size:           4
        .value_kind:     by_value
      - .offset:         8
        .size:           8
        .value_kind:     by_value
      - .offset:         16
        .size:           8
        .value_kind:     by_value
      - .offset:         24
        .size:           8
        .value_kind:     by_value
      - .offset:         32
        .size:           8
        .value_kind:     by_value
      - .offset:         40
        .size:           8
        .value_kind:     by_value
      - .offset:         48
        .size:           4
        .value_kind:     by_value
      - .actual_access:  read_only
        .address_space:  global
        .offset:         56
        .size:           8
        .value_kind:     global_buffer
      - .actual_access:  read_only
        .address_space:  global
        .offset:         64
        .size:           8
        .value_kind:     global_buffer
      - .actual_access:  read_only
        .address_space:  global
        .offset:         72
        .size:           8
        .value_kind:     global_buffer
      - .offset:         80
        .size:           4
        .value_kind:     by_value
      - .actual_access:  write_only
        .address_space:  global
        .offset:         88
        .size:           8
        .value_kind:     global_buffer
      - .actual_access:  read_only
        .address_space:  global
        .offset:         96
        .size:           8
        .value_kind:     global_buffer
      - .actual_access:  write_only
        .address_space:  global
        .offset:         104
        .size:           8
        .value_kind:     global_buffer
    .group_segment_fixed_size: 4104
    .kernarg_segment_align: 8
    .kernarg_segment_size: 112
    .language:       OpenCL C
    .language_version:
      - 2
      - 0
    .max_flat_workgroup_size: 256
    .name:           _ZN9rocsparseL42csr2bsr_wavefront_per_row_multipass_kernelILj256ELj32ELj8E21rocsparse_complex_numIfEllEEv20rocsparse_direction_T4_S4_S4_S4_S4_21rocsparse_index_base_PKT2_PKT3_PKS4_S5_PS6_PS9_PS4_
    .private_segment_fixed_size: 0
    .sgpr_count:     45
    .sgpr_spill_count: 0
    .symbol:         _ZN9rocsparseL42csr2bsr_wavefront_per_row_multipass_kernelILj256ELj32ELj8E21rocsparse_complex_numIfEllEEv20rocsparse_direction_T4_S4_S4_S4_S4_21rocsparse_index_base_PKT2_PKT3_PKS4_S5_PS6_PS9_PS4_.kd
    .uniform_work_group_size: 1
    .uses_dynamic_stack: false
    .vgpr_count:     60
    .vgpr_spill_count: 0
    .wavefront_size: 32
  - .args:
      - .offset:         0
        .size:           4
        .value_kind:     by_value
      - .offset:         8
        .size:           8
        .value_kind:     by_value
      - .offset:         16
        .size:           8
        .value_kind:     by_value
      - .offset:         24
        .size:           8
        .value_kind:     by_value
      - .offset:         32
        .size:           8
        .value_kind:     by_value
      - .offset:         40
        .size:           8
        .value_kind:     by_value
      - .offset:         48
        .size:           4
        .value_kind:     by_value
      - .actual_access:  read_only
        .address_space:  global
        .offset:         56
        .size:           8
        .value_kind:     global_buffer
      - .actual_access:  read_only
        .address_space:  global
        .offset:         64
        .size:           8
        .value_kind:     global_buffer
      - .actual_access:  read_only
        .address_space:  global
        .offset:         72
        .size:           8
        .value_kind:     global_buffer
      - .offset:         80
        .size:           4
        .value_kind:     by_value
      - .actual_access:  write_only
        .address_space:  global
        .offset:         88
        .size:           8
        .value_kind:     global_buffer
      - .actual_access:  read_only
        .address_space:  global
        .offset:         96
        .size:           8
        .value_kind:     global_buffer
      - .actual_access:  write_only
        .address_space:  global
        .offset:         104
        .size:           8
        .value_kind:     global_buffer
    .group_segment_fixed_size: 8196
    .kernarg_segment_align: 8
    .kernarg_segment_size: 112
    .language:       OpenCL C
    .language_version:
      - 2
      - 0
    .max_flat_workgroup_size: 256
    .name:           _ZN9rocsparseL42csr2bsr_wavefront_per_row_multipass_kernelILj256ELj64ELj16E21rocsparse_complex_numIfEllEEv20rocsparse_direction_T4_S4_S4_S4_S4_21rocsparse_index_base_PKT2_PKT3_PKS4_S5_PS6_PS9_PS4_
    .private_segment_fixed_size: 0
    .sgpr_count:     47
    .sgpr_spill_count: 0
    .symbol:         _ZN9rocsparseL42csr2bsr_wavefront_per_row_multipass_kernelILj256ELj64ELj16E21rocsparse_complex_numIfEllEEv20rocsparse_direction_T4_S4_S4_S4_S4_21rocsparse_index_base_PKT2_PKT3_PKS4_S5_PS6_PS9_PS4_.kd
    .uniform_work_group_size: 1
    .uses_dynamic_stack: false
    .vgpr_count:     64
    .vgpr_spill_count: 0
    .wavefront_size: 32
  - .args:
      - .offset:         0
        .size:           4
        .value_kind:     by_value
      - .offset:         8
        .size:           8
        .value_kind:     by_value
      - .offset:         16
        .size:           8
        .value_kind:     by_value
      - .offset:         24
        .size:           8
        .value_kind:     by_value
      - .offset:         32
        .size:           8
        .value_kind:     by_value
      - .offset:         40
        .size:           8
        .value_kind:     by_value
      - .offset:         48
        .size:           4
        .value_kind:     by_value
      - .actual_access:  read_only
        .address_space:  global
        .offset:         56
        .size:           8
        .value_kind:     global_buffer
      - .actual_access:  read_only
        .address_space:  global
        .offset:         64
        .size:           8
        .value_kind:     global_buffer
      - .actual_access:  read_only
        .address_space:  global
        .offset:         72
        .size:           8
        .value_kind:     global_buffer
      - .offset:         80
        .size:           4
        .value_kind:     by_value
      - .actual_access:  write_only
        .address_space:  global
        .offset:         88
        .size:           8
        .value_kind:     global_buffer
      - .actual_access:  read_only
        .address_space:  global
        .offset:         96
        .size:           8
        .value_kind:     global_buffer
      - .actual_access:  write_only
        .address_space:  global
        .offset:         104
        .size:           8
        .value_kind:     global_buffer
    .group_segment_fixed_size: 16392
    .kernarg_segment_align: 8
    .kernarg_segment_size: 112
    .language:       OpenCL C
    .language_version:
      - 2
      - 0
    .max_flat_workgroup_size: 256
    .name:           _ZN9rocsparseL42csr2bsr_wavefront_per_row_multipass_kernelILj256ELj32ELj16E21rocsparse_complex_numIfEllEEv20rocsparse_direction_T4_S4_S4_S4_S4_21rocsparse_index_base_PKT2_PKT3_PKS4_S5_PS6_PS9_PS4_
    .private_segment_fixed_size: 0
    .sgpr_count:     50
    .sgpr_spill_count: 0
    .symbol:         _ZN9rocsparseL42csr2bsr_wavefront_per_row_multipass_kernelILj256ELj32ELj16E21rocsparse_complex_numIfEllEEv20rocsparse_direction_T4_S4_S4_S4_S4_21rocsparse_index_base_PKT2_PKT3_PKS4_S5_PS6_PS9_PS4_.kd
    .uniform_work_group_size: 1
    .uses_dynamic_stack: false
    .vgpr_count:     74
    .vgpr_spill_count: 0
    .wavefront_size: 32
  - .args:
      - .offset:         0
        .size:           4
        .value_kind:     by_value
      - .offset:         8
        .size:           8
        .value_kind:     by_value
      - .offset:         16
        .size:           8
        .value_kind:     by_value
      - .offset:         24
        .size:           8
        .value_kind:     by_value
      - .offset:         32
        .size:           8
        .value_kind:     by_value
      - .offset:         40
        .size:           8
        .value_kind:     by_value
      - .offset:         48
        .size:           4
        .value_kind:     by_value
      - .actual_access:  read_only
        .address_space:  global
        .offset:         56
        .size:           8
        .value_kind:     global_buffer
      - .actual_access:  read_only
        .address_space:  global
        .offset:         64
        .size:           8
        .value_kind:     global_buffer
      - .actual_access:  read_only
        .address_space:  global
        .offset:         72
        .size:           8
        .value_kind:     global_buffer
      - .offset:         80
        .size:           4
        .value_kind:     by_value
      - .actual_access:  write_only
        .address_space:  global
        .offset:         88
        .size:           8
        .value_kind:     global_buffer
      - .actual_access:  read_only
        .address_space:  global
        .offset:         96
        .size:           8
        .value_kind:     global_buffer
      - .actual_access:  write_only
        .address_space:  global
        .offset:         104
        .size:           8
        .value_kind:     global_buffer
    .group_segment_fixed_size: 8196
    .kernarg_segment_align: 8
    .kernarg_segment_size: 112
    .language:       OpenCL C
    .language_version:
      - 2
      - 0
    .max_flat_workgroup_size: 256
    .name:           _ZN9rocsparseL38csr2bsr_block_per_row_multipass_kernelILj256ELj32E21rocsparse_complex_numIfEllEEv20rocsparse_direction_T3_S4_S4_S4_S4_21rocsparse_index_base_PKT1_PKT2_PKS4_S5_PS6_PS9_PS4_
    .private_segment_fixed_size: 0
    .sgpr_count:     56
    .sgpr_spill_count: 0
    .symbol:         _ZN9rocsparseL38csr2bsr_block_per_row_multipass_kernelILj256ELj32E21rocsparse_complex_numIfEllEEv20rocsparse_direction_T3_S4_S4_S4_S4_21rocsparse_index_base_PKT1_PKT2_PKS4_S5_PS6_PS9_PS4_.kd
    .uniform_work_group_size: 1
    .uses_dynamic_stack: false
    .vgpr_count:     60
    .vgpr_spill_count: 0
    .wavefront_size: 32
  - .args:
      - .offset:         0
        .size:           4
        .value_kind:     by_value
      - .offset:         8
        .size:           8
        .value_kind:     by_value
      - .offset:         16
        .size:           8
        .value_kind:     by_value
      - .offset:         24
        .size:           8
        .value_kind:     by_value
      - .offset:         32
        .size:           8
        .value_kind:     by_value
      - .offset:         40
        .size:           8
        .value_kind:     by_value
      - .offset:         48
        .size:           4
        .value_kind:     by_value
      - .actual_access:  read_only
        .address_space:  global
        .offset:         56
        .size:           8
        .value_kind:     global_buffer
      - .actual_access:  read_only
        .address_space:  global
        .offset:         64
        .size:           8
        .value_kind:     global_buffer
      - .actual_access:  read_only
        .address_space:  global
        .offset:         72
        .size:           8
        .value_kind:     global_buffer
      - .offset:         80
        .size:           4
        .value_kind:     by_value
      - .actual_access:  write_only
        .address_space:  global
        .offset:         88
        .size:           8
        .value_kind:     global_buffer
      - .actual_access:  read_only
        .address_space:  global
        .offset:         96
        .size:           8
        .value_kind:     global_buffer
      - .actual_access:  write_only
        .address_space:  global
        .offset:         104
        .size:           8
        .value_kind:     global_buffer
    .group_segment_fixed_size: 32772
    .kernarg_segment_align: 8
    .kernarg_segment_size: 112
    .language:       OpenCL C
    .language_version:
      - 2
      - 0
    .max_flat_workgroup_size: 256
    .name:           _ZN9rocsparseL38csr2bsr_block_per_row_multipass_kernelILj256ELj64E21rocsparse_complex_numIfEllEEv20rocsparse_direction_T3_S4_S4_S4_S4_21rocsparse_index_base_PKT1_PKT2_PKS4_S5_PS6_PS9_PS4_
    .private_segment_fixed_size: 0
    .sgpr_count:     56
    .sgpr_spill_count: 0
    .symbol:         _ZN9rocsparseL38csr2bsr_block_per_row_multipass_kernelILj256ELj64E21rocsparse_complex_numIfEllEEv20rocsparse_direction_T3_S4_S4_S4_S4_21rocsparse_index_base_PKT1_PKT2_PKS4_S5_PS6_PS9_PS4_.kd
    .uniform_work_group_size: 1
    .uses_dynamic_stack: false
    .vgpr_count:     56
    .vgpr_spill_count: 0
    .wavefront_size: 32
  - .args:
      - .offset:         0
        .size:           4
        .value_kind:     by_value
      - .offset:         8
        .size:           8
        .value_kind:     by_value
      - .offset:         16
        .size:           8
        .value_kind:     by_value
      - .offset:         24
        .size:           8
        .value_kind:     by_value
      - .offset:         32
        .size:           8
        .value_kind:     by_value
      - .offset:         40
        .size:           8
        .value_kind:     by_value
      - .offset:         48
        .size:           8
        .value_kind:     by_value
      - .offset:         56
        .size:           4
        .value_kind:     by_value
      - .actual_access:  read_only
        .address_space:  global
        .offset:         64
        .size:           8
        .value_kind:     global_buffer
      - .actual_access:  read_only
        .address_space:  global
        .offset:         72
        .size:           8
        .value_kind:     global_buffer
      - .actual_access:  read_only
        .address_space:  global
        .offset:         80
        .size:           8
        .value_kind:     global_buffer
      - .offset:         88
        .size:           4
        .value_kind:     by_value
      - .actual_access:  write_only
        .address_space:  global
        .offset:         96
        .size:           8
        .value_kind:     global_buffer
      - .actual_access:  read_only
        .address_space:  global
        .offset:         104
        .size:           8
        .value_kind:     global_buffer
      - .actual_access:  write_only
        .address_space:  global
        .offset:         112
        .size:           8
        .value_kind:     global_buffer
      - .address_space:  global
        .offset:         120
        .size:           8
        .value_kind:     global_buffer
      - .address_space:  global
        .offset:         128
        .size:           8
        .value_kind:     global_buffer
      - .address_space:  global
        .offset:         136
        .size:           8
        .value_kind:     global_buffer
    .group_segment_fixed_size: 0
    .kernarg_segment_align: 8
    .kernarg_segment_size: 144
    .language:       OpenCL C
    .language_version:
      - 2
      - 0
    .max_flat_workgroup_size: 32
    .name:           _ZN9rocsparseL21csr2bsr_65_inf_kernelILj32E21rocsparse_complex_numIfEllEEv20rocsparse_direction_T2_S4_S4_S4_S4_S4_21rocsparse_index_base_PKT0_PKT1_PKS4_S5_PS6_PS9_PS4_SF_SG_SE_
    .private_segment_fixed_size: 0
    .sgpr_count:     54
    .sgpr_spill_count: 0
    .symbol:         _ZN9rocsparseL21csr2bsr_65_inf_kernelILj32E21rocsparse_complex_numIfEllEEv20rocsparse_direction_T2_S4_S4_S4_S4_S4_21rocsparse_index_base_PKT0_PKT1_PKS4_S5_PS6_PS9_PS4_SF_SG_SE_.kd
    .uniform_work_group_size: 1
    .uses_dynamic_stack: false
    .vgpr_count:     58
    .vgpr_spill_count: 0
    .wavefront_size: 32
  - .args:
      - .offset:         0
        .size:           4
        .value_kind:     by_value
      - .offset:         4
        .size:           4
        .value_kind:     by_value
      - .offset:         8
        .size:           4
        .value_kind:     by_value
      - .offset:         12
        .size:           4
        .value_kind:     by_value
      - .offset:         16
        .size:           4
        .value_kind:     by_value
      - .address_space:  global
        .offset:         24
        .size:           8
        .value_kind:     global_buffer
      - .address_space:  global
        .offset:         32
        .size:           8
        .value_kind:     global_buffer
      - .address_space:  global
        .offset:         40
        .size:           8
        .value_kind:     global_buffer
      - .offset:         48
        .size:           4
        .value_kind:     by_value
      - .address_space:  global
        .offset:         56
        .size:           8
        .value_kind:     global_buffer
      - .address_space:  global
        .offset:         64
        .size:           8
        .value_kind:     global_buffer
      - .address_space:  global
        .offset:         72
        .size:           8
        .value_kind:     global_buffer
      - .offset:         80
        .size:           4
        .value_kind:     hidden_block_count_x
      - .offset:         84
        .size:           4
        .value_kind:     hidden_block_count_y
      - .offset:         88
        .size:           4
        .value_kind:     hidden_block_count_z
      - .offset:         92
        .size:           2
        .value_kind:     hidden_group_size_x
      - .offset:         94
        .size:           2
        .value_kind:     hidden_group_size_y
      - .offset:         96
        .size:           2
        .value_kind:     hidden_group_size_z
      - .offset:         98
        .size:           2
        .value_kind:     hidden_remainder_x
      - .offset:         100
        .size:           2
        .value_kind:     hidden_remainder_y
      - .offset:         102
        .size:           2
        .value_kind:     hidden_remainder_z
      - .offset:         120
        .size:           8
        .value_kind:     hidden_global_offset_x
      - .offset:         128
        .size:           8
        .value_kind:     hidden_global_offset_y
      - .offset:         136
        .size:           8
        .value_kind:     hidden_global_offset_z
      - .offset:         144
        .size:           2
        .value_kind:     hidden_grid_dims
    .group_segment_fixed_size: 0
    .kernarg_segment_align: 8
    .kernarg_segment_size: 336
    .language:       OpenCL C
    .language_version:
      - 2
      - 0
    .max_flat_workgroup_size: 256
    .name:           _ZN9rocsparseL35csr2bsr_block_dim_equals_one_kernelILj256EdiiEEvT2_S1_S1_S1_21rocsparse_index_base_PKT0_PKT1_PKS1_S2_PS3_PS6_PS1_
    .private_segment_fixed_size: 0
    .sgpr_count:     17
    .sgpr_spill_count: 0
    .symbol:         _ZN9rocsparseL35csr2bsr_block_dim_equals_one_kernelILj256EdiiEEvT2_S1_S1_S1_21rocsparse_index_base_PKT0_PKT1_PKS1_S2_PS3_PS6_PS1_.kd
    .uniform_work_group_size: 1
    .uses_dynamic_stack: false
    .vgpr_count:     4
    .vgpr_spill_count: 0
    .wavefront_size: 32
  - .args:
      - .offset:         0
        .size:           4
        .value_kind:     by_value
      - .offset:         4
        .size:           4
        .value_kind:     by_value
      - .offset:         8
        .size:           4
        .value_kind:     by_value
      - .offset:         12
        .size:           4
        .value_kind:     by_value
      - .offset:         16
        .size:           4
        .value_kind:     by_value
      - .offset:         20
        .size:           4
        .value_kind:     by_value
      - .offset:         24
        .size:           4
        .value_kind:     by_value
      - .actual_access:  read_only
        .address_space:  global
        .offset:         32
        .size:           8
        .value_kind:     global_buffer
      - .actual_access:  read_only
        .address_space:  global
        .offset:         40
        .size:           8
        .value_kind:     global_buffer
      - .actual_access:  read_only
        .address_space:  global
        .offset:         48
        .size:           8
        .value_kind:     global_buffer
      - .offset:         56
        .size:           4
        .value_kind:     by_value
      - .actual_access:  write_only
        .address_space:  global
        .offset:         64
        .size:           8
        .value_kind:     global_buffer
      - .actual_access:  read_only
        .address_space:  global
        .offset:         72
        .size:           8
        .value_kind:     global_buffer
      - .actual_access:  write_only
        .address_space:  global
        .offset:         80
        .size:           8
        .value_kind:     global_buffer
    .group_segment_fixed_size: 2064
    .kernarg_segment_align: 8
    .kernarg_segment_size: 88
    .language:       OpenCL C
    .language_version:
      - 2
      - 0
    .max_flat_workgroup_size: 256
    .name:           _ZN9rocsparseL42csr2bsr_wavefront_per_row_multipass_kernelILj256ELj16ELj4EdiiEEv20rocsparse_direction_T4_S2_S2_S2_S2_21rocsparse_index_base_PKT2_PKT3_PKS2_S3_PS4_PS7_PS2_
    .private_segment_fixed_size: 0
    .sgpr_count:     25
    .sgpr_spill_count: 0
    .symbol:         _ZN9rocsparseL42csr2bsr_wavefront_per_row_multipass_kernelILj256ELj16ELj4EdiiEEv20rocsparse_direction_T4_S2_S2_S2_S2_21rocsparse_index_base_PKT2_PKT3_PKS2_S3_PS4_PS7_PS2_.kd
    .uniform_work_group_size: 1
    .uses_dynamic_stack: false
    .vgpr_count:     30
    .vgpr_spill_count: 0
    .wavefront_size: 32
  - .args:
      - .offset:         0
        .size:           4
        .value_kind:     by_value
      - .offset:         4
        .size:           4
        .value_kind:     by_value
      - .offset:         8
        .size:           4
        .value_kind:     by_value
      - .offset:         12
        .size:           4
        .value_kind:     by_value
      - .offset:         16
        .size:           4
        .value_kind:     by_value
      - .offset:         20
        .size:           4
        .value_kind:     by_value
      - .offset:         24
        .size:           4
        .value_kind:     by_value
      - .actual_access:  read_only
        .address_space:  global
        .offset:         32
        .size:           8
        .value_kind:     global_buffer
      - .actual_access:  read_only
        .address_space:  global
        .offset:         40
        .size:           8
        .value_kind:     global_buffer
      - .actual_access:  read_only
        .address_space:  global
        .offset:         48
        .size:           8
        .value_kind:     global_buffer
      - .offset:         56
        .size:           4
        .value_kind:     by_value
      - .actual_access:  write_only
        .address_space:  global
        .offset:         64
        .size:           8
        .value_kind:     global_buffer
      - .actual_access:  read_only
        .address_space:  global
        .offset:         72
        .size:           8
        .value_kind:     global_buffer
      - .actual_access:  write_only
        .address_space:  global
        .offset:         80
        .size:           8
        .value_kind:     global_buffer
    .group_segment_fixed_size: 2056
    .kernarg_segment_align: 8
    .kernarg_segment_size: 88
    .language:       OpenCL C
    .language_version:
      - 2
      - 0
    .max_flat_workgroup_size: 256
    .name:           _ZN9rocsparseL42csr2bsr_wavefront_per_row_multipass_kernelILj256ELj64ELj8EdiiEEv20rocsparse_direction_T4_S2_S2_S2_S2_21rocsparse_index_base_PKT2_PKT3_PKS2_S3_PS4_PS7_PS2_
    .private_segment_fixed_size: 0
    .sgpr_count:     25
    .sgpr_spill_count: 0
    .symbol:         _ZN9rocsparseL42csr2bsr_wavefront_per_row_multipass_kernelILj256ELj64ELj8EdiiEEv20rocsparse_direction_T4_S2_S2_S2_S2_21rocsparse_index_base_PKT2_PKT3_PKS2_S3_PS4_PS7_PS2_.kd
    .uniform_work_group_size: 1
    .uses_dynamic_stack: false
    .vgpr_count:     32
    .vgpr_spill_count: 0
    .wavefront_size: 32
  - .args:
      - .offset:         0
        .size:           4
        .value_kind:     by_value
      - .offset:         4
        .size:           4
        .value_kind:     by_value
      - .offset:         8
        .size:           4
        .value_kind:     by_value
      - .offset:         12
        .size:           4
        .value_kind:     by_value
      - .offset:         16
        .size:           4
        .value_kind:     by_value
      - .offset:         20
        .size:           4
        .value_kind:     by_value
      - .offset:         24
        .size:           4
        .value_kind:     by_value
      - .actual_access:  read_only
        .address_space:  global
        .offset:         32
        .size:           8
        .value_kind:     global_buffer
      - .actual_access:  read_only
        .address_space:  global
        .offset:         40
        .size:           8
        .value_kind:     global_buffer
      - .actual_access:  read_only
        .address_space:  global
        .offset:         48
        .size:           8
        .value_kind:     global_buffer
      - .offset:         56
        .size:           4
        .value_kind:     by_value
      - .actual_access:  write_only
        .address_space:  global
        .offset:         64
        .size:           8
        .value_kind:     global_buffer
      - .actual_access:  read_only
        .address_space:  global
        .offset:         72
        .size:           8
        .value_kind:     global_buffer
      - .actual_access:  write_only
        .address_space:  global
        .offset:         80
        .size:           8
        .value_kind:     global_buffer
    .group_segment_fixed_size: 4104
    .kernarg_segment_align: 8
    .kernarg_segment_size: 88
    .language:       OpenCL C
    .language_version:
      - 2
      - 0
    .max_flat_workgroup_size: 256
    .name:           _ZN9rocsparseL42csr2bsr_wavefront_per_row_multipass_kernelILj256ELj32ELj8EdiiEEv20rocsparse_direction_T4_S2_S2_S2_S2_21rocsparse_index_base_PKT2_PKT3_PKS2_S3_PS4_PS7_PS2_
    .private_segment_fixed_size: 0
    .sgpr_count:     26
    .sgpr_spill_count: 0
    .symbol:         _ZN9rocsparseL42csr2bsr_wavefront_per_row_multipass_kernelILj256ELj32ELj8EdiiEEv20rocsparse_direction_T4_S2_S2_S2_S2_21rocsparse_index_base_PKT2_PKT3_PKS2_S3_PS4_PS7_PS2_.kd
    .uniform_work_group_size: 1
    .uses_dynamic_stack: false
    .vgpr_count:     38
    .vgpr_spill_count: 0
    .wavefront_size: 32
  - .args:
      - .offset:         0
        .size:           4
        .value_kind:     by_value
      - .offset:         4
        .size:           4
        .value_kind:     by_value
      - .offset:         8
        .size:           4
        .value_kind:     by_value
      - .offset:         12
        .size:           4
        .value_kind:     by_value
      - .offset:         16
        .size:           4
        .value_kind:     by_value
      - .offset:         20
        .size:           4
        .value_kind:     by_value
      - .offset:         24
        .size:           4
        .value_kind:     by_value
      - .actual_access:  read_only
        .address_space:  global
        .offset:         32
        .size:           8
        .value_kind:     global_buffer
      - .actual_access:  read_only
        .address_space:  global
        .offset:         40
        .size:           8
        .value_kind:     global_buffer
      - .actual_access:  read_only
        .address_space:  global
        .offset:         48
        .size:           8
        .value_kind:     global_buffer
      - .offset:         56
        .size:           4
        .value_kind:     by_value
      - .actual_access:  write_only
        .address_space:  global
        .offset:         64
        .size:           8
        .value_kind:     global_buffer
      - .actual_access:  read_only
        .address_space:  global
        .offset:         72
        .size:           8
        .value_kind:     global_buffer
      - .actual_access:  write_only
        .address_space:  global
        .offset:         80
        .size:           8
        .value_kind:     global_buffer
    .group_segment_fixed_size: 8200
    .kernarg_segment_align: 8
    .kernarg_segment_size: 88
    .language:       OpenCL C
    .language_version:
      - 2
      - 0
    .max_flat_workgroup_size: 256
    .name:           _ZN9rocsparseL42csr2bsr_wavefront_per_row_multipass_kernelILj256ELj64ELj16EdiiEEv20rocsparse_direction_T4_S2_S2_S2_S2_21rocsparse_index_base_PKT2_PKT3_PKS2_S3_PS4_PS7_PS2_
    .private_segment_fixed_size: 0
    .sgpr_count:     28
    .sgpr_spill_count: 0
    .symbol:         _ZN9rocsparseL42csr2bsr_wavefront_per_row_multipass_kernelILj256ELj64ELj16EdiiEEv20rocsparse_direction_T4_S2_S2_S2_S2_21rocsparse_index_base_PKT2_PKT3_PKS2_S3_PS4_PS7_PS2_.kd
    .uniform_work_group_size: 1
    .uses_dynamic_stack: false
    .vgpr_count:     44
    .vgpr_spill_count: 0
    .wavefront_size: 32
  - .args:
      - .offset:         0
        .size:           4
        .value_kind:     by_value
      - .offset:         4
        .size:           4
        .value_kind:     by_value
      - .offset:         8
        .size:           4
        .value_kind:     by_value
      - .offset:         12
        .size:           4
        .value_kind:     by_value
      - .offset:         16
        .size:           4
        .value_kind:     by_value
      - .offset:         20
        .size:           4
        .value_kind:     by_value
      - .offset:         24
        .size:           4
        .value_kind:     by_value
      - .actual_access:  read_only
        .address_space:  global
        .offset:         32
        .size:           8
        .value_kind:     global_buffer
      - .actual_access:  read_only
        .address_space:  global
        .offset:         40
        .size:           8
        .value_kind:     global_buffer
      - .actual_access:  read_only
        .address_space:  global
        .offset:         48
        .size:           8
        .value_kind:     global_buffer
      - .offset:         56
        .size:           4
        .value_kind:     by_value
      - .actual_access:  write_only
        .address_space:  global
        .offset:         64
        .size:           8
        .value_kind:     global_buffer
      - .actual_access:  read_only
        .address_space:  global
        .offset:         72
        .size:           8
        .value_kind:     global_buffer
      - .actual_access:  write_only
        .address_space:  global
        .offset:         80
        .size:           8
        .value_kind:     global_buffer
    .group_segment_fixed_size: 16392
    .kernarg_segment_align: 8
    .kernarg_segment_size: 88
    .language:       OpenCL C
    .language_version:
      - 2
      - 0
    .max_flat_workgroup_size: 256
    .name:           _ZN9rocsparseL42csr2bsr_wavefront_per_row_multipass_kernelILj256ELj32ELj16EdiiEEv20rocsparse_direction_T4_S2_S2_S2_S2_21rocsparse_index_base_PKT2_PKT3_PKS2_S3_PS4_PS7_PS2_
    .private_segment_fixed_size: 0
    .sgpr_count:     32
    .sgpr_spill_count: 0
    .symbol:         _ZN9rocsparseL42csr2bsr_wavefront_per_row_multipass_kernelILj256ELj32ELj16EdiiEEv20rocsparse_direction_T4_S2_S2_S2_S2_21rocsparse_index_base_PKT2_PKT3_PKS2_S3_PS4_PS7_PS2_.kd
    .uniform_work_group_size: 1
    .uses_dynamic_stack: false
    .vgpr_count:     52
    .vgpr_spill_count: 0
    .wavefront_size: 32
  - .args:
      - .offset:         0
        .size:           4
        .value_kind:     by_value
      - .offset:         4
        .size:           4
        .value_kind:     by_value
      - .offset:         8
        .size:           4
        .value_kind:     by_value
      - .offset:         12
        .size:           4
        .value_kind:     by_value
      - .offset:         16
        .size:           4
        .value_kind:     by_value
      - .offset:         20
        .size:           4
        .value_kind:     by_value
      - .offset:         24
        .size:           4
        .value_kind:     by_value
      - .actual_access:  read_only
        .address_space:  global
        .offset:         32
        .size:           8
        .value_kind:     global_buffer
      - .actual_access:  read_only
        .address_space:  global
        .offset:         40
        .size:           8
        .value_kind:     global_buffer
      - .actual_access:  read_only
        .address_space:  global
        .offset:         48
        .size:           8
        .value_kind:     global_buffer
      - .offset:         56
        .size:           4
        .value_kind:     by_value
      - .actual_access:  write_only
        .address_space:  global
        .offset:         64
        .size:           8
        .value_kind:     global_buffer
      - .actual_access:  read_only
        .address_space:  global
        .offset:         72
        .size:           8
        .value_kind:     global_buffer
      - .actual_access:  write_only
        .address_space:  global
        .offset:         80
        .size:           8
        .value_kind:     global_buffer
    .group_segment_fixed_size: 8200
    .kernarg_segment_align: 8
    .kernarg_segment_size: 88
    .language:       OpenCL C
    .language_version:
      - 2
      - 0
    .max_flat_workgroup_size: 256
    .name:           _ZN9rocsparseL38csr2bsr_block_per_row_multipass_kernelILj256ELj32EdiiEEv20rocsparse_direction_T3_S2_S2_S2_S2_21rocsparse_index_base_PKT1_PKT2_PKS2_S3_PS4_PS7_PS2_
    .private_segment_fixed_size: 0
    .sgpr_count:     38
    .sgpr_spill_count: 0
    .symbol:         _ZN9rocsparseL38csr2bsr_block_per_row_multipass_kernelILj256ELj32EdiiEEv20rocsparse_direction_T3_S2_S2_S2_S2_21rocsparse_index_base_PKT1_PKT2_PKS2_S3_PS4_PS7_PS2_.kd
    .uniform_work_group_size: 1
    .uses_dynamic_stack: false
    .vgpr_count:     36
    .vgpr_spill_count: 0
    .wavefront_size: 32
  - .args:
      - .offset:         0
        .size:           4
        .value_kind:     by_value
      - .offset:         4
        .size:           4
        .value_kind:     by_value
      - .offset:         8
        .size:           4
        .value_kind:     by_value
      - .offset:         12
        .size:           4
        .value_kind:     by_value
      - .offset:         16
        .size:           4
        .value_kind:     by_value
      - .offset:         20
        .size:           4
        .value_kind:     by_value
      - .offset:         24
        .size:           4
        .value_kind:     by_value
      - .actual_access:  read_only
        .address_space:  global
        .offset:         32
        .size:           8
        .value_kind:     global_buffer
      - .actual_access:  read_only
        .address_space:  global
        .offset:         40
        .size:           8
        .value_kind:     global_buffer
      - .actual_access:  read_only
        .address_space:  global
        .offset:         48
        .size:           8
        .value_kind:     global_buffer
      - .offset:         56
        .size:           4
        .value_kind:     by_value
      - .actual_access:  write_only
        .address_space:  global
        .offset:         64
        .size:           8
        .value_kind:     global_buffer
      - .actual_access:  read_only
        .address_space:  global
        .offset:         72
        .size:           8
        .value_kind:     global_buffer
      - .actual_access:  write_only
        .address_space:  global
        .offset:         80
        .size:           8
        .value_kind:     global_buffer
    .group_segment_fixed_size: 32776
    .kernarg_segment_align: 8
    .kernarg_segment_size: 88
    .language:       OpenCL C
    .language_version:
      - 2
      - 0
    .max_flat_workgroup_size: 256
    .name:           _ZN9rocsparseL38csr2bsr_block_per_row_multipass_kernelILj256ELj64EdiiEEv20rocsparse_direction_T3_S2_S2_S2_S2_21rocsparse_index_base_PKT1_PKT2_PKS2_S3_PS4_PS7_PS2_
    .private_segment_fixed_size: 0
    .sgpr_count:     50
    .sgpr_spill_count: 0
    .symbol:         _ZN9rocsparseL38csr2bsr_block_per_row_multipass_kernelILj256ELj64EdiiEEv20rocsparse_direction_T3_S2_S2_S2_S2_21rocsparse_index_base_PKT1_PKT2_PKS2_S3_PS4_PS7_PS2_.kd
    .uniform_work_group_size: 1
    .uses_dynamic_stack: false
    .vgpr_count:     60
    .vgpr_spill_count: 0
    .wavefront_size: 32
  - .args:
      - .offset:         0
        .size:           4
        .value_kind:     by_value
      - .offset:         4
        .size:           4
        .value_kind:     by_value
      - .offset:         8
        .size:           4
        .value_kind:     by_value
      - .offset:         12
        .size:           4
        .value_kind:     by_value
      - .offset:         16
        .size:           4
        .value_kind:     by_value
      - .offset:         20
        .size:           4
        .value_kind:     by_value
      - .offset:         24
        .size:           4
        .value_kind:     by_value
      - .offset:         28
        .size:           4
        .value_kind:     by_value
      - .actual_access:  read_only
        .address_space:  global
        .offset:         32
        .size:           8
        .value_kind:     global_buffer
      - .actual_access:  read_only
        .address_space:  global
        .offset:         40
        .size:           8
        .value_kind:     global_buffer
      - .actual_access:  read_only
        .address_space:  global
        .offset:         48
        .size:           8
        .value_kind:     global_buffer
      - .offset:         56
        .size:           4
        .value_kind:     by_value
      - .actual_access:  write_only
        .address_space:  global
        .offset:         64
        .size:           8
        .value_kind:     global_buffer
      - .actual_access:  read_only
        .address_space:  global
        .offset:         72
        .size:           8
        .value_kind:     global_buffer
      - .actual_access:  write_only
        .address_space:  global
        .offset:         80
        .size:           8
        .value_kind:     global_buffer
      - .address_space:  global
        .offset:         88
        .size:           8
        .value_kind:     global_buffer
      - .address_space:  global
        .offset:         96
        .size:           8
        .value_kind:     global_buffer
      - .address_space:  global
        .offset:         104
        .size:           8
        .value_kind:     global_buffer
    .group_segment_fixed_size: 0
    .kernarg_segment_align: 8
    .kernarg_segment_size: 112
    .language:       OpenCL C
    .language_version:
      - 2
      - 0
    .max_flat_workgroup_size: 32
    .name:           _ZN9rocsparseL21csr2bsr_65_inf_kernelILj32EdiiEEv20rocsparse_direction_T2_S2_S2_S2_S2_S2_21rocsparse_index_base_PKT0_PKT1_PKS2_S3_PS4_PS7_PS2_SD_SE_SC_
    .private_segment_fixed_size: 0
    .sgpr_count:     38
    .sgpr_spill_count: 0
    .symbol:         _ZN9rocsparseL21csr2bsr_65_inf_kernelILj32EdiiEEv20rocsparse_direction_T2_S2_S2_S2_S2_S2_21rocsparse_index_base_PKT0_PKT1_PKS2_S3_PS4_PS7_PS2_SD_SE_SC_.kd
    .uniform_work_group_size: 1
    .uses_dynamic_stack: false
    .vgpr_count:     41
    .vgpr_spill_count: 0
    .wavefront_size: 32
  - .args:
      - .offset:         0
        .size:           4
        .value_kind:     by_value
      - .offset:         4
        .size:           4
        .value_kind:     by_value
      - .offset:         8
        .size:           4
        .value_kind:     by_value
      - .offset:         12
        .size:           4
        .value_kind:     by_value
      - .offset:         16
        .size:           4
        .value_kind:     by_value
      - .address_space:  global
        .offset:         24
        .size:           8
        .value_kind:     global_buffer
      - .address_space:  global
        .offset:         32
        .size:           8
        .value_kind:     global_buffer
      - .address_space:  global
        .offset:         40
        .size:           8
        .value_kind:     global_buffer
      - .offset:         48
        .size:           4
        .value_kind:     by_value
      - .address_space:  global
        .offset:         56
        .size:           8
        .value_kind:     global_buffer
      - .address_space:  global
        .offset:         64
        .size:           8
        .value_kind:     global_buffer
      - .address_space:  global
        .offset:         72
        .size:           8
        .value_kind:     global_buffer
      - .offset:         80
        .size:           4
        .value_kind:     hidden_block_count_x
      - .offset:         84
        .size:           4
        .value_kind:     hidden_block_count_y
      - .offset:         88
        .size:           4
        .value_kind:     hidden_block_count_z
      - .offset:         92
        .size:           2
        .value_kind:     hidden_group_size_x
      - .offset:         94
        .size:           2
        .value_kind:     hidden_group_size_y
      - .offset:         96
        .size:           2
        .value_kind:     hidden_group_size_z
      - .offset:         98
        .size:           2
        .value_kind:     hidden_remainder_x
      - .offset:         100
        .size:           2
        .value_kind:     hidden_remainder_y
      - .offset:         102
        .size:           2
        .value_kind:     hidden_remainder_z
      - .offset:         120
        .size:           8
        .value_kind:     hidden_global_offset_x
      - .offset:         128
        .size:           8
        .value_kind:     hidden_global_offset_y
      - .offset:         136
        .size:           8
        .value_kind:     hidden_global_offset_z
      - .offset:         144
        .size:           2
        .value_kind:     hidden_grid_dims
    .group_segment_fixed_size: 0
    .kernarg_segment_align: 8
    .kernarg_segment_size: 336
    .language:       OpenCL C
    .language_version:
      - 2
      - 0
    .max_flat_workgroup_size: 256
    .name:           _ZN9rocsparseL35csr2bsr_block_dim_equals_one_kernelILj256EdliEEvT2_S1_S1_S1_21rocsparse_index_base_PKT0_PKT1_PKS1_S2_PS3_PS6_PS1_
    .private_segment_fixed_size: 0
    .sgpr_count:     20
    .sgpr_spill_count: 0
    .symbol:         _ZN9rocsparseL35csr2bsr_block_dim_equals_one_kernelILj256EdliEEvT2_S1_S1_S1_21rocsparse_index_base_PKT0_PKT1_PKS1_S2_PS3_PS6_PS1_.kd
    .uniform_work_group_size: 1
    .uses_dynamic_stack: false
    .vgpr_count:     13
    .vgpr_spill_count: 0
    .wavefront_size: 32
  - .args:
      - .offset:         0
        .size:           4
        .value_kind:     by_value
      - .offset:         4
        .size:           4
        .value_kind:     by_value
      - .offset:         8
        .size:           4
        .value_kind:     by_value
      - .offset:         12
        .size:           4
        .value_kind:     by_value
      - .offset:         16
        .size:           4
        .value_kind:     by_value
      - .offset:         20
        .size:           4
        .value_kind:     by_value
      - .offset:         24
        .size:           4
        .value_kind:     by_value
      - .actual_access:  read_only
        .address_space:  global
        .offset:         32
        .size:           8
        .value_kind:     global_buffer
      - .actual_access:  read_only
        .address_space:  global
        .offset:         40
        .size:           8
        .value_kind:     global_buffer
      - .actual_access:  read_only
        .address_space:  global
        .offset:         48
        .size:           8
        .value_kind:     global_buffer
      - .offset:         56
        .size:           4
        .value_kind:     by_value
      - .actual_access:  write_only
        .address_space:  global
        .offset:         64
        .size:           8
        .value_kind:     global_buffer
      - .actual_access:  read_only
        .address_space:  global
        .offset:         72
        .size:           8
        .value_kind:     global_buffer
      - .actual_access:  write_only
        .address_space:  global
        .offset:         80
        .size:           8
        .value_kind:     global_buffer
    .group_segment_fixed_size: 2064
    .kernarg_segment_align: 8
    .kernarg_segment_size: 88
    .language:       OpenCL C
    .language_version:
      - 2
      - 0
    .max_flat_workgroup_size: 256
    .name:           _ZN9rocsparseL42csr2bsr_wavefront_per_row_multipass_kernelILj256ELj16ELj4EdliEEv20rocsparse_direction_T4_S2_S2_S2_S2_21rocsparse_index_base_PKT2_PKT3_PKS2_S3_PS4_PS7_PS2_
    .private_segment_fixed_size: 0
    .sgpr_count:     25
    .sgpr_spill_count: 0
    .symbol:         _ZN9rocsparseL42csr2bsr_wavefront_per_row_multipass_kernelILj256ELj16ELj4EdliEEv20rocsparse_direction_T4_S2_S2_S2_S2_21rocsparse_index_base_PKT2_PKT3_PKS2_S3_PS4_PS7_PS2_.kd
    .uniform_work_group_size: 1
    .uses_dynamic_stack: false
    .vgpr_count:     42
    .vgpr_spill_count: 0
    .wavefront_size: 32
  - .args:
      - .offset:         0
        .size:           4
        .value_kind:     by_value
      - .offset:         4
        .size:           4
        .value_kind:     by_value
      - .offset:         8
        .size:           4
        .value_kind:     by_value
      - .offset:         12
        .size:           4
        .value_kind:     by_value
      - .offset:         16
        .size:           4
        .value_kind:     by_value
      - .offset:         20
        .size:           4
        .value_kind:     by_value
      - .offset:         24
        .size:           4
        .value_kind:     by_value
      - .actual_access:  read_only
        .address_space:  global
        .offset:         32
        .size:           8
        .value_kind:     global_buffer
      - .actual_access:  read_only
        .address_space:  global
        .offset:         40
        .size:           8
        .value_kind:     global_buffer
      - .actual_access:  read_only
        .address_space:  global
        .offset:         48
        .size:           8
        .value_kind:     global_buffer
      - .offset:         56
        .size:           4
        .value_kind:     by_value
      - .actual_access:  write_only
        .address_space:  global
        .offset:         64
        .size:           8
        .value_kind:     global_buffer
      - .actual_access:  read_only
        .address_space:  global
        .offset:         72
        .size:           8
        .value_kind:     global_buffer
      - .actual_access:  write_only
        .address_space:  global
        .offset:         80
        .size:           8
        .value_kind:     global_buffer
    .group_segment_fixed_size: 2056
    .kernarg_segment_align: 8
    .kernarg_segment_size: 88
    .language:       OpenCL C
    .language_version:
      - 2
      - 0
    .max_flat_workgroup_size: 256
    .name:           _ZN9rocsparseL42csr2bsr_wavefront_per_row_multipass_kernelILj256ELj64ELj8EdliEEv20rocsparse_direction_T4_S2_S2_S2_S2_21rocsparse_index_base_PKT2_PKT3_PKS2_S3_PS4_PS7_PS2_
    .private_segment_fixed_size: 0
    .sgpr_count:     25
    .sgpr_spill_count: 0
    .symbol:         _ZN9rocsparseL42csr2bsr_wavefront_per_row_multipass_kernelILj256ELj64ELj8EdliEEv20rocsparse_direction_T4_S2_S2_S2_S2_21rocsparse_index_base_PKT2_PKT3_PKS2_S3_PS4_PS7_PS2_.kd
    .uniform_work_group_size: 1
    .uses_dynamic_stack: false
    .vgpr_count:     44
    .vgpr_spill_count: 0
    .wavefront_size: 32
  - .args:
      - .offset:         0
        .size:           4
        .value_kind:     by_value
      - .offset:         4
        .size:           4
        .value_kind:     by_value
      - .offset:         8
        .size:           4
        .value_kind:     by_value
      - .offset:         12
        .size:           4
        .value_kind:     by_value
      - .offset:         16
        .size:           4
        .value_kind:     by_value
      - .offset:         20
        .size:           4
        .value_kind:     by_value
      - .offset:         24
        .size:           4
        .value_kind:     by_value
      - .actual_access:  read_only
        .address_space:  global
        .offset:         32
        .size:           8
        .value_kind:     global_buffer
      - .actual_access:  read_only
        .address_space:  global
        .offset:         40
        .size:           8
        .value_kind:     global_buffer
      - .actual_access:  read_only
        .address_space:  global
        .offset:         48
        .size:           8
        .value_kind:     global_buffer
      - .offset:         56
        .size:           4
        .value_kind:     by_value
      - .actual_access:  write_only
        .address_space:  global
        .offset:         64
        .size:           8
        .value_kind:     global_buffer
      - .actual_access:  read_only
        .address_space:  global
        .offset:         72
        .size:           8
        .value_kind:     global_buffer
      - .actual_access:  write_only
        .address_space:  global
        .offset:         80
        .size:           8
        .value_kind:     global_buffer
    .group_segment_fixed_size: 4104
    .kernarg_segment_align: 8
    .kernarg_segment_size: 88
    .language:       OpenCL C
    .language_version:
      - 2
      - 0
    .max_flat_workgroup_size: 256
    .name:           _ZN9rocsparseL42csr2bsr_wavefront_per_row_multipass_kernelILj256ELj32ELj8EdliEEv20rocsparse_direction_T4_S2_S2_S2_S2_21rocsparse_index_base_PKT2_PKT3_PKS2_S3_PS4_PS7_PS2_
    .private_segment_fixed_size: 0
    .sgpr_count:     26
    .sgpr_spill_count: 0
    .symbol:         _ZN9rocsparseL42csr2bsr_wavefront_per_row_multipass_kernelILj256ELj32ELj8EdliEEv20rocsparse_direction_T4_S2_S2_S2_S2_21rocsparse_index_base_PKT2_PKT3_PKS2_S3_PS4_PS7_PS2_.kd
    .uniform_work_group_size: 1
    .uses_dynamic_stack: false
    .vgpr_count:     48
    .vgpr_spill_count: 0
    .wavefront_size: 32
  - .args:
      - .offset:         0
        .size:           4
        .value_kind:     by_value
      - .offset:         4
        .size:           4
        .value_kind:     by_value
      - .offset:         8
        .size:           4
        .value_kind:     by_value
      - .offset:         12
        .size:           4
        .value_kind:     by_value
      - .offset:         16
        .size:           4
        .value_kind:     by_value
      - .offset:         20
        .size:           4
        .value_kind:     by_value
      - .offset:         24
        .size:           4
        .value_kind:     by_value
      - .actual_access:  read_only
        .address_space:  global
        .offset:         32
        .size:           8
        .value_kind:     global_buffer
      - .actual_access:  read_only
        .address_space:  global
        .offset:         40
        .size:           8
        .value_kind:     global_buffer
      - .actual_access:  read_only
        .address_space:  global
        .offset:         48
        .size:           8
        .value_kind:     global_buffer
      - .offset:         56
        .size:           4
        .value_kind:     by_value
      - .actual_access:  write_only
        .address_space:  global
        .offset:         64
        .size:           8
        .value_kind:     global_buffer
      - .actual_access:  read_only
        .address_space:  global
        .offset:         72
        .size:           8
        .value_kind:     global_buffer
      - .actual_access:  write_only
        .address_space:  global
        .offset:         80
        .size:           8
        .value_kind:     global_buffer
    .group_segment_fixed_size: 8200
    .kernarg_segment_align: 8
    .kernarg_segment_size: 88
    .language:       OpenCL C
    .language_version:
      - 2
      - 0
    .max_flat_workgroup_size: 256
    .name:           _ZN9rocsparseL42csr2bsr_wavefront_per_row_multipass_kernelILj256ELj64ELj16EdliEEv20rocsparse_direction_T4_S2_S2_S2_S2_21rocsparse_index_base_PKT2_PKT3_PKS2_S3_PS4_PS7_PS2_
    .private_segment_fixed_size: 0
    .sgpr_count:     28
    .sgpr_spill_count: 0
    .symbol:         _ZN9rocsparseL42csr2bsr_wavefront_per_row_multipass_kernelILj256ELj64ELj16EdliEEv20rocsparse_direction_T4_S2_S2_S2_S2_21rocsparse_index_base_PKT2_PKT3_PKS2_S3_PS4_PS7_PS2_.kd
    .uniform_work_group_size: 1
    .uses_dynamic_stack: false
    .vgpr_count:     54
    .vgpr_spill_count: 0
    .wavefront_size: 32
  - .args:
      - .offset:         0
        .size:           4
        .value_kind:     by_value
      - .offset:         4
        .size:           4
        .value_kind:     by_value
      - .offset:         8
        .size:           4
        .value_kind:     by_value
      - .offset:         12
        .size:           4
        .value_kind:     by_value
      - .offset:         16
        .size:           4
        .value_kind:     by_value
      - .offset:         20
        .size:           4
        .value_kind:     by_value
      - .offset:         24
        .size:           4
        .value_kind:     by_value
      - .actual_access:  read_only
        .address_space:  global
        .offset:         32
        .size:           8
        .value_kind:     global_buffer
      - .actual_access:  read_only
        .address_space:  global
        .offset:         40
        .size:           8
        .value_kind:     global_buffer
      - .actual_access:  read_only
        .address_space:  global
        .offset:         48
        .size:           8
        .value_kind:     global_buffer
      - .offset:         56
        .size:           4
        .value_kind:     by_value
      - .actual_access:  write_only
        .address_space:  global
        .offset:         64
        .size:           8
        .value_kind:     global_buffer
      - .actual_access:  read_only
        .address_space:  global
        .offset:         72
        .size:           8
        .value_kind:     global_buffer
      - .actual_access:  write_only
        .address_space:  global
        .offset:         80
        .size:           8
        .value_kind:     global_buffer
    .group_segment_fixed_size: 16392
    .kernarg_segment_align: 8
    .kernarg_segment_size: 88
    .language:       OpenCL C
    .language_version:
      - 2
      - 0
    .max_flat_workgroup_size: 256
    .name:           _ZN9rocsparseL42csr2bsr_wavefront_per_row_multipass_kernelILj256ELj32ELj16EdliEEv20rocsparse_direction_T4_S2_S2_S2_S2_21rocsparse_index_base_PKT2_PKT3_PKS2_S3_PS4_PS7_PS2_
    .private_segment_fixed_size: 0
    .sgpr_count:     32
    .sgpr_spill_count: 0
    .symbol:         _ZN9rocsparseL42csr2bsr_wavefront_per_row_multipass_kernelILj256ELj32ELj16EdliEEv20rocsparse_direction_T4_S2_S2_S2_S2_21rocsparse_index_base_PKT2_PKT3_PKS2_S3_PS4_PS7_PS2_.kd
    .uniform_work_group_size: 1
    .uses_dynamic_stack: false
    .vgpr_count:     60
    .vgpr_spill_count: 0
    .wavefront_size: 32
  - .args:
      - .offset:         0
        .size:           4
        .value_kind:     by_value
      - .offset:         4
        .size:           4
        .value_kind:     by_value
      - .offset:         8
        .size:           4
        .value_kind:     by_value
      - .offset:         12
        .size:           4
        .value_kind:     by_value
      - .offset:         16
        .size:           4
        .value_kind:     by_value
      - .offset:         20
        .size:           4
        .value_kind:     by_value
      - .offset:         24
        .size:           4
        .value_kind:     by_value
      - .actual_access:  read_only
        .address_space:  global
        .offset:         32
        .size:           8
        .value_kind:     global_buffer
      - .actual_access:  read_only
        .address_space:  global
        .offset:         40
        .size:           8
        .value_kind:     global_buffer
      - .actual_access:  read_only
        .address_space:  global
        .offset:         48
        .size:           8
        .value_kind:     global_buffer
      - .offset:         56
        .size:           4
        .value_kind:     by_value
      - .actual_access:  write_only
        .address_space:  global
        .offset:         64
        .size:           8
        .value_kind:     global_buffer
      - .actual_access:  read_only
        .address_space:  global
        .offset:         72
        .size:           8
        .value_kind:     global_buffer
      - .actual_access:  write_only
        .address_space:  global
        .offset:         80
        .size:           8
        .value_kind:     global_buffer
    .group_segment_fixed_size: 8200
    .kernarg_segment_align: 8
    .kernarg_segment_size: 88
    .language:       OpenCL C
    .language_version:
      - 2
      - 0
    .max_flat_workgroup_size: 256
    .name:           _ZN9rocsparseL38csr2bsr_block_per_row_multipass_kernelILj256ELj32EdliEEv20rocsparse_direction_T3_S2_S2_S2_S2_21rocsparse_index_base_PKT1_PKT2_PKS2_S3_PS4_PS7_PS2_
    .private_segment_fixed_size: 0
    .sgpr_count:     38
    .sgpr_spill_count: 0
    .symbol:         _ZN9rocsparseL38csr2bsr_block_per_row_multipass_kernelILj256ELj32EdliEEv20rocsparse_direction_T3_S2_S2_S2_S2_21rocsparse_index_base_PKT1_PKT2_PKS2_S3_PS4_PS7_PS2_.kd
    .uniform_work_group_size: 1
    .uses_dynamic_stack: false
    .vgpr_count:     46
    .vgpr_spill_count: 0
    .wavefront_size: 32
  - .args:
      - .offset:         0
        .size:           4
        .value_kind:     by_value
      - .offset:         4
        .size:           4
        .value_kind:     by_value
      - .offset:         8
        .size:           4
        .value_kind:     by_value
      - .offset:         12
        .size:           4
        .value_kind:     by_value
      - .offset:         16
        .size:           4
        .value_kind:     by_value
      - .offset:         20
        .size:           4
        .value_kind:     by_value
      - .offset:         24
        .size:           4
        .value_kind:     by_value
      - .actual_access:  read_only
        .address_space:  global
        .offset:         32
        .size:           8
        .value_kind:     global_buffer
      - .actual_access:  read_only
        .address_space:  global
        .offset:         40
        .size:           8
        .value_kind:     global_buffer
      - .actual_access:  read_only
        .address_space:  global
        .offset:         48
        .size:           8
        .value_kind:     global_buffer
      - .offset:         56
        .size:           4
        .value_kind:     by_value
      - .actual_access:  write_only
        .address_space:  global
        .offset:         64
        .size:           8
        .value_kind:     global_buffer
      - .actual_access:  read_only
        .address_space:  global
        .offset:         72
        .size:           8
        .value_kind:     global_buffer
      - .actual_access:  write_only
        .address_space:  global
        .offset:         80
        .size:           8
        .value_kind:     global_buffer
    .group_segment_fixed_size: 32776
    .kernarg_segment_align: 8
    .kernarg_segment_size: 88
    .language:       OpenCL C
    .language_version:
      - 2
      - 0
    .max_flat_workgroup_size: 256
    .name:           _ZN9rocsparseL38csr2bsr_block_per_row_multipass_kernelILj256ELj64EdliEEv20rocsparse_direction_T3_S2_S2_S2_S2_21rocsparse_index_base_PKT1_PKT2_PKS2_S3_PS4_PS7_PS2_
    .private_segment_fixed_size: 0
    .sgpr_count:     50
    .sgpr_spill_count: 0
    .symbol:         _ZN9rocsparseL38csr2bsr_block_per_row_multipass_kernelILj256ELj64EdliEEv20rocsparse_direction_T3_S2_S2_S2_S2_21rocsparse_index_base_PKT1_PKT2_PKS2_S3_PS4_PS7_PS2_.kd
    .uniform_work_group_size: 1
    .uses_dynamic_stack: false
    .vgpr_count:     70
    .vgpr_spill_count: 0
    .wavefront_size: 32
  - .args:
      - .offset:         0
        .size:           4
        .value_kind:     by_value
      - .offset:         4
        .size:           4
        .value_kind:     by_value
      - .offset:         8
        .size:           4
        .value_kind:     by_value
      - .offset:         12
        .size:           4
        .value_kind:     by_value
      - .offset:         16
        .size:           4
        .value_kind:     by_value
      - .offset:         20
        .size:           4
        .value_kind:     by_value
      - .offset:         24
        .size:           4
        .value_kind:     by_value
      - .offset:         28
        .size:           4
        .value_kind:     by_value
      - .actual_access:  read_only
        .address_space:  global
        .offset:         32
        .size:           8
        .value_kind:     global_buffer
      - .actual_access:  read_only
        .address_space:  global
        .offset:         40
        .size:           8
        .value_kind:     global_buffer
      - .actual_access:  read_only
        .address_space:  global
        .offset:         48
        .size:           8
        .value_kind:     global_buffer
      - .offset:         56
        .size:           4
        .value_kind:     by_value
      - .actual_access:  write_only
        .address_space:  global
        .offset:         64
        .size:           8
        .value_kind:     global_buffer
      - .actual_access:  read_only
        .address_space:  global
        .offset:         72
        .size:           8
        .value_kind:     global_buffer
      - .actual_access:  write_only
        .address_space:  global
        .offset:         80
        .size:           8
        .value_kind:     global_buffer
      - .address_space:  global
        .offset:         88
        .size:           8
        .value_kind:     global_buffer
      - .address_space:  global
        .offset:         96
        .size:           8
        .value_kind:     global_buffer
      - .address_space:  global
        .offset:         104
        .size:           8
        .value_kind:     global_buffer
    .group_segment_fixed_size: 0
    .kernarg_segment_align: 8
    .kernarg_segment_size: 112
    .language:       OpenCL C
    .language_version:
      - 2
      - 0
    .max_flat_workgroup_size: 32
    .name:           _ZN9rocsparseL21csr2bsr_65_inf_kernelILj32EdliEEv20rocsparse_direction_T2_S2_S2_S2_S2_S2_21rocsparse_index_base_PKT0_PKT1_PKS2_S3_PS4_PS7_PS2_SD_SE_SC_
    .private_segment_fixed_size: 0
    .sgpr_count:     38
    .sgpr_spill_count: 0
    .symbol:         _ZN9rocsparseL21csr2bsr_65_inf_kernelILj32EdliEEv20rocsparse_direction_T2_S2_S2_S2_S2_S2_21rocsparse_index_base_PKT0_PKT1_PKS2_S3_PS4_PS7_PS2_SD_SE_SC_.kd
    .uniform_work_group_size: 1
    .uses_dynamic_stack: false
    .vgpr_count:     41
    .vgpr_spill_count: 0
    .wavefront_size: 32
  - .args:
      - .offset:         0
        .size:           8
        .value_kind:     by_value
      - .offset:         8
        .size:           8
        .value_kind:     by_value
      - .offset:         16
        .size:           8
        .value_kind:     by_value
      - .offset:         24
        .size:           8
        .value_kind:     by_value
      - .offset:         32
        .size:           4
        .value_kind:     by_value
      - .address_space:  global
        .offset:         40
        .size:           8
        .value_kind:     global_buffer
      - .address_space:  global
        .offset:         48
        .size:           8
        .value_kind:     global_buffer
      - .address_space:  global
        .offset:         56
        .size:           8
        .value_kind:     global_buffer
      - .offset:         64
        .size:           4
        .value_kind:     by_value
      - .address_space:  global
        .offset:         72
        .size:           8
        .value_kind:     global_buffer
      - .address_space:  global
        .offset:         80
        .size:           8
        .value_kind:     global_buffer
      - .address_space:  global
        .offset:         88
        .size:           8
        .value_kind:     global_buffer
      - .offset:         96
        .size:           4
        .value_kind:     hidden_block_count_x
      - .offset:         100
        .size:           4
        .value_kind:     hidden_block_count_y
      - .offset:         104
        .size:           4
        .value_kind:     hidden_block_count_z
      - .offset:         108
        .size:           2
        .value_kind:     hidden_group_size_x
      - .offset:         110
        .size:           2
        .value_kind:     hidden_group_size_y
      - .offset:         112
        .size:           2
        .value_kind:     hidden_group_size_z
      - .offset:         114
        .size:           2
        .value_kind:     hidden_remainder_x
      - .offset:         116
        .size:           2
        .value_kind:     hidden_remainder_y
      - .offset:         118
        .size:           2
        .value_kind:     hidden_remainder_z
      - .offset:         136
        .size:           8
        .value_kind:     hidden_global_offset_x
      - .offset:         144
        .size:           8
        .value_kind:     hidden_global_offset_y
      - .offset:         152
        .size:           8
        .value_kind:     hidden_global_offset_z
      - .offset:         160
        .size:           2
        .value_kind:     hidden_grid_dims
    .group_segment_fixed_size: 0
    .kernarg_segment_align: 8
    .kernarg_segment_size: 352
    .language:       OpenCL C
    .language_version:
      - 2
      - 0
    .max_flat_workgroup_size: 256
    .name:           _ZN9rocsparseL35csr2bsr_block_dim_equals_one_kernelILj256EdilEEvT2_S1_S1_S1_21rocsparse_index_base_PKT0_PKT1_PKS1_S2_PS3_PS6_PS1_
    .private_segment_fixed_size: 0
    .sgpr_count:     17
    .sgpr_spill_count: 0
    .symbol:         _ZN9rocsparseL35csr2bsr_block_dim_equals_one_kernelILj256EdilEEvT2_S1_S1_S1_21rocsparse_index_base_PKT0_PKT1_PKS1_S2_PS3_PS6_PS1_.kd
    .uniform_work_group_size: 1
    .uses_dynamic_stack: false
    .vgpr_count:     6
    .vgpr_spill_count: 0
    .wavefront_size: 32
  - .args:
      - .offset:         0
        .size:           4
        .value_kind:     by_value
      - .offset:         8
        .size:           8
        .value_kind:     by_value
      - .offset:         16
        .size:           8
        .value_kind:     by_value
      - .offset:         24
        .size:           8
        .value_kind:     by_value
      - .offset:         32
        .size:           8
        .value_kind:     by_value
      - .offset:         40
        .size:           8
        .value_kind:     by_value
      - .offset:         48
        .size:           4
        .value_kind:     by_value
      - .actual_access:  read_only
        .address_space:  global
        .offset:         56
        .size:           8
        .value_kind:     global_buffer
      - .actual_access:  read_only
        .address_space:  global
        .offset:         64
        .size:           8
        .value_kind:     global_buffer
      - .actual_access:  read_only
        .address_space:  global
        .offset:         72
        .size:           8
        .value_kind:     global_buffer
      - .offset:         80
        .size:           4
        .value_kind:     by_value
      - .actual_access:  write_only
        .address_space:  global
        .offset:         88
        .size:           8
        .value_kind:     global_buffer
      - .actual_access:  read_only
        .address_space:  global
        .offset:         96
        .size:           8
        .value_kind:     global_buffer
      - .actual_access:  write_only
        .address_space:  global
        .offset:         104
        .size:           8
        .value_kind:     global_buffer
    .group_segment_fixed_size: 2064
    .kernarg_segment_align: 8
    .kernarg_segment_size: 112
    .language:       OpenCL C
    .language_version:
      - 2
      - 0
    .max_flat_workgroup_size: 256
    .name:           _ZN9rocsparseL42csr2bsr_wavefront_per_row_multipass_kernelILj256ELj16ELj4EdilEEv20rocsparse_direction_T4_S2_S2_S2_S2_21rocsparse_index_base_PKT2_PKT3_PKS2_S3_PS4_PS7_PS2_
    .private_segment_fixed_size: 0
    .sgpr_count:     43
    .sgpr_spill_count: 0
    .symbol:         _ZN9rocsparseL42csr2bsr_wavefront_per_row_multipass_kernelILj256ELj16ELj4EdilEEv20rocsparse_direction_T4_S2_S2_S2_S2_21rocsparse_index_base_PKT2_PKT3_PKS2_S3_PS4_PS7_PS2_.kd
    .uniform_work_group_size: 1
    .uses_dynamic_stack: false
    .vgpr_count:     46
    .vgpr_spill_count: 0
    .wavefront_size: 32
  - .args:
      - .offset:         0
        .size:           4
        .value_kind:     by_value
      - .offset:         8
        .size:           8
        .value_kind:     by_value
      - .offset:         16
        .size:           8
        .value_kind:     by_value
      - .offset:         24
        .size:           8
        .value_kind:     by_value
      - .offset:         32
        .size:           8
        .value_kind:     by_value
      - .offset:         40
        .size:           8
        .value_kind:     by_value
      - .offset:         48
        .size:           4
        .value_kind:     by_value
      - .actual_access:  read_only
        .address_space:  global
        .offset:         56
        .size:           8
        .value_kind:     global_buffer
      - .actual_access:  read_only
        .address_space:  global
        .offset:         64
        .size:           8
        .value_kind:     global_buffer
      - .actual_access:  read_only
        .address_space:  global
        .offset:         72
        .size:           8
        .value_kind:     global_buffer
      - .offset:         80
        .size:           4
        .value_kind:     by_value
      - .actual_access:  write_only
        .address_space:  global
        .offset:         88
        .size:           8
        .value_kind:     global_buffer
      - .actual_access:  read_only
        .address_space:  global
        .offset:         96
        .size:           8
        .value_kind:     global_buffer
      - .actual_access:  write_only
        .address_space:  global
        .offset:         104
        .size:           8
        .value_kind:     global_buffer
    .group_segment_fixed_size: 2056
    .kernarg_segment_align: 8
    .kernarg_segment_size: 112
    .language:       OpenCL C
    .language_version:
      - 2
      - 0
    .max_flat_workgroup_size: 256
    .name:           _ZN9rocsparseL42csr2bsr_wavefront_per_row_multipass_kernelILj256ELj64ELj8EdilEEv20rocsparse_direction_T4_S2_S2_S2_S2_21rocsparse_index_base_PKT2_PKT3_PKS2_S3_PS4_PS7_PS2_
    .private_segment_fixed_size: 0
    .sgpr_count:     43
    .sgpr_spill_count: 0
    .symbol:         _ZN9rocsparseL42csr2bsr_wavefront_per_row_multipass_kernelILj256ELj64ELj8EdilEEv20rocsparse_direction_T4_S2_S2_S2_S2_21rocsparse_index_base_PKT2_PKT3_PKS2_S3_PS4_PS7_PS2_.kd
    .uniform_work_group_size: 1
    .uses_dynamic_stack: false
    .vgpr_count:     48
    .vgpr_spill_count: 0
    .wavefront_size: 32
  - .args:
      - .offset:         0
        .size:           4
        .value_kind:     by_value
      - .offset:         8
        .size:           8
        .value_kind:     by_value
      - .offset:         16
        .size:           8
        .value_kind:     by_value
      - .offset:         24
        .size:           8
        .value_kind:     by_value
      - .offset:         32
        .size:           8
        .value_kind:     by_value
      - .offset:         40
        .size:           8
        .value_kind:     by_value
      - .offset:         48
        .size:           4
        .value_kind:     by_value
      - .actual_access:  read_only
        .address_space:  global
        .offset:         56
        .size:           8
        .value_kind:     global_buffer
      - .actual_access:  read_only
        .address_space:  global
        .offset:         64
        .size:           8
        .value_kind:     global_buffer
      - .actual_access:  read_only
        .address_space:  global
        .offset:         72
        .size:           8
        .value_kind:     global_buffer
      - .offset:         80
        .size:           4
        .value_kind:     by_value
      - .actual_access:  write_only
        .address_space:  global
        .offset:         88
        .size:           8
        .value_kind:     global_buffer
      - .actual_access:  read_only
        .address_space:  global
        .offset:         96
        .size:           8
        .value_kind:     global_buffer
      - .actual_access:  write_only
        .address_space:  global
        .offset:         104
        .size:           8
        .value_kind:     global_buffer
    .group_segment_fixed_size: 4104
    .kernarg_segment_align: 8
    .kernarg_segment_size: 112
    .language:       OpenCL C
    .language_version:
      - 2
      - 0
    .max_flat_workgroup_size: 256
    .name:           _ZN9rocsparseL42csr2bsr_wavefront_per_row_multipass_kernelILj256ELj32ELj8EdilEEv20rocsparse_direction_T4_S2_S2_S2_S2_21rocsparse_index_base_PKT2_PKT3_PKS2_S3_PS4_PS7_PS2_
    .private_segment_fixed_size: 0
    .sgpr_count:     44
    .sgpr_spill_count: 0
    .symbol:         _ZN9rocsparseL42csr2bsr_wavefront_per_row_multipass_kernelILj256ELj32ELj8EdilEEv20rocsparse_direction_T4_S2_S2_S2_S2_21rocsparse_index_base_PKT2_PKT3_PKS2_S3_PS4_PS7_PS2_.kd
    .uniform_work_group_size: 1
    .uses_dynamic_stack: false
    .vgpr_count:     52
    .vgpr_spill_count: 0
    .wavefront_size: 32
  - .args:
      - .offset:         0
        .size:           4
        .value_kind:     by_value
      - .offset:         8
        .size:           8
        .value_kind:     by_value
      - .offset:         16
        .size:           8
        .value_kind:     by_value
      - .offset:         24
        .size:           8
        .value_kind:     by_value
      - .offset:         32
        .size:           8
        .value_kind:     by_value
      - .offset:         40
        .size:           8
        .value_kind:     by_value
      - .offset:         48
        .size:           4
        .value_kind:     by_value
      - .actual_access:  read_only
        .address_space:  global
        .offset:         56
        .size:           8
        .value_kind:     global_buffer
      - .actual_access:  read_only
        .address_space:  global
        .offset:         64
        .size:           8
        .value_kind:     global_buffer
      - .actual_access:  read_only
        .address_space:  global
        .offset:         72
        .size:           8
        .value_kind:     global_buffer
      - .offset:         80
        .size:           4
        .value_kind:     by_value
      - .actual_access:  write_only
        .address_space:  global
        .offset:         88
        .size:           8
        .value_kind:     global_buffer
      - .actual_access:  read_only
        .address_space:  global
        .offset:         96
        .size:           8
        .value_kind:     global_buffer
      - .actual_access:  write_only
        .address_space:  global
        .offset:         104
        .size:           8
        .value_kind:     global_buffer
    .group_segment_fixed_size: 8200
    .kernarg_segment_align: 8
    .kernarg_segment_size: 112
    .language:       OpenCL C
    .language_version:
      - 2
      - 0
    .max_flat_workgroup_size: 256
    .name:           _ZN9rocsparseL42csr2bsr_wavefront_per_row_multipass_kernelILj256ELj64ELj16EdilEEv20rocsparse_direction_T4_S2_S2_S2_S2_21rocsparse_index_base_PKT2_PKT3_PKS2_S3_PS4_PS7_PS2_
    .private_segment_fixed_size: 0
    .sgpr_count:     45
    .sgpr_spill_count: 0
    .symbol:         _ZN9rocsparseL42csr2bsr_wavefront_per_row_multipass_kernelILj256ELj64ELj16EdilEEv20rocsparse_direction_T4_S2_S2_S2_S2_21rocsparse_index_base_PKT2_PKT3_PKS2_S3_PS4_PS7_PS2_.kd
    .uniform_work_group_size: 1
    .uses_dynamic_stack: false
    .vgpr_count:     58
    .vgpr_spill_count: 0
    .wavefront_size: 32
  - .args:
      - .offset:         0
        .size:           4
        .value_kind:     by_value
      - .offset:         8
        .size:           8
        .value_kind:     by_value
      - .offset:         16
        .size:           8
        .value_kind:     by_value
      - .offset:         24
        .size:           8
        .value_kind:     by_value
      - .offset:         32
        .size:           8
        .value_kind:     by_value
      - .offset:         40
        .size:           8
        .value_kind:     by_value
      - .offset:         48
        .size:           4
        .value_kind:     by_value
      - .actual_access:  read_only
        .address_space:  global
        .offset:         56
        .size:           8
        .value_kind:     global_buffer
      - .actual_access:  read_only
        .address_space:  global
        .offset:         64
        .size:           8
        .value_kind:     global_buffer
      - .actual_access:  read_only
        .address_space:  global
        .offset:         72
        .size:           8
        .value_kind:     global_buffer
      - .offset:         80
        .size:           4
        .value_kind:     by_value
      - .actual_access:  write_only
        .address_space:  global
        .offset:         88
        .size:           8
        .value_kind:     global_buffer
      - .actual_access:  read_only
        .address_space:  global
        .offset:         96
        .size:           8
        .value_kind:     global_buffer
      - .actual_access:  write_only
        .address_space:  global
        .offset:         104
        .size:           8
        .value_kind:     global_buffer
    .group_segment_fixed_size: 16392
    .kernarg_segment_align: 8
    .kernarg_segment_size: 112
    .language:       OpenCL C
    .language_version:
      - 2
      - 0
    .max_flat_workgroup_size: 256
    .name:           _ZN9rocsparseL42csr2bsr_wavefront_per_row_multipass_kernelILj256ELj32ELj16EdilEEv20rocsparse_direction_T4_S2_S2_S2_S2_21rocsparse_index_base_PKT2_PKT3_PKS2_S3_PS4_PS7_PS2_
    .private_segment_fixed_size: 0
    .sgpr_count:     49
    .sgpr_spill_count: 0
    .symbol:         _ZN9rocsparseL42csr2bsr_wavefront_per_row_multipass_kernelILj256ELj32ELj16EdilEEv20rocsparse_direction_T4_S2_S2_S2_S2_21rocsparse_index_base_PKT2_PKT3_PKS2_S3_PS4_PS7_PS2_.kd
    .uniform_work_group_size: 1
    .uses_dynamic_stack: false
    .vgpr_count:     66
    .vgpr_spill_count: 0
    .wavefront_size: 32
  - .args:
      - .offset:         0
        .size:           4
        .value_kind:     by_value
      - .offset:         8
        .size:           8
        .value_kind:     by_value
      - .offset:         16
        .size:           8
        .value_kind:     by_value
      - .offset:         24
        .size:           8
        .value_kind:     by_value
      - .offset:         32
        .size:           8
        .value_kind:     by_value
      - .offset:         40
        .size:           8
        .value_kind:     by_value
      - .offset:         48
        .size:           4
        .value_kind:     by_value
      - .actual_access:  read_only
        .address_space:  global
        .offset:         56
        .size:           8
        .value_kind:     global_buffer
      - .actual_access:  read_only
        .address_space:  global
        .offset:         64
        .size:           8
        .value_kind:     global_buffer
      - .actual_access:  read_only
        .address_space:  global
        .offset:         72
        .size:           8
        .value_kind:     global_buffer
      - .offset:         80
        .size:           4
        .value_kind:     by_value
      - .actual_access:  write_only
        .address_space:  global
        .offset:         88
        .size:           8
        .value_kind:     global_buffer
      - .actual_access:  read_only
        .address_space:  global
        .offset:         96
        .size:           8
        .value_kind:     global_buffer
      - .actual_access:  write_only
        .address_space:  global
        .offset:         104
        .size:           8
        .value_kind:     global_buffer
    .group_segment_fixed_size: 8200
    .kernarg_segment_align: 8
    .kernarg_segment_size: 112
    .language:       OpenCL C
    .language_version:
      - 2
      - 0
    .max_flat_workgroup_size: 256
    .name:           _ZN9rocsparseL38csr2bsr_block_per_row_multipass_kernelILj256ELj32EdilEEv20rocsparse_direction_T3_S2_S2_S2_S2_21rocsparse_index_base_PKT1_PKT2_PKS2_S3_PS4_PS7_PS2_
    .private_segment_fixed_size: 0
    .sgpr_count:     53
    .sgpr_spill_count: 0
    .symbol:         _ZN9rocsparseL38csr2bsr_block_per_row_multipass_kernelILj256ELj32EdilEEv20rocsparse_direction_T3_S2_S2_S2_S2_21rocsparse_index_base_PKT1_PKT2_PKS2_S3_PS4_PS7_PS2_.kd
    .uniform_work_group_size: 1
    .uses_dynamic_stack: false
    .vgpr_count:     52
    .vgpr_spill_count: 0
    .wavefront_size: 32
  - .args:
      - .offset:         0
        .size:           4
        .value_kind:     by_value
      - .offset:         8
        .size:           8
        .value_kind:     by_value
      - .offset:         16
        .size:           8
        .value_kind:     by_value
      - .offset:         24
        .size:           8
        .value_kind:     by_value
      - .offset:         32
        .size:           8
        .value_kind:     by_value
      - .offset:         40
        .size:           8
        .value_kind:     by_value
      - .offset:         48
        .size:           4
        .value_kind:     by_value
      - .actual_access:  read_only
        .address_space:  global
        .offset:         56
        .size:           8
        .value_kind:     global_buffer
      - .actual_access:  read_only
        .address_space:  global
        .offset:         64
        .size:           8
        .value_kind:     global_buffer
      - .actual_access:  read_only
        .address_space:  global
        .offset:         72
        .size:           8
        .value_kind:     global_buffer
      - .offset:         80
        .size:           4
        .value_kind:     by_value
      - .actual_access:  write_only
        .address_space:  global
        .offset:         88
        .size:           8
        .value_kind:     global_buffer
      - .actual_access:  read_only
        .address_space:  global
        .offset:         96
        .size:           8
        .value_kind:     global_buffer
      - .actual_access:  write_only
        .address_space:  global
        .offset:         104
        .size:           8
        .value_kind:     global_buffer
    .group_segment_fixed_size: 32776
    .kernarg_segment_align: 8
    .kernarg_segment_size: 112
    .language:       OpenCL C
    .language_version:
      - 2
      - 0
    .max_flat_workgroup_size: 256
    .name:           _ZN9rocsparseL38csr2bsr_block_per_row_multipass_kernelILj256ELj64EdilEEv20rocsparse_direction_T3_S2_S2_S2_S2_21rocsparse_index_base_PKT1_PKT2_PKS2_S3_PS4_PS7_PS2_
    .private_segment_fixed_size: 0
    .sgpr_count:     54
    .sgpr_spill_count: 0
    .symbol:         _ZN9rocsparseL38csr2bsr_block_per_row_multipass_kernelILj256ELj64EdilEEv20rocsparse_direction_T3_S2_S2_S2_S2_21rocsparse_index_base_PKT1_PKT2_PKS2_S3_PS4_PS7_PS2_.kd
    .uniform_work_group_size: 1
    .uses_dynamic_stack: false
    .vgpr_count:     52
    .vgpr_spill_count: 0
    .wavefront_size: 32
  - .args:
      - .offset:         0
        .size:           4
        .value_kind:     by_value
      - .offset:         8
        .size:           8
        .value_kind:     by_value
      - .offset:         16
        .size:           8
        .value_kind:     by_value
      - .offset:         24
        .size:           8
        .value_kind:     by_value
      - .offset:         32
        .size:           8
        .value_kind:     by_value
      - .offset:         40
        .size:           8
        .value_kind:     by_value
      - .offset:         48
        .size:           8
        .value_kind:     by_value
      - .offset:         56
        .size:           4
        .value_kind:     by_value
      - .actual_access:  read_only
        .address_space:  global
        .offset:         64
        .size:           8
        .value_kind:     global_buffer
      - .actual_access:  read_only
        .address_space:  global
        .offset:         72
        .size:           8
        .value_kind:     global_buffer
      - .actual_access:  read_only
        .address_space:  global
        .offset:         80
        .size:           8
        .value_kind:     global_buffer
      - .offset:         88
        .size:           4
        .value_kind:     by_value
      - .actual_access:  write_only
        .address_space:  global
        .offset:         96
        .size:           8
        .value_kind:     global_buffer
      - .actual_access:  read_only
        .address_space:  global
        .offset:         104
        .size:           8
        .value_kind:     global_buffer
      - .actual_access:  write_only
        .address_space:  global
        .offset:         112
        .size:           8
        .value_kind:     global_buffer
      - .address_space:  global
        .offset:         120
        .size:           8
        .value_kind:     global_buffer
      - .address_space:  global
        .offset:         128
        .size:           8
        .value_kind:     global_buffer
      - .address_space:  global
        .offset:         136
        .size:           8
        .value_kind:     global_buffer
    .group_segment_fixed_size: 0
    .kernarg_segment_align: 8
    .kernarg_segment_size: 144
    .language:       OpenCL C
    .language_version:
      - 2
      - 0
    .max_flat_workgroup_size: 32
    .name:           _ZN9rocsparseL21csr2bsr_65_inf_kernelILj32EdilEEv20rocsparse_direction_T2_S2_S2_S2_S2_S2_21rocsparse_index_base_PKT0_PKT1_PKS2_S3_PS4_PS7_PS2_SD_SE_SC_
    .private_segment_fixed_size: 0
    .sgpr_count:     54
    .sgpr_spill_count: 0
    .symbol:         _ZN9rocsparseL21csr2bsr_65_inf_kernelILj32EdilEEv20rocsparse_direction_T2_S2_S2_S2_S2_S2_21rocsparse_index_base_PKT0_PKT1_PKS2_S3_PS4_PS7_PS2_SD_SE_SC_.kd
    .uniform_work_group_size: 1
    .uses_dynamic_stack: false
    .vgpr_count:     58
    .vgpr_spill_count: 0
    .wavefront_size: 32
  - .args:
      - .offset:         0
        .size:           8
        .value_kind:     by_value
      - .offset:         8
        .size:           8
        .value_kind:     by_value
      - .offset:         16
        .size:           8
        .value_kind:     by_value
      - .offset:         24
        .size:           8
        .value_kind:     by_value
      - .offset:         32
        .size:           4
        .value_kind:     by_value
      - .address_space:  global
        .offset:         40
        .size:           8
        .value_kind:     global_buffer
      - .address_space:  global
        .offset:         48
        .size:           8
        .value_kind:     global_buffer
      - .address_space:  global
        .offset:         56
        .size:           8
        .value_kind:     global_buffer
      - .offset:         64
        .size:           4
        .value_kind:     by_value
      - .address_space:  global
        .offset:         72
        .size:           8
        .value_kind:     global_buffer
      - .address_space:  global
        .offset:         80
        .size:           8
        .value_kind:     global_buffer
      - .address_space:  global
        .offset:         88
        .size:           8
        .value_kind:     global_buffer
      - .offset:         96
        .size:           4
        .value_kind:     hidden_block_count_x
      - .offset:         100
        .size:           4
        .value_kind:     hidden_block_count_y
      - .offset:         104
        .size:           4
        .value_kind:     hidden_block_count_z
      - .offset:         108
        .size:           2
        .value_kind:     hidden_group_size_x
      - .offset:         110
        .size:           2
        .value_kind:     hidden_group_size_y
      - .offset:         112
        .size:           2
        .value_kind:     hidden_group_size_z
      - .offset:         114
        .size:           2
        .value_kind:     hidden_remainder_x
      - .offset:         116
        .size:           2
        .value_kind:     hidden_remainder_y
      - .offset:         118
        .size:           2
        .value_kind:     hidden_remainder_z
      - .offset:         136
        .size:           8
        .value_kind:     hidden_global_offset_x
      - .offset:         144
        .size:           8
        .value_kind:     hidden_global_offset_y
      - .offset:         152
        .size:           8
        .value_kind:     hidden_global_offset_z
      - .offset:         160
        .size:           2
        .value_kind:     hidden_grid_dims
    .group_segment_fixed_size: 0
    .kernarg_segment_align: 8
    .kernarg_segment_size: 352
    .language:       OpenCL C
    .language_version:
      - 2
      - 0
    .max_flat_workgroup_size: 256
    .name:           _ZN9rocsparseL35csr2bsr_block_dim_equals_one_kernelILj256EdllEEvT2_S1_S1_S1_21rocsparse_index_base_PKT0_PKT1_PKS1_S2_PS3_PS6_PS1_
    .private_segment_fixed_size: 0
    .sgpr_count:     20
    .sgpr_spill_count: 0
    .symbol:         _ZN9rocsparseL35csr2bsr_block_dim_equals_one_kernelILj256EdllEEvT2_S1_S1_S1_21rocsparse_index_base_PKT0_PKT1_PKS1_S2_PS3_PS6_PS1_.kd
    .uniform_work_group_size: 1
    .uses_dynamic_stack: false
    .vgpr_count:     12
    .vgpr_spill_count: 0
    .wavefront_size: 32
  - .args:
      - .offset:         0
        .size:           4
        .value_kind:     by_value
      - .offset:         8
        .size:           8
        .value_kind:     by_value
      - .offset:         16
        .size:           8
        .value_kind:     by_value
      - .offset:         24
        .size:           8
        .value_kind:     by_value
      - .offset:         32
        .size:           8
        .value_kind:     by_value
      - .offset:         40
        .size:           8
        .value_kind:     by_value
      - .offset:         48
        .size:           4
        .value_kind:     by_value
      - .actual_access:  read_only
        .address_space:  global
        .offset:         56
        .size:           8
        .value_kind:     global_buffer
      - .actual_access:  read_only
        .address_space:  global
        .offset:         64
        .size:           8
        .value_kind:     global_buffer
      - .actual_access:  read_only
        .address_space:  global
        .offset:         72
        .size:           8
        .value_kind:     global_buffer
      - .offset:         80
        .size:           4
        .value_kind:     by_value
      - .actual_access:  write_only
        .address_space:  global
        .offset:         88
        .size:           8
        .value_kind:     global_buffer
      - .actual_access:  read_only
        .address_space:  global
        .offset:         96
        .size:           8
        .value_kind:     global_buffer
      - .actual_access:  write_only
        .address_space:  global
        .offset:         104
        .size:           8
        .value_kind:     global_buffer
    .group_segment_fixed_size: 2064
    .kernarg_segment_align: 8
    .kernarg_segment_size: 112
    .language:       OpenCL C
    .language_version:
      - 2
      - 0
    .max_flat_workgroup_size: 256
    .name:           _ZN9rocsparseL42csr2bsr_wavefront_per_row_multipass_kernelILj256ELj16ELj4EdllEEv20rocsparse_direction_T4_S2_S2_S2_S2_21rocsparse_index_base_PKT2_PKT3_PKS2_S3_PS4_PS7_PS2_
    .private_segment_fixed_size: 0
    .sgpr_count:     44
    .sgpr_spill_count: 0
    .symbol:         _ZN9rocsparseL42csr2bsr_wavefront_per_row_multipass_kernelILj256ELj16ELj4EdllEEv20rocsparse_direction_T4_S2_S2_S2_S2_21rocsparse_index_base_PKT2_PKT3_PKS2_S3_PS4_PS7_PS2_.kd
    .uniform_work_group_size: 1
    .uses_dynamic_stack: false
    .vgpr_count:     54
    .vgpr_spill_count: 0
    .wavefront_size: 32
  - .args:
      - .offset:         0
        .size:           4
        .value_kind:     by_value
      - .offset:         8
        .size:           8
        .value_kind:     by_value
      - .offset:         16
        .size:           8
        .value_kind:     by_value
      - .offset:         24
        .size:           8
        .value_kind:     by_value
      - .offset:         32
        .size:           8
        .value_kind:     by_value
      - .offset:         40
        .size:           8
        .value_kind:     by_value
      - .offset:         48
        .size:           4
        .value_kind:     by_value
      - .actual_access:  read_only
        .address_space:  global
        .offset:         56
        .size:           8
        .value_kind:     global_buffer
      - .actual_access:  read_only
        .address_space:  global
        .offset:         64
        .size:           8
        .value_kind:     global_buffer
      - .actual_access:  read_only
        .address_space:  global
        .offset:         72
        .size:           8
        .value_kind:     global_buffer
      - .offset:         80
        .size:           4
        .value_kind:     by_value
      - .actual_access:  write_only
        .address_space:  global
        .offset:         88
        .size:           8
        .value_kind:     global_buffer
      - .actual_access:  read_only
        .address_space:  global
        .offset:         96
        .size:           8
        .value_kind:     global_buffer
      - .actual_access:  write_only
        .address_space:  global
        .offset:         104
        .size:           8
        .value_kind:     global_buffer
    .group_segment_fixed_size: 2056
    .kernarg_segment_align: 8
    .kernarg_segment_size: 112
    .language:       OpenCL C
    .language_version:
      - 2
      - 0
    .max_flat_workgroup_size: 256
    .name:           _ZN9rocsparseL42csr2bsr_wavefront_per_row_multipass_kernelILj256ELj64ELj8EdllEEv20rocsparse_direction_T4_S2_S2_S2_S2_21rocsparse_index_base_PKT2_PKT3_PKS2_S3_PS4_PS7_PS2_
    .private_segment_fixed_size: 0
    .sgpr_count:     44
    .sgpr_spill_count: 0
    .symbol:         _ZN9rocsparseL42csr2bsr_wavefront_per_row_multipass_kernelILj256ELj64ELj8EdllEEv20rocsparse_direction_T4_S2_S2_S2_S2_21rocsparse_index_base_PKT2_PKT3_PKS2_S3_PS4_PS7_PS2_.kd
    .uniform_work_group_size: 1
    .uses_dynamic_stack: false
    .vgpr_count:     56
    .vgpr_spill_count: 0
    .wavefront_size: 32
  - .args:
      - .offset:         0
        .size:           4
        .value_kind:     by_value
      - .offset:         8
        .size:           8
        .value_kind:     by_value
      - .offset:         16
        .size:           8
        .value_kind:     by_value
      - .offset:         24
        .size:           8
        .value_kind:     by_value
      - .offset:         32
        .size:           8
        .value_kind:     by_value
      - .offset:         40
        .size:           8
        .value_kind:     by_value
      - .offset:         48
        .size:           4
        .value_kind:     by_value
      - .actual_access:  read_only
        .address_space:  global
        .offset:         56
        .size:           8
        .value_kind:     global_buffer
      - .actual_access:  read_only
        .address_space:  global
        .offset:         64
        .size:           8
        .value_kind:     global_buffer
      - .actual_access:  read_only
        .address_space:  global
        .offset:         72
        .size:           8
        .value_kind:     global_buffer
      - .offset:         80
        .size:           4
        .value_kind:     by_value
      - .actual_access:  write_only
        .address_space:  global
        .offset:         88
        .size:           8
        .value_kind:     global_buffer
      - .actual_access:  read_only
        .address_space:  global
        .offset:         96
        .size:           8
        .value_kind:     global_buffer
      - .actual_access:  write_only
        .address_space:  global
        .offset:         104
        .size:           8
        .value_kind:     global_buffer
    .group_segment_fixed_size: 4104
    .kernarg_segment_align: 8
    .kernarg_segment_size: 112
    .language:       OpenCL C
    .language_version:
      - 2
      - 0
    .max_flat_workgroup_size: 256
    .name:           _ZN9rocsparseL42csr2bsr_wavefront_per_row_multipass_kernelILj256ELj32ELj8EdllEEv20rocsparse_direction_T4_S2_S2_S2_S2_21rocsparse_index_base_PKT2_PKT3_PKS2_S3_PS4_PS7_PS2_
    .private_segment_fixed_size: 0
    .sgpr_count:     45
    .sgpr_spill_count: 0
    .symbol:         _ZN9rocsparseL42csr2bsr_wavefront_per_row_multipass_kernelILj256ELj32ELj8EdllEEv20rocsparse_direction_T4_S2_S2_S2_S2_21rocsparse_index_base_PKT2_PKT3_PKS2_S3_PS4_PS7_PS2_.kd
    .uniform_work_group_size: 1
    .uses_dynamic_stack: false
    .vgpr_count:     60
    .vgpr_spill_count: 0
    .wavefront_size: 32
  - .args:
      - .offset:         0
        .size:           4
        .value_kind:     by_value
      - .offset:         8
        .size:           8
        .value_kind:     by_value
      - .offset:         16
        .size:           8
        .value_kind:     by_value
      - .offset:         24
        .size:           8
        .value_kind:     by_value
      - .offset:         32
        .size:           8
        .value_kind:     by_value
      - .offset:         40
        .size:           8
        .value_kind:     by_value
      - .offset:         48
        .size:           4
        .value_kind:     by_value
      - .actual_access:  read_only
        .address_space:  global
        .offset:         56
        .size:           8
        .value_kind:     global_buffer
      - .actual_access:  read_only
        .address_space:  global
        .offset:         64
        .size:           8
        .value_kind:     global_buffer
      - .actual_access:  read_only
        .address_space:  global
        .offset:         72
        .size:           8
        .value_kind:     global_buffer
      - .offset:         80
        .size:           4
        .value_kind:     by_value
      - .actual_access:  write_only
        .address_space:  global
        .offset:         88
        .size:           8
        .value_kind:     global_buffer
      - .actual_access:  read_only
        .address_space:  global
        .offset:         96
        .size:           8
        .value_kind:     global_buffer
      - .actual_access:  write_only
        .address_space:  global
        .offset:         104
        .size:           8
        .value_kind:     global_buffer
    .group_segment_fixed_size: 8200
    .kernarg_segment_align: 8
    .kernarg_segment_size: 112
    .language:       OpenCL C
    .language_version:
      - 2
      - 0
    .max_flat_workgroup_size: 256
    .name:           _ZN9rocsparseL42csr2bsr_wavefront_per_row_multipass_kernelILj256ELj64ELj16EdllEEv20rocsparse_direction_T4_S2_S2_S2_S2_21rocsparse_index_base_PKT2_PKT3_PKS2_S3_PS4_PS7_PS2_
    .private_segment_fixed_size: 0
    .sgpr_count:     47
    .sgpr_spill_count: 0
    .symbol:         _ZN9rocsparseL42csr2bsr_wavefront_per_row_multipass_kernelILj256ELj64ELj16EdllEEv20rocsparse_direction_T4_S2_S2_S2_S2_21rocsparse_index_base_PKT2_PKT3_PKS2_S3_PS4_PS7_PS2_.kd
    .uniform_work_group_size: 1
    .uses_dynamic_stack: false
    .vgpr_count:     64
    .vgpr_spill_count: 0
    .wavefront_size: 32
  - .args:
      - .offset:         0
        .size:           4
        .value_kind:     by_value
      - .offset:         8
        .size:           8
        .value_kind:     by_value
      - .offset:         16
        .size:           8
        .value_kind:     by_value
      - .offset:         24
        .size:           8
        .value_kind:     by_value
      - .offset:         32
        .size:           8
        .value_kind:     by_value
      - .offset:         40
        .size:           8
        .value_kind:     by_value
      - .offset:         48
        .size:           4
        .value_kind:     by_value
      - .actual_access:  read_only
        .address_space:  global
        .offset:         56
        .size:           8
        .value_kind:     global_buffer
      - .actual_access:  read_only
        .address_space:  global
        .offset:         64
        .size:           8
        .value_kind:     global_buffer
      - .actual_access:  read_only
        .address_space:  global
        .offset:         72
        .size:           8
        .value_kind:     global_buffer
      - .offset:         80
        .size:           4
        .value_kind:     by_value
      - .actual_access:  write_only
        .address_space:  global
        .offset:         88
        .size:           8
        .value_kind:     global_buffer
      - .actual_access:  read_only
        .address_space:  global
        .offset:         96
        .size:           8
        .value_kind:     global_buffer
      - .actual_access:  write_only
        .address_space:  global
        .offset:         104
        .size:           8
        .value_kind:     global_buffer
    .group_segment_fixed_size: 16392
    .kernarg_segment_align: 8
    .kernarg_segment_size: 112
    .language:       OpenCL C
    .language_version:
      - 2
      - 0
    .max_flat_workgroup_size: 256
    .name:           _ZN9rocsparseL42csr2bsr_wavefront_per_row_multipass_kernelILj256ELj32ELj16EdllEEv20rocsparse_direction_T4_S2_S2_S2_S2_21rocsparse_index_base_PKT2_PKT3_PKS2_S3_PS4_PS7_PS2_
    .private_segment_fixed_size: 0
    .sgpr_count:     50
    .sgpr_spill_count: 0
    .symbol:         _ZN9rocsparseL42csr2bsr_wavefront_per_row_multipass_kernelILj256ELj32ELj16EdllEEv20rocsparse_direction_T4_S2_S2_S2_S2_21rocsparse_index_base_PKT2_PKT3_PKS2_S3_PS4_PS7_PS2_.kd
    .uniform_work_group_size: 1
    .uses_dynamic_stack: false
    .vgpr_count:     74
    .vgpr_spill_count: 0
    .wavefront_size: 32
  - .args:
      - .offset:         0
        .size:           4
        .value_kind:     by_value
      - .offset:         8
        .size:           8
        .value_kind:     by_value
      - .offset:         16
        .size:           8
        .value_kind:     by_value
      - .offset:         24
        .size:           8
        .value_kind:     by_value
      - .offset:         32
        .size:           8
        .value_kind:     by_value
      - .offset:         40
        .size:           8
        .value_kind:     by_value
      - .offset:         48
        .size:           4
        .value_kind:     by_value
      - .actual_access:  read_only
        .address_space:  global
        .offset:         56
        .size:           8
        .value_kind:     global_buffer
      - .actual_access:  read_only
        .address_space:  global
        .offset:         64
        .size:           8
        .value_kind:     global_buffer
      - .actual_access:  read_only
        .address_space:  global
        .offset:         72
        .size:           8
        .value_kind:     global_buffer
      - .offset:         80
        .size:           4
        .value_kind:     by_value
      - .actual_access:  write_only
        .address_space:  global
        .offset:         88
        .size:           8
        .value_kind:     global_buffer
      - .actual_access:  read_only
        .address_space:  global
        .offset:         96
        .size:           8
        .value_kind:     global_buffer
      - .actual_access:  write_only
        .address_space:  global
        .offset:         104
        .size:           8
        .value_kind:     global_buffer
    .group_segment_fixed_size: 8200
    .kernarg_segment_align: 8
    .kernarg_segment_size: 112
    .language:       OpenCL C
    .language_version:
      - 2
      - 0
    .max_flat_workgroup_size: 256
    .name:           _ZN9rocsparseL38csr2bsr_block_per_row_multipass_kernelILj256ELj32EdllEEv20rocsparse_direction_T3_S2_S2_S2_S2_21rocsparse_index_base_PKT1_PKT2_PKS2_S3_PS4_PS7_PS2_
    .private_segment_fixed_size: 0
    .sgpr_count:     56
    .sgpr_spill_count: 0
    .symbol:         _ZN9rocsparseL38csr2bsr_block_per_row_multipass_kernelILj256ELj32EdllEEv20rocsparse_direction_T3_S2_S2_S2_S2_21rocsparse_index_base_PKT1_PKT2_PKS2_S3_PS4_PS7_PS2_.kd
    .uniform_work_group_size: 1
    .uses_dynamic_stack: false
    .vgpr_count:     60
    .vgpr_spill_count: 0
    .wavefront_size: 32
  - .args:
      - .offset:         0
        .size:           4
        .value_kind:     by_value
      - .offset:         8
        .size:           8
        .value_kind:     by_value
      - .offset:         16
        .size:           8
        .value_kind:     by_value
      - .offset:         24
        .size:           8
        .value_kind:     by_value
      - .offset:         32
        .size:           8
        .value_kind:     by_value
      - .offset:         40
        .size:           8
        .value_kind:     by_value
      - .offset:         48
        .size:           4
        .value_kind:     by_value
      - .actual_access:  read_only
        .address_space:  global
        .offset:         56
        .size:           8
        .value_kind:     global_buffer
      - .actual_access:  read_only
        .address_space:  global
        .offset:         64
        .size:           8
        .value_kind:     global_buffer
      - .actual_access:  read_only
        .address_space:  global
        .offset:         72
        .size:           8
        .value_kind:     global_buffer
      - .offset:         80
        .size:           4
        .value_kind:     by_value
      - .actual_access:  write_only
        .address_space:  global
        .offset:         88
        .size:           8
        .value_kind:     global_buffer
      - .actual_access:  read_only
        .address_space:  global
        .offset:         96
        .size:           8
        .value_kind:     global_buffer
      - .actual_access:  write_only
        .address_space:  global
        .offset:         104
        .size:           8
        .value_kind:     global_buffer
    .group_segment_fixed_size: 32776
    .kernarg_segment_align: 8
    .kernarg_segment_size: 112
    .language:       OpenCL C
    .language_version:
      - 2
      - 0
    .max_flat_workgroup_size: 256
    .name:           _ZN9rocsparseL38csr2bsr_block_per_row_multipass_kernelILj256ELj64EdllEEv20rocsparse_direction_T3_S2_S2_S2_S2_21rocsparse_index_base_PKT1_PKT2_PKS2_S3_PS4_PS7_PS2_
    .private_segment_fixed_size: 0
    .sgpr_count:     56
    .sgpr_spill_count: 0
    .symbol:         _ZN9rocsparseL38csr2bsr_block_per_row_multipass_kernelILj256ELj64EdllEEv20rocsparse_direction_T3_S2_S2_S2_S2_21rocsparse_index_base_PKT1_PKT2_PKS2_S3_PS4_PS7_PS2_.kd
    .uniform_work_group_size: 1
    .uses_dynamic_stack: false
    .vgpr_count:     56
    .vgpr_spill_count: 0
    .wavefront_size: 32
  - .args:
      - .offset:         0
        .size:           4
        .value_kind:     by_value
      - .offset:         8
        .size:           8
        .value_kind:     by_value
      - .offset:         16
        .size:           8
        .value_kind:     by_value
      - .offset:         24
        .size:           8
        .value_kind:     by_value
      - .offset:         32
        .size:           8
        .value_kind:     by_value
      - .offset:         40
        .size:           8
        .value_kind:     by_value
      - .offset:         48
        .size:           8
        .value_kind:     by_value
      - .offset:         56
        .size:           4
        .value_kind:     by_value
      - .actual_access:  read_only
        .address_space:  global
        .offset:         64
        .size:           8
        .value_kind:     global_buffer
      - .actual_access:  read_only
        .address_space:  global
        .offset:         72
        .size:           8
        .value_kind:     global_buffer
      - .actual_access:  read_only
        .address_space:  global
        .offset:         80
        .size:           8
        .value_kind:     global_buffer
      - .offset:         88
        .size:           4
        .value_kind:     by_value
      - .actual_access:  write_only
        .address_space:  global
        .offset:         96
        .size:           8
        .value_kind:     global_buffer
      - .actual_access:  read_only
        .address_space:  global
        .offset:         104
        .size:           8
        .value_kind:     global_buffer
      - .actual_access:  write_only
        .address_space:  global
        .offset:         112
        .size:           8
        .value_kind:     global_buffer
      - .address_space:  global
        .offset:         120
        .size:           8
        .value_kind:     global_buffer
      - .address_space:  global
        .offset:         128
        .size:           8
        .value_kind:     global_buffer
      - .address_space:  global
        .offset:         136
        .size:           8
        .value_kind:     global_buffer
    .group_segment_fixed_size: 0
    .kernarg_segment_align: 8
    .kernarg_segment_size: 144
    .language:       OpenCL C
    .language_version:
      - 2
      - 0
    .max_flat_workgroup_size: 32
    .name:           _ZN9rocsparseL21csr2bsr_65_inf_kernelILj32EdllEEv20rocsparse_direction_T2_S2_S2_S2_S2_S2_21rocsparse_index_base_PKT0_PKT1_PKS2_S3_PS4_PS7_PS2_SD_SE_SC_
    .private_segment_fixed_size: 0
    .sgpr_count:     54
    .sgpr_spill_count: 0
    .symbol:         _ZN9rocsparseL21csr2bsr_65_inf_kernelILj32EdllEEv20rocsparse_direction_T2_S2_S2_S2_S2_S2_21rocsparse_index_base_PKT0_PKT1_PKS2_S3_PS4_PS7_PS2_SD_SE_SC_.kd
    .uniform_work_group_size: 1
    .uses_dynamic_stack: false
    .vgpr_count:     58
    .vgpr_spill_count: 0
    .wavefront_size: 32
  - .args:
      - .offset:         0
        .size:           4
        .value_kind:     by_value
      - .offset:         4
        .size:           4
        .value_kind:     by_value
      - .offset:         8
        .size:           4
        .value_kind:     by_value
      - .offset:         12
        .size:           4
        .value_kind:     by_value
      - .offset:         16
        .size:           4
        .value_kind:     by_value
      - .address_space:  global
        .offset:         24
        .size:           8
        .value_kind:     global_buffer
      - .address_space:  global
        .offset:         32
        .size:           8
        .value_kind:     global_buffer
      - .address_space:  global
        .offset:         40
        .size:           8
        .value_kind:     global_buffer
      - .offset:         48
        .size:           4
        .value_kind:     by_value
      - .address_space:  global
        .offset:         56
        .size:           8
        .value_kind:     global_buffer
      - .address_space:  global
        .offset:         64
        .size:           8
        .value_kind:     global_buffer
      - .address_space:  global
        .offset:         72
        .size:           8
        .value_kind:     global_buffer
      - .offset:         80
        .size:           4
        .value_kind:     hidden_block_count_x
      - .offset:         84
        .size:           4
        .value_kind:     hidden_block_count_y
      - .offset:         88
        .size:           4
        .value_kind:     hidden_block_count_z
      - .offset:         92
        .size:           2
        .value_kind:     hidden_group_size_x
      - .offset:         94
        .size:           2
        .value_kind:     hidden_group_size_y
      - .offset:         96
        .size:           2
        .value_kind:     hidden_group_size_z
      - .offset:         98
        .size:           2
        .value_kind:     hidden_remainder_x
      - .offset:         100
        .size:           2
        .value_kind:     hidden_remainder_y
      - .offset:         102
        .size:           2
        .value_kind:     hidden_remainder_z
      - .offset:         120
        .size:           8
        .value_kind:     hidden_global_offset_x
      - .offset:         128
        .size:           8
        .value_kind:     hidden_global_offset_y
      - .offset:         136
        .size:           8
        .value_kind:     hidden_global_offset_z
      - .offset:         144
        .size:           2
        .value_kind:     hidden_grid_dims
    .group_segment_fixed_size: 0
    .kernarg_segment_align: 8
    .kernarg_segment_size: 336
    .language:       OpenCL C
    .language_version:
      - 2
      - 0
    .max_flat_workgroup_size: 256
    .name:           _ZN9rocsparseL35csr2bsr_block_dim_equals_one_kernelILj256E21rocsparse_complex_numIdEiiEEvT2_S3_S3_S3_21rocsparse_index_base_PKT0_PKT1_PKS3_S4_PS5_PS8_PS3_
    .private_segment_fixed_size: 0
    .sgpr_count:     17
    .sgpr_spill_count: 0
    .symbol:         _ZN9rocsparseL35csr2bsr_block_dim_equals_one_kernelILj256E21rocsparse_complex_numIdEiiEEvT2_S3_S3_S3_21rocsparse_index_base_PKT0_PKT1_PKS3_S4_PS5_PS8_PS3_.kd
    .uniform_work_group_size: 1
    .uses_dynamic_stack: false
    .vgpr_count:     6
    .vgpr_spill_count: 0
    .wavefront_size: 32
  - .args:
      - .offset:         0
        .size:           4
        .value_kind:     by_value
      - .offset:         4
        .size:           4
        .value_kind:     by_value
      - .offset:         8
        .size:           4
        .value_kind:     by_value
      - .offset:         12
        .size:           4
        .value_kind:     by_value
      - .offset:         16
        .size:           4
        .value_kind:     by_value
      - .offset:         20
        .size:           4
        .value_kind:     by_value
      - .offset:         24
        .size:           4
        .value_kind:     by_value
      - .actual_access:  read_only
        .address_space:  global
        .offset:         32
        .size:           8
        .value_kind:     global_buffer
      - .actual_access:  read_only
        .address_space:  global
        .offset:         40
        .size:           8
        .value_kind:     global_buffer
      - .actual_access:  read_only
        .address_space:  global
        .offset:         48
        .size:           8
        .value_kind:     global_buffer
      - .offset:         56
        .size:           4
        .value_kind:     by_value
      - .actual_access:  write_only
        .address_space:  global
        .offset:         64
        .size:           8
        .value_kind:     global_buffer
      - .actual_access:  read_only
        .address_space:  global
        .offset:         72
        .size:           8
        .value_kind:     global_buffer
      - .actual_access:  write_only
        .address_space:  global
        .offset:         80
        .size:           8
        .value_kind:     global_buffer
    .group_segment_fixed_size: 4112
    .kernarg_segment_align: 8
    .kernarg_segment_size: 88
    .language:       OpenCL C
    .language_version:
      - 2
      - 0
    .max_flat_workgroup_size: 256
    .name:           _ZN9rocsparseL42csr2bsr_wavefront_per_row_multipass_kernelILj256ELj16ELj4E21rocsparse_complex_numIdEiiEEv20rocsparse_direction_T4_S4_S4_S4_S4_21rocsparse_index_base_PKT2_PKT3_PKS4_S5_PS6_PS9_PS4_
    .private_segment_fixed_size: 0
    .sgpr_count:     24
    .sgpr_spill_count: 0
    .symbol:         _ZN9rocsparseL42csr2bsr_wavefront_per_row_multipass_kernelILj256ELj16ELj4E21rocsparse_complex_numIdEiiEEv20rocsparse_direction_T4_S4_S4_S4_S4_21rocsparse_index_base_PKT2_PKT3_PKS4_S5_PS6_PS9_PS4_.kd
    .uniform_work_group_size: 1
    .uses_dynamic_stack: false
    .vgpr_count:     32
    .vgpr_spill_count: 0
    .wavefront_size: 32
  - .args:
      - .offset:         0
        .size:           4
        .value_kind:     by_value
      - .offset:         4
        .size:           4
        .value_kind:     by_value
      - .offset:         8
        .size:           4
        .value_kind:     by_value
      - .offset:         12
        .size:           4
        .value_kind:     by_value
      - .offset:         16
        .size:           4
        .value_kind:     by_value
      - .offset:         20
        .size:           4
        .value_kind:     by_value
      - .offset:         24
        .size:           4
        .value_kind:     by_value
      - .actual_access:  read_only
        .address_space:  global
        .offset:         32
        .size:           8
        .value_kind:     global_buffer
      - .actual_access:  read_only
        .address_space:  global
        .offset:         40
        .size:           8
        .value_kind:     global_buffer
      - .actual_access:  read_only
        .address_space:  global
        .offset:         48
        .size:           8
        .value_kind:     global_buffer
      - .offset:         56
        .size:           4
        .value_kind:     by_value
      - .actual_access:  write_only
        .address_space:  global
        .offset:         64
        .size:           8
        .value_kind:     global_buffer
      - .actual_access:  read_only
        .address_space:  global
        .offset:         72
        .size:           8
        .value_kind:     global_buffer
      - .actual_access:  write_only
        .address_space:  global
        .offset:         80
        .size:           8
        .value_kind:     global_buffer
    .group_segment_fixed_size: 4104
    .kernarg_segment_align: 8
    .kernarg_segment_size: 88
    .language:       OpenCL C
    .language_version:
      - 2
      - 0
    .max_flat_workgroup_size: 256
    .name:           _ZN9rocsparseL42csr2bsr_wavefront_per_row_multipass_kernelILj256ELj64ELj8E21rocsparse_complex_numIdEiiEEv20rocsparse_direction_T4_S4_S4_S4_S4_21rocsparse_index_base_PKT2_PKT3_PKS4_S5_PS6_PS9_PS4_
    .private_segment_fixed_size: 0
    .sgpr_count:     24
    .sgpr_spill_count: 0
    .symbol:         _ZN9rocsparseL42csr2bsr_wavefront_per_row_multipass_kernelILj256ELj64ELj8E21rocsparse_complex_numIdEiiEEv20rocsparse_direction_T4_S4_S4_S4_S4_21rocsparse_index_base_PKT2_PKT3_PKS4_S5_PS6_PS9_PS4_.kd
    .uniform_work_group_size: 1
    .uses_dynamic_stack: false
    .vgpr_count:     34
    .vgpr_spill_count: 0
    .wavefront_size: 32
  - .args:
      - .offset:         0
        .size:           4
        .value_kind:     by_value
      - .offset:         4
        .size:           4
        .value_kind:     by_value
      - .offset:         8
        .size:           4
        .value_kind:     by_value
      - .offset:         12
        .size:           4
        .value_kind:     by_value
      - .offset:         16
        .size:           4
        .value_kind:     by_value
      - .offset:         20
        .size:           4
        .value_kind:     by_value
      - .offset:         24
        .size:           4
        .value_kind:     by_value
      - .actual_access:  read_only
        .address_space:  global
        .offset:         32
        .size:           8
        .value_kind:     global_buffer
      - .actual_access:  read_only
        .address_space:  global
        .offset:         40
        .size:           8
        .value_kind:     global_buffer
      - .actual_access:  read_only
        .address_space:  global
        .offset:         48
        .size:           8
        .value_kind:     global_buffer
      - .offset:         56
        .size:           4
        .value_kind:     by_value
      - .actual_access:  write_only
        .address_space:  global
        .offset:         64
        .size:           8
        .value_kind:     global_buffer
      - .actual_access:  read_only
        .address_space:  global
        .offset:         72
        .size:           8
        .value_kind:     global_buffer
      - .actual_access:  write_only
        .address_space:  global
        .offset:         80
        .size:           8
        .value_kind:     global_buffer
    .group_segment_fixed_size: 8200
    .kernarg_segment_align: 8
    .kernarg_segment_size: 88
    .language:       OpenCL C
    .language_version:
      - 2
      - 0
    .max_flat_workgroup_size: 256
    .name:           _ZN9rocsparseL42csr2bsr_wavefront_per_row_multipass_kernelILj256ELj32ELj8E21rocsparse_complex_numIdEiiEEv20rocsparse_direction_T4_S4_S4_S4_S4_21rocsparse_index_base_PKT2_PKT3_PKS4_S5_PS6_PS9_PS4_
    .private_segment_fixed_size: 0
    .sgpr_count:     27
    .sgpr_spill_count: 0
    .symbol:         _ZN9rocsparseL42csr2bsr_wavefront_per_row_multipass_kernelILj256ELj32ELj8E21rocsparse_complex_numIdEiiEEv20rocsparse_direction_T4_S4_S4_S4_S4_21rocsparse_index_base_PKT2_PKT3_PKS4_S5_PS6_PS9_PS4_.kd
    .uniform_work_group_size: 1
    .uses_dynamic_stack: false
    .vgpr_count:     46
    .vgpr_spill_count: 0
    .wavefront_size: 32
  - .args:
      - .offset:         0
        .size:           4
        .value_kind:     by_value
      - .offset:         4
        .size:           4
        .value_kind:     by_value
      - .offset:         8
        .size:           4
        .value_kind:     by_value
      - .offset:         12
        .size:           4
        .value_kind:     by_value
      - .offset:         16
        .size:           4
        .value_kind:     by_value
      - .offset:         20
        .size:           4
        .value_kind:     by_value
      - .offset:         24
        .size:           4
        .value_kind:     by_value
      - .actual_access:  read_only
        .address_space:  global
        .offset:         32
        .size:           8
        .value_kind:     global_buffer
      - .actual_access:  read_only
        .address_space:  global
        .offset:         40
        .size:           8
        .value_kind:     global_buffer
      - .actual_access:  read_only
        .address_space:  global
        .offset:         48
        .size:           8
        .value_kind:     global_buffer
      - .offset:         56
        .size:           4
        .value_kind:     by_value
      - .actual_access:  write_only
        .address_space:  global
        .offset:         64
        .size:           8
        .value_kind:     global_buffer
      - .actual_access:  read_only
        .address_space:  global
        .offset:         72
        .size:           8
        .value_kind:     global_buffer
      - .actual_access:  write_only
        .address_space:  global
        .offset:         80
        .size:           8
        .value_kind:     global_buffer
    .group_segment_fixed_size: 16392
    .kernarg_segment_align: 8
    .kernarg_segment_size: 88
    .language:       OpenCL C
    .language_version:
      - 2
      - 0
    .max_flat_workgroup_size: 256
    .name:           _ZN9rocsparseL42csr2bsr_wavefront_per_row_multipass_kernelILj256ELj64ELj16E21rocsparse_complex_numIdEiiEEv20rocsparse_direction_T4_S4_S4_S4_S4_21rocsparse_index_base_PKT2_PKT3_PKS4_S5_PS6_PS9_PS4_
    .private_segment_fixed_size: 0
    .sgpr_count:     30
    .sgpr_spill_count: 0
    .symbol:         _ZN9rocsparseL42csr2bsr_wavefront_per_row_multipass_kernelILj256ELj64ELj16E21rocsparse_complex_numIdEiiEEv20rocsparse_direction_T4_S4_S4_S4_S4_21rocsparse_index_base_PKT2_PKT3_PKS4_S5_PS6_PS9_PS4_.kd
    .uniform_work_group_size: 1
    .uses_dynamic_stack: false
    .vgpr_count:     54
    .vgpr_spill_count: 0
    .wavefront_size: 32
  - .args:
      - .offset:         0
        .size:           4
        .value_kind:     by_value
      - .offset:         4
        .size:           4
        .value_kind:     by_value
      - .offset:         8
        .size:           4
        .value_kind:     by_value
      - .offset:         12
        .size:           4
        .value_kind:     by_value
      - .offset:         16
        .size:           4
        .value_kind:     by_value
      - .offset:         20
        .size:           4
        .value_kind:     by_value
      - .offset:         24
        .size:           4
        .value_kind:     by_value
      - .actual_access:  read_only
        .address_space:  global
        .offset:         32
        .size:           8
        .value_kind:     global_buffer
      - .actual_access:  read_only
        .address_space:  global
        .offset:         40
        .size:           8
        .value_kind:     global_buffer
      - .actual_access:  read_only
        .address_space:  global
        .offset:         48
        .size:           8
        .value_kind:     global_buffer
      - .offset:         56
        .size:           4
        .value_kind:     by_value
      - .actual_access:  write_only
        .address_space:  global
        .offset:         64
        .size:           8
        .value_kind:     global_buffer
      - .actual_access:  read_only
        .address_space:  global
        .offset:         72
        .size:           8
        .value_kind:     global_buffer
      - .actual_access:  write_only
        .address_space:  global
        .offset:         80
        .size:           8
        .value_kind:     global_buffer
    .group_segment_fixed_size: 32776
    .kernarg_segment_align: 8
    .kernarg_segment_size: 88
    .language:       OpenCL C
    .language_version:
      - 2
      - 0
    .max_flat_workgroup_size: 256
    .name:           _ZN9rocsparseL42csr2bsr_wavefront_per_row_multipass_kernelILj256ELj32ELj16E21rocsparse_complex_numIdEiiEEv20rocsparse_direction_T4_S4_S4_S4_S4_21rocsparse_index_base_PKT2_PKT3_PKS4_S5_PS6_PS9_PS4_
    .private_segment_fixed_size: 0
    .sgpr_count:     34
    .sgpr_spill_count: 0
    .symbol:         _ZN9rocsparseL42csr2bsr_wavefront_per_row_multipass_kernelILj256ELj32ELj16E21rocsparse_complex_numIdEiiEEv20rocsparse_direction_T4_S4_S4_S4_S4_21rocsparse_index_base_PKT2_PKT3_PKS4_S5_PS6_PS9_PS4_.kd
    .uniform_work_group_size: 1
    .uses_dynamic_stack: false
    .vgpr_count:     64
    .vgpr_spill_count: 0
    .wavefront_size: 32
  - .args:
      - .offset:         0
        .size:           4
        .value_kind:     by_value
      - .offset:         4
        .size:           4
        .value_kind:     by_value
      - .offset:         8
        .size:           4
        .value_kind:     by_value
      - .offset:         12
        .size:           4
        .value_kind:     by_value
      - .offset:         16
        .size:           4
        .value_kind:     by_value
      - .offset:         20
        .size:           4
        .value_kind:     by_value
      - .offset:         24
        .size:           4
        .value_kind:     by_value
      - .actual_access:  read_only
        .address_space:  global
        .offset:         32
        .size:           8
        .value_kind:     global_buffer
      - .actual_access:  read_only
        .address_space:  global
        .offset:         40
        .size:           8
        .value_kind:     global_buffer
      - .actual_access:  read_only
        .address_space:  global
        .offset:         48
        .size:           8
        .value_kind:     global_buffer
      - .offset:         56
        .size:           4
        .value_kind:     by_value
      - .actual_access:  write_only
        .address_space:  global
        .offset:         64
        .size:           8
        .value_kind:     global_buffer
      - .actual_access:  read_only
        .address_space:  global
        .offset:         72
        .size:           8
        .value_kind:     global_buffer
      - .actual_access:  write_only
        .address_space:  global
        .offset:         80
        .size:           8
        .value_kind:     global_buffer
    .group_segment_fixed_size: 16392
    .kernarg_segment_align: 8
    .kernarg_segment_size: 88
    .language:       OpenCL C
    .language_version:
      - 2
      - 0
    .max_flat_workgroup_size: 256
    .name:           _ZN9rocsparseL38csr2bsr_block_per_row_multipass_kernelILj256ELj32E21rocsparse_complex_numIdEiiEEv20rocsparse_direction_T3_S4_S4_S4_S4_21rocsparse_index_base_PKT1_PKT2_PKS4_S5_PS6_PS9_PS4_
    .private_segment_fixed_size: 0
    .sgpr_count:     42
    .sgpr_spill_count: 0
    .symbol:         _ZN9rocsparseL38csr2bsr_block_per_row_multipass_kernelILj256ELj32E21rocsparse_complex_numIdEiiEEv20rocsparse_direction_T3_S4_S4_S4_S4_21rocsparse_index_base_PKT1_PKT2_PKS4_S5_PS6_PS9_PS4_.kd
    .uniform_work_group_size: 1
    .uses_dynamic_stack: false
    .vgpr_count:     46
    .vgpr_spill_count: 0
    .wavefront_size: 32
  - .args:
      - .offset:         0
        .size:           4
        .value_kind:     by_value
      - .offset:         4
        .size:           4
        .value_kind:     by_value
      - .offset:         8
        .size:           4
        .value_kind:     by_value
      - .offset:         12
        .size:           4
        .value_kind:     by_value
      - .offset:         16
        .size:           4
        .value_kind:     by_value
      - .offset:         20
        .size:           4
        .value_kind:     by_value
      - .offset:         24
        .size:           4
        .value_kind:     by_value
      - .offset:         28
        .size:           4
        .value_kind:     by_value
      - .actual_access:  read_only
        .address_space:  global
        .offset:         32
        .size:           8
        .value_kind:     global_buffer
      - .actual_access:  read_only
        .address_space:  global
        .offset:         40
        .size:           8
        .value_kind:     global_buffer
      - .actual_access:  read_only
        .address_space:  global
        .offset:         48
        .size:           8
        .value_kind:     global_buffer
      - .offset:         56
        .size:           4
        .value_kind:     by_value
      - .actual_access:  write_only
        .address_space:  global
        .offset:         64
        .size:           8
        .value_kind:     global_buffer
      - .actual_access:  read_only
        .address_space:  global
        .offset:         72
        .size:           8
        .value_kind:     global_buffer
      - .actual_access:  write_only
        .address_space:  global
        .offset:         80
        .size:           8
        .value_kind:     global_buffer
      - .address_space:  global
        .offset:         88
        .size:           8
        .value_kind:     global_buffer
      - .address_space:  global
        .offset:         96
        .size:           8
        .value_kind:     global_buffer
      - .address_space:  global
        .offset:         104
        .size:           8
        .value_kind:     global_buffer
    .group_segment_fixed_size: 0
    .kernarg_segment_align: 8
    .kernarg_segment_size: 112
    .language:       OpenCL C
    .language_version:
      - 2
      - 0
    .max_flat_workgroup_size: 32
    .name:           _ZN9rocsparseL21csr2bsr_65_inf_kernelILj32E21rocsparse_complex_numIdEiiEEv20rocsparse_direction_T2_S4_S4_S4_S4_S4_21rocsparse_index_base_PKT0_PKT1_PKS4_S5_PS6_PS9_PS4_SF_SG_SE_
    .private_segment_fixed_size: 0
    .sgpr_count:     38
    .sgpr_spill_count: 0
    .symbol:         _ZN9rocsparseL21csr2bsr_65_inf_kernelILj32E21rocsparse_complex_numIdEiiEEv20rocsparse_direction_T2_S4_S4_S4_S4_S4_21rocsparse_index_base_PKT0_PKT1_PKS4_S5_PS6_PS9_PS4_SF_SG_SE_.kd
    .uniform_work_group_size: 1
    .uses_dynamic_stack: false
    .vgpr_count:     42
    .vgpr_spill_count: 0
    .wavefront_size: 32
  - .args:
      - .offset:         0
        .size:           4
        .value_kind:     by_value
      - .offset:         4
        .size:           4
        .value_kind:     by_value
      - .offset:         8
        .size:           4
        .value_kind:     by_value
      - .offset:         12
        .size:           4
        .value_kind:     by_value
      - .offset:         16
        .size:           4
        .value_kind:     by_value
      - .address_space:  global
        .offset:         24
        .size:           8
        .value_kind:     global_buffer
      - .address_space:  global
        .offset:         32
        .size:           8
        .value_kind:     global_buffer
      - .address_space:  global
        .offset:         40
        .size:           8
        .value_kind:     global_buffer
      - .offset:         48
        .size:           4
        .value_kind:     by_value
      - .address_space:  global
        .offset:         56
        .size:           8
        .value_kind:     global_buffer
      - .address_space:  global
        .offset:         64
        .size:           8
        .value_kind:     global_buffer
      - .address_space:  global
        .offset:         72
        .size:           8
        .value_kind:     global_buffer
      - .offset:         80
        .size:           4
        .value_kind:     hidden_block_count_x
      - .offset:         84
        .size:           4
        .value_kind:     hidden_block_count_y
      - .offset:         88
        .size:           4
        .value_kind:     hidden_block_count_z
      - .offset:         92
        .size:           2
        .value_kind:     hidden_group_size_x
      - .offset:         94
        .size:           2
        .value_kind:     hidden_group_size_y
      - .offset:         96
        .size:           2
        .value_kind:     hidden_group_size_z
      - .offset:         98
        .size:           2
        .value_kind:     hidden_remainder_x
      - .offset:         100
        .size:           2
        .value_kind:     hidden_remainder_y
      - .offset:         102
        .size:           2
        .value_kind:     hidden_remainder_z
      - .offset:         120
        .size:           8
        .value_kind:     hidden_global_offset_x
      - .offset:         128
        .size:           8
        .value_kind:     hidden_global_offset_y
      - .offset:         136
        .size:           8
        .value_kind:     hidden_global_offset_z
      - .offset:         144
        .size:           2
        .value_kind:     hidden_grid_dims
    .group_segment_fixed_size: 0
    .kernarg_segment_align: 8
    .kernarg_segment_size: 336
    .language:       OpenCL C
    .language_version:
      - 2
      - 0
    .max_flat_workgroup_size: 256
    .name:           _ZN9rocsparseL35csr2bsr_block_dim_equals_one_kernelILj256E21rocsparse_complex_numIdEliEEvT2_S3_S3_S3_21rocsparse_index_base_PKT0_PKT1_PKS3_S4_PS5_PS8_PS3_
    .private_segment_fixed_size: 0
    .sgpr_count:     20
    .sgpr_spill_count: 0
    .symbol:         _ZN9rocsparseL35csr2bsr_block_dim_equals_one_kernelILj256E21rocsparse_complex_numIdEliEEvT2_S3_S3_S3_21rocsparse_index_base_PKT0_PKT1_PKS3_S4_PS5_PS8_PS3_.kd
    .uniform_work_group_size: 1
    .uses_dynamic_stack: false
    .vgpr_count:     12
    .vgpr_spill_count: 0
    .wavefront_size: 32
  - .args:
      - .offset:         0
        .size:           4
        .value_kind:     by_value
      - .offset:         4
        .size:           4
        .value_kind:     by_value
      - .offset:         8
        .size:           4
        .value_kind:     by_value
      - .offset:         12
        .size:           4
        .value_kind:     by_value
      - .offset:         16
        .size:           4
        .value_kind:     by_value
      - .offset:         20
        .size:           4
        .value_kind:     by_value
      - .offset:         24
        .size:           4
        .value_kind:     by_value
      - .actual_access:  read_only
        .address_space:  global
        .offset:         32
        .size:           8
        .value_kind:     global_buffer
      - .actual_access:  read_only
        .address_space:  global
        .offset:         40
        .size:           8
        .value_kind:     global_buffer
      - .actual_access:  read_only
        .address_space:  global
        .offset:         48
        .size:           8
        .value_kind:     global_buffer
      - .offset:         56
        .size:           4
        .value_kind:     by_value
      - .actual_access:  write_only
        .address_space:  global
        .offset:         64
        .size:           8
        .value_kind:     global_buffer
      - .actual_access:  read_only
        .address_space:  global
        .offset:         72
        .size:           8
        .value_kind:     global_buffer
      - .actual_access:  write_only
        .address_space:  global
        .offset:         80
        .size:           8
        .value_kind:     global_buffer
    .group_segment_fixed_size: 4112
    .kernarg_segment_align: 8
    .kernarg_segment_size: 88
    .language:       OpenCL C
    .language_version:
      - 2
      - 0
    .max_flat_workgroup_size: 256
    .name:           _ZN9rocsparseL42csr2bsr_wavefront_per_row_multipass_kernelILj256ELj16ELj4E21rocsparse_complex_numIdEliEEv20rocsparse_direction_T4_S4_S4_S4_S4_21rocsparse_index_base_PKT2_PKT3_PKS4_S5_PS6_PS9_PS4_
    .private_segment_fixed_size: 0
    .sgpr_count:     24
    .sgpr_spill_count: 0
    .symbol:         _ZN9rocsparseL42csr2bsr_wavefront_per_row_multipass_kernelILj256ELj16ELj4E21rocsparse_complex_numIdEliEEv20rocsparse_direction_T4_S4_S4_S4_S4_21rocsparse_index_base_PKT2_PKT3_PKS4_S5_PS6_PS9_PS4_.kd
    .uniform_work_group_size: 1
    .uses_dynamic_stack: false
    .vgpr_count:     44
    .vgpr_spill_count: 0
    .wavefront_size: 32
  - .args:
      - .offset:         0
        .size:           4
        .value_kind:     by_value
      - .offset:         4
        .size:           4
        .value_kind:     by_value
      - .offset:         8
        .size:           4
        .value_kind:     by_value
      - .offset:         12
        .size:           4
        .value_kind:     by_value
      - .offset:         16
        .size:           4
        .value_kind:     by_value
      - .offset:         20
        .size:           4
        .value_kind:     by_value
      - .offset:         24
        .size:           4
        .value_kind:     by_value
      - .actual_access:  read_only
        .address_space:  global
        .offset:         32
        .size:           8
        .value_kind:     global_buffer
      - .actual_access:  read_only
        .address_space:  global
        .offset:         40
        .size:           8
        .value_kind:     global_buffer
      - .actual_access:  read_only
        .address_space:  global
        .offset:         48
        .size:           8
        .value_kind:     global_buffer
      - .offset:         56
        .size:           4
        .value_kind:     by_value
      - .actual_access:  write_only
        .address_space:  global
        .offset:         64
        .size:           8
        .value_kind:     global_buffer
      - .actual_access:  read_only
        .address_space:  global
        .offset:         72
        .size:           8
        .value_kind:     global_buffer
      - .actual_access:  write_only
        .address_space:  global
        .offset:         80
        .size:           8
        .value_kind:     global_buffer
    .group_segment_fixed_size: 4104
    .kernarg_segment_align: 8
    .kernarg_segment_size: 88
    .language:       OpenCL C
    .language_version:
      - 2
      - 0
    .max_flat_workgroup_size: 256
    .name:           _ZN9rocsparseL42csr2bsr_wavefront_per_row_multipass_kernelILj256ELj64ELj8E21rocsparse_complex_numIdEliEEv20rocsparse_direction_T4_S4_S4_S4_S4_21rocsparse_index_base_PKT2_PKT3_PKS4_S5_PS6_PS9_PS4_
    .private_segment_fixed_size: 0
    .sgpr_count:     24
    .sgpr_spill_count: 0
    .symbol:         _ZN9rocsparseL42csr2bsr_wavefront_per_row_multipass_kernelILj256ELj64ELj8E21rocsparse_complex_numIdEliEEv20rocsparse_direction_T4_S4_S4_S4_S4_21rocsparse_index_base_PKT2_PKT3_PKS4_S5_PS6_PS9_PS4_.kd
    .uniform_work_group_size: 1
    .uses_dynamic_stack: false
    .vgpr_count:     46
    .vgpr_spill_count: 0
    .wavefront_size: 32
  - .args:
      - .offset:         0
        .size:           4
        .value_kind:     by_value
      - .offset:         4
        .size:           4
        .value_kind:     by_value
      - .offset:         8
        .size:           4
        .value_kind:     by_value
      - .offset:         12
        .size:           4
        .value_kind:     by_value
      - .offset:         16
        .size:           4
        .value_kind:     by_value
      - .offset:         20
        .size:           4
        .value_kind:     by_value
      - .offset:         24
        .size:           4
        .value_kind:     by_value
      - .actual_access:  read_only
        .address_space:  global
        .offset:         32
        .size:           8
        .value_kind:     global_buffer
      - .actual_access:  read_only
        .address_space:  global
        .offset:         40
        .size:           8
        .value_kind:     global_buffer
      - .actual_access:  read_only
        .address_space:  global
        .offset:         48
        .size:           8
        .value_kind:     global_buffer
      - .offset:         56
        .size:           4
        .value_kind:     by_value
      - .actual_access:  write_only
        .address_space:  global
        .offset:         64
        .size:           8
        .value_kind:     global_buffer
      - .actual_access:  read_only
        .address_space:  global
        .offset:         72
        .size:           8
        .value_kind:     global_buffer
      - .actual_access:  write_only
        .address_space:  global
        .offset:         80
        .size:           8
        .value_kind:     global_buffer
    .group_segment_fixed_size: 8200
    .kernarg_segment_align: 8
    .kernarg_segment_size: 88
    .language:       OpenCL C
    .language_version:
      - 2
      - 0
    .max_flat_workgroup_size: 256
    .name:           _ZN9rocsparseL42csr2bsr_wavefront_per_row_multipass_kernelILj256ELj32ELj8E21rocsparse_complex_numIdEliEEv20rocsparse_direction_T4_S4_S4_S4_S4_21rocsparse_index_base_PKT2_PKT3_PKS4_S5_PS6_PS9_PS4_
    .private_segment_fixed_size: 0
    .sgpr_count:     27
    .sgpr_spill_count: 0
    .symbol:         _ZN9rocsparseL42csr2bsr_wavefront_per_row_multipass_kernelILj256ELj32ELj8E21rocsparse_complex_numIdEliEEv20rocsparse_direction_T4_S4_S4_S4_S4_21rocsparse_index_base_PKT2_PKT3_PKS4_S5_PS6_PS9_PS4_.kd
    .uniform_work_group_size: 1
    .uses_dynamic_stack: false
    .vgpr_count:     54
    .vgpr_spill_count: 0
    .wavefront_size: 32
  - .args:
      - .offset:         0
        .size:           4
        .value_kind:     by_value
      - .offset:         4
        .size:           4
        .value_kind:     by_value
      - .offset:         8
        .size:           4
        .value_kind:     by_value
      - .offset:         12
        .size:           4
        .value_kind:     by_value
      - .offset:         16
        .size:           4
        .value_kind:     by_value
      - .offset:         20
        .size:           4
        .value_kind:     by_value
      - .offset:         24
        .size:           4
        .value_kind:     by_value
      - .actual_access:  read_only
        .address_space:  global
        .offset:         32
        .size:           8
        .value_kind:     global_buffer
      - .actual_access:  read_only
        .address_space:  global
        .offset:         40
        .size:           8
        .value_kind:     global_buffer
      - .actual_access:  read_only
        .address_space:  global
        .offset:         48
        .size:           8
        .value_kind:     global_buffer
      - .offset:         56
        .size:           4
        .value_kind:     by_value
      - .actual_access:  write_only
        .address_space:  global
        .offset:         64
        .size:           8
        .value_kind:     global_buffer
      - .actual_access:  read_only
        .address_space:  global
        .offset:         72
        .size:           8
        .value_kind:     global_buffer
      - .actual_access:  write_only
        .address_space:  global
        .offset:         80
        .size:           8
        .value_kind:     global_buffer
    .group_segment_fixed_size: 16392
    .kernarg_segment_align: 8
    .kernarg_segment_size: 88
    .language:       OpenCL C
    .language_version:
      - 2
      - 0
    .max_flat_workgroup_size: 256
    .name:           _ZN9rocsparseL42csr2bsr_wavefront_per_row_multipass_kernelILj256ELj64ELj16E21rocsparse_complex_numIdEliEEv20rocsparse_direction_T4_S4_S4_S4_S4_21rocsparse_index_base_PKT2_PKT3_PKS4_S5_PS6_PS9_PS4_
    .private_segment_fixed_size: 0
    .sgpr_count:     30
    .sgpr_spill_count: 0
    .symbol:         _ZN9rocsparseL42csr2bsr_wavefront_per_row_multipass_kernelILj256ELj64ELj16E21rocsparse_complex_numIdEliEEv20rocsparse_direction_T4_S4_S4_S4_S4_21rocsparse_index_base_PKT2_PKT3_PKS4_S5_PS6_PS9_PS4_.kd
    .uniform_work_group_size: 1
    .uses_dynamic_stack: false
    .vgpr_count:     60
    .vgpr_spill_count: 0
    .wavefront_size: 32
  - .args:
      - .offset:         0
        .size:           4
        .value_kind:     by_value
      - .offset:         4
        .size:           4
        .value_kind:     by_value
      - .offset:         8
        .size:           4
        .value_kind:     by_value
      - .offset:         12
        .size:           4
        .value_kind:     by_value
      - .offset:         16
        .size:           4
        .value_kind:     by_value
      - .offset:         20
        .size:           4
        .value_kind:     by_value
      - .offset:         24
        .size:           4
        .value_kind:     by_value
      - .actual_access:  read_only
        .address_space:  global
        .offset:         32
        .size:           8
        .value_kind:     global_buffer
      - .actual_access:  read_only
        .address_space:  global
        .offset:         40
        .size:           8
        .value_kind:     global_buffer
      - .actual_access:  read_only
        .address_space:  global
        .offset:         48
        .size:           8
        .value_kind:     global_buffer
      - .offset:         56
        .size:           4
        .value_kind:     by_value
      - .actual_access:  write_only
        .address_space:  global
        .offset:         64
        .size:           8
        .value_kind:     global_buffer
      - .actual_access:  read_only
        .address_space:  global
        .offset:         72
        .size:           8
        .value_kind:     global_buffer
      - .actual_access:  write_only
        .address_space:  global
        .offset:         80
        .size:           8
        .value_kind:     global_buffer
    .group_segment_fixed_size: 32776
    .kernarg_segment_align: 8
    .kernarg_segment_size: 88
    .language:       OpenCL C
    .language_version:
      - 2
      - 0
    .max_flat_workgroup_size: 256
    .name:           _ZN9rocsparseL42csr2bsr_wavefront_per_row_multipass_kernelILj256ELj32ELj16E21rocsparse_complex_numIdEliEEv20rocsparse_direction_T4_S4_S4_S4_S4_21rocsparse_index_base_PKT2_PKT3_PKS4_S5_PS6_PS9_PS4_
    .private_segment_fixed_size: 0
    .sgpr_count:     34
    .sgpr_spill_count: 0
    .symbol:         _ZN9rocsparseL42csr2bsr_wavefront_per_row_multipass_kernelILj256ELj32ELj16E21rocsparse_complex_numIdEliEEv20rocsparse_direction_T4_S4_S4_S4_S4_21rocsparse_index_base_PKT2_PKT3_PKS4_S5_PS6_PS9_PS4_.kd
    .uniform_work_group_size: 1
    .uses_dynamic_stack: false
    .vgpr_count:     72
    .vgpr_spill_count: 0
    .wavefront_size: 32
  - .args:
      - .offset:         0
        .size:           4
        .value_kind:     by_value
      - .offset:         4
        .size:           4
        .value_kind:     by_value
      - .offset:         8
        .size:           4
        .value_kind:     by_value
      - .offset:         12
        .size:           4
        .value_kind:     by_value
      - .offset:         16
        .size:           4
        .value_kind:     by_value
      - .offset:         20
        .size:           4
        .value_kind:     by_value
      - .offset:         24
        .size:           4
        .value_kind:     by_value
      - .actual_access:  read_only
        .address_space:  global
        .offset:         32
        .size:           8
        .value_kind:     global_buffer
      - .actual_access:  read_only
        .address_space:  global
        .offset:         40
        .size:           8
        .value_kind:     global_buffer
      - .actual_access:  read_only
        .address_space:  global
        .offset:         48
        .size:           8
        .value_kind:     global_buffer
      - .offset:         56
        .size:           4
        .value_kind:     by_value
      - .actual_access:  write_only
        .address_space:  global
        .offset:         64
        .size:           8
        .value_kind:     global_buffer
      - .actual_access:  read_only
        .address_space:  global
        .offset:         72
        .size:           8
        .value_kind:     global_buffer
      - .actual_access:  write_only
        .address_space:  global
        .offset:         80
        .size:           8
        .value_kind:     global_buffer
    .group_segment_fixed_size: 16392
    .kernarg_segment_align: 8
    .kernarg_segment_size: 88
    .language:       OpenCL C
    .language_version:
      - 2
      - 0
    .max_flat_workgroup_size: 256
    .name:           _ZN9rocsparseL38csr2bsr_block_per_row_multipass_kernelILj256ELj32E21rocsparse_complex_numIdEliEEv20rocsparse_direction_T3_S4_S4_S4_S4_21rocsparse_index_base_PKT1_PKT2_PKS4_S5_PS6_PS9_PS4_
    .private_segment_fixed_size: 0
    .sgpr_count:     42
    .sgpr_spill_count: 0
    .symbol:         _ZN9rocsparseL38csr2bsr_block_per_row_multipass_kernelILj256ELj32E21rocsparse_complex_numIdEliEEv20rocsparse_direction_T3_S4_S4_S4_S4_21rocsparse_index_base_PKT1_PKT2_PKS4_S5_PS6_PS9_PS4_.kd
    .uniform_work_group_size: 1
    .uses_dynamic_stack: false
    .vgpr_count:     54
    .vgpr_spill_count: 0
    .wavefront_size: 32
  - .args:
      - .offset:         0
        .size:           4
        .value_kind:     by_value
      - .offset:         4
        .size:           4
        .value_kind:     by_value
      - .offset:         8
        .size:           4
        .value_kind:     by_value
      - .offset:         12
        .size:           4
        .value_kind:     by_value
      - .offset:         16
        .size:           4
        .value_kind:     by_value
      - .offset:         20
        .size:           4
        .value_kind:     by_value
      - .offset:         24
        .size:           4
        .value_kind:     by_value
      - .offset:         28
        .size:           4
        .value_kind:     by_value
      - .actual_access:  read_only
        .address_space:  global
        .offset:         32
        .size:           8
        .value_kind:     global_buffer
      - .actual_access:  read_only
        .address_space:  global
        .offset:         40
        .size:           8
        .value_kind:     global_buffer
      - .actual_access:  read_only
        .address_space:  global
        .offset:         48
        .size:           8
        .value_kind:     global_buffer
      - .offset:         56
        .size:           4
        .value_kind:     by_value
      - .actual_access:  write_only
        .address_space:  global
        .offset:         64
        .size:           8
        .value_kind:     global_buffer
      - .actual_access:  read_only
        .address_space:  global
        .offset:         72
        .size:           8
        .value_kind:     global_buffer
      - .actual_access:  write_only
        .address_space:  global
        .offset:         80
        .size:           8
        .value_kind:     global_buffer
      - .address_space:  global
        .offset:         88
        .size:           8
        .value_kind:     global_buffer
      - .address_space:  global
        .offset:         96
        .size:           8
        .value_kind:     global_buffer
      - .address_space:  global
        .offset:         104
        .size:           8
        .value_kind:     global_buffer
    .group_segment_fixed_size: 0
    .kernarg_segment_align: 8
    .kernarg_segment_size: 112
    .language:       OpenCL C
    .language_version:
      - 2
      - 0
    .max_flat_workgroup_size: 32
    .name:           _ZN9rocsparseL21csr2bsr_65_inf_kernelILj32E21rocsparse_complex_numIdEliEEv20rocsparse_direction_T2_S4_S4_S4_S4_S4_21rocsparse_index_base_PKT0_PKT1_PKS4_S5_PS6_PS9_PS4_SF_SG_SE_
    .private_segment_fixed_size: 0
    .sgpr_count:     38
    .sgpr_spill_count: 0
    .symbol:         _ZN9rocsparseL21csr2bsr_65_inf_kernelILj32E21rocsparse_complex_numIdEliEEv20rocsparse_direction_T2_S4_S4_S4_S4_S4_21rocsparse_index_base_PKT0_PKT1_PKS4_S5_PS6_PS9_PS4_SF_SG_SE_.kd
    .uniform_work_group_size: 1
    .uses_dynamic_stack: false
    .vgpr_count:     42
    .vgpr_spill_count: 0
    .wavefront_size: 32
  - .args:
      - .offset:         0
        .size:           8
        .value_kind:     by_value
      - .offset:         8
        .size:           8
        .value_kind:     by_value
      - .offset:         16
        .size:           8
        .value_kind:     by_value
      - .offset:         24
        .size:           8
        .value_kind:     by_value
      - .offset:         32
        .size:           4
        .value_kind:     by_value
      - .address_space:  global
        .offset:         40
        .size:           8
        .value_kind:     global_buffer
      - .address_space:  global
        .offset:         48
        .size:           8
        .value_kind:     global_buffer
      - .address_space:  global
        .offset:         56
        .size:           8
        .value_kind:     global_buffer
      - .offset:         64
        .size:           4
        .value_kind:     by_value
      - .address_space:  global
        .offset:         72
        .size:           8
        .value_kind:     global_buffer
      - .address_space:  global
        .offset:         80
        .size:           8
        .value_kind:     global_buffer
      - .address_space:  global
        .offset:         88
        .size:           8
        .value_kind:     global_buffer
      - .offset:         96
        .size:           4
        .value_kind:     hidden_block_count_x
      - .offset:         100
        .size:           4
        .value_kind:     hidden_block_count_y
      - .offset:         104
        .size:           4
        .value_kind:     hidden_block_count_z
      - .offset:         108
        .size:           2
        .value_kind:     hidden_group_size_x
      - .offset:         110
        .size:           2
        .value_kind:     hidden_group_size_y
      - .offset:         112
        .size:           2
        .value_kind:     hidden_group_size_z
      - .offset:         114
        .size:           2
        .value_kind:     hidden_remainder_x
      - .offset:         116
        .size:           2
        .value_kind:     hidden_remainder_y
      - .offset:         118
        .size:           2
        .value_kind:     hidden_remainder_z
      - .offset:         136
        .size:           8
        .value_kind:     hidden_global_offset_x
      - .offset:         144
        .size:           8
        .value_kind:     hidden_global_offset_y
      - .offset:         152
        .size:           8
        .value_kind:     hidden_global_offset_z
      - .offset:         160
        .size:           2
        .value_kind:     hidden_grid_dims
    .group_segment_fixed_size: 0
    .kernarg_segment_align: 8
    .kernarg_segment_size: 352
    .language:       OpenCL C
    .language_version:
      - 2
      - 0
    .max_flat_workgroup_size: 256
    .name:           _ZN9rocsparseL35csr2bsr_block_dim_equals_one_kernelILj256E21rocsparse_complex_numIdEilEEvT2_S3_S3_S3_21rocsparse_index_base_PKT0_PKT1_PKS3_S4_PS5_PS8_PS3_
    .private_segment_fixed_size: 0
    .sgpr_count:     17
    .sgpr_spill_count: 0
    .symbol:         _ZN9rocsparseL35csr2bsr_block_dim_equals_one_kernelILj256E21rocsparse_complex_numIdEilEEvT2_S3_S3_S3_21rocsparse_index_base_PKT0_PKT1_PKS3_S4_PS5_PS8_PS3_.kd
    .uniform_work_group_size: 1
    .uses_dynamic_stack: false
    .vgpr_count:     6
    .vgpr_spill_count: 0
    .wavefront_size: 32
  - .args:
      - .offset:         0
        .size:           4
        .value_kind:     by_value
      - .offset:         8
        .size:           8
        .value_kind:     by_value
      - .offset:         16
        .size:           8
        .value_kind:     by_value
      - .offset:         24
        .size:           8
        .value_kind:     by_value
      - .offset:         32
        .size:           8
        .value_kind:     by_value
      - .offset:         40
        .size:           8
        .value_kind:     by_value
      - .offset:         48
        .size:           4
        .value_kind:     by_value
      - .actual_access:  read_only
        .address_space:  global
        .offset:         56
        .size:           8
        .value_kind:     global_buffer
      - .actual_access:  read_only
        .address_space:  global
        .offset:         64
        .size:           8
        .value_kind:     global_buffer
      - .actual_access:  read_only
        .address_space:  global
        .offset:         72
        .size:           8
        .value_kind:     global_buffer
      - .offset:         80
        .size:           4
        .value_kind:     by_value
      - .actual_access:  write_only
        .address_space:  global
        .offset:         88
        .size:           8
        .value_kind:     global_buffer
      - .actual_access:  read_only
        .address_space:  global
        .offset:         96
        .size:           8
        .value_kind:     global_buffer
      - .actual_access:  write_only
        .address_space:  global
        .offset:         104
        .size:           8
        .value_kind:     global_buffer
    .group_segment_fixed_size: 4112
    .kernarg_segment_align: 8
    .kernarg_segment_size: 112
    .language:       OpenCL C
    .language_version:
      - 2
      - 0
    .max_flat_workgroup_size: 256
    .name:           _ZN9rocsparseL42csr2bsr_wavefront_per_row_multipass_kernelILj256ELj16ELj4E21rocsparse_complex_numIdEilEEv20rocsparse_direction_T4_S4_S4_S4_S4_21rocsparse_index_base_PKT2_PKT3_PKS4_S5_PS6_PS9_PS4_
    .private_segment_fixed_size: 0
    .sgpr_count:     42
    .sgpr_spill_count: 0
    .symbol:         _ZN9rocsparseL42csr2bsr_wavefront_per_row_multipass_kernelILj256ELj16ELj4E21rocsparse_complex_numIdEilEEv20rocsparse_direction_T4_S4_S4_S4_S4_21rocsparse_index_base_PKT2_PKT3_PKS4_S5_PS6_PS9_PS4_.kd
    .uniform_work_group_size: 1
    .uses_dynamic_stack: false
    .vgpr_count:     46
    .vgpr_spill_count: 0
    .wavefront_size: 32
  - .args:
      - .offset:         0
        .size:           4
        .value_kind:     by_value
      - .offset:         8
        .size:           8
        .value_kind:     by_value
      - .offset:         16
        .size:           8
        .value_kind:     by_value
      - .offset:         24
        .size:           8
        .value_kind:     by_value
      - .offset:         32
        .size:           8
        .value_kind:     by_value
      - .offset:         40
        .size:           8
        .value_kind:     by_value
      - .offset:         48
        .size:           4
        .value_kind:     by_value
      - .actual_access:  read_only
        .address_space:  global
        .offset:         56
        .size:           8
        .value_kind:     global_buffer
      - .actual_access:  read_only
        .address_space:  global
        .offset:         64
        .size:           8
        .value_kind:     global_buffer
      - .actual_access:  read_only
        .address_space:  global
        .offset:         72
        .size:           8
        .value_kind:     global_buffer
      - .offset:         80
        .size:           4
        .value_kind:     by_value
      - .actual_access:  write_only
        .address_space:  global
        .offset:         88
        .size:           8
        .value_kind:     global_buffer
      - .actual_access:  read_only
        .address_space:  global
        .offset:         96
        .size:           8
        .value_kind:     global_buffer
      - .actual_access:  write_only
        .address_space:  global
        .offset:         104
        .size:           8
        .value_kind:     global_buffer
    .group_segment_fixed_size: 4104
    .kernarg_segment_align: 8
    .kernarg_segment_size: 112
    .language:       OpenCL C
    .language_version:
      - 2
      - 0
    .max_flat_workgroup_size: 256
    .name:           _ZN9rocsparseL42csr2bsr_wavefront_per_row_multipass_kernelILj256ELj64ELj8E21rocsparse_complex_numIdEilEEv20rocsparse_direction_T4_S4_S4_S4_S4_21rocsparse_index_base_PKT2_PKT3_PKS4_S5_PS6_PS9_PS4_
    .private_segment_fixed_size: 0
    .sgpr_count:     42
    .sgpr_spill_count: 0
    .symbol:         _ZN9rocsparseL42csr2bsr_wavefront_per_row_multipass_kernelILj256ELj64ELj8E21rocsparse_complex_numIdEilEEv20rocsparse_direction_T4_S4_S4_S4_S4_21rocsparse_index_base_PKT2_PKT3_PKS4_S5_PS6_PS9_PS4_.kd
    .uniform_work_group_size: 1
    .uses_dynamic_stack: false
    .vgpr_count:     48
    .vgpr_spill_count: 0
    .wavefront_size: 32
  - .args:
      - .offset:         0
        .size:           4
        .value_kind:     by_value
      - .offset:         8
        .size:           8
        .value_kind:     by_value
      - .offset:         16
        .size:           8
        .value_kind:     by_value
      - .offset:         24
        .size:           8
        .value_kind:     by_value
      - .offset:         32
        .size:           8
        .value_kind:     by_value
      - .offset:         40
        .size:           8
        .value_kind:     by_value
      - .offset:         48
        .size:           4
        .value_kind:     by_value
      - .actual_access:  read_only
        .address_space:  global
        .offset:         56
        .size:           8
        .value_kind:     global_buffer
      - .actual_access:  read_only
        .address_space:  global
        .offset:         64
        .size:           8
        .value_kind:     global_buffer
      - .actual_access:  read_only
        .address_space:  global
        .offset:         72
        .size:           8
        .value_kind:     global_buffer
      - .offset:         80
        .size:           4
        .value_kind:     by_value
      - .actual_access:  write_only
        .address_space:  global
        .offset:         88
        .size:           8
        .value_kind:     global_buffer
      - .actual_access:  read_only
        .address_space:  global
        .offset:         96
        .size:           8
        .value_kind:     global_buffer
      - .actual_access:  write_only
        .address_space:  global
        .offset:         104
        .size:           8
        .value_kind:     global_buffer
    .group_segment_fixed_size: 8200
    .kernarg_segment_align: 8
    .kernarg_segment_size: 112
    .language:       OpenCL C
    .language_version:
      - 2
      - 0
    .max_flat_workgroup_size: 256
    .name:           _ZN9rocsparseL42csr2bsr_wavefront_per_row_multipass_kernelILj256ELj32ELj8E21rocsparse_complex_numIdEilEEv20rocsparse_direction_T4_S4_S4_S4_S4_21rocsparse_index_base_PKT2_PKT3_PKS4_S5_PS6_PS9_PS4_
    .private_segment_fixed_size: 0
    .sgpr_count:     44
    .sgpr_spill_count: 0
    .symbol:         _ZN9rocsparseL42csr2bsr_wavefront_per_row_multipass_kernelILj256ELj32ELj8E21rocsparse_complex_numIdEilEEv20rocsparse_direction_T4_S4_S4_S4_S4_21rocsparse_index_base_PKT2_PKT3_PKS4_S5_PS6_PS9_PS4_.kd
    .uniform_work_group_size: 1
    .uses_dynamic_stack: false
    .vgpr_count:     56
    .vgpr_spill_count: 0
    .wavefront_size: 32
  - .args:
      - .offset:         0
        .size:           4
        .value_kind:     by_value
      - .offset:         8
        .size:           8
        .value_kind:     by_value
      - .offset:         16
        .size:           8
        .value_kind:     by_value
      - .offset:         24
        .size:           8
        .value_kind:     by_value
      - .offset:         32
        .size:           8
        .value_kind:     by_value
      - .offset:         40
        .size:           8
        .value_kind:     by_value
      - .offset:         48
        .size:           4
        .value_kind:     by_value
      - .actual_access:  read_only
        .address_space:  global
        .offset:         56
        .size:           8
        .value_kind:     global_buffer
      - .actual_access:  read_only
        .address_space:  global
        .offset:         64
        .size:           8
        .value_kind:     global_buffer
      - .actual_access:  read_only
        .address_space:  global
        .offset:         72
        .size:           8
        .value_kind:     global_buffer
      - .offset:         80
        .size:           4
        .value_kind:     by_value
      - .actual_access:  write_only
        .address_space:  global
        .offset:         88
        .size:           8
        .value_kind:     global_buffer
      - .actual_access:  read_only
        .address_space:  global
        .offset:         96
        .size:           8
        .value_kind:     global_buffer
      - .actual_access:  write_only
        .address_space:  global
        .offset:         104
        .size:           8
        .value_kind:     global_buffer
    .group_segment_fixed_size: 16392
    .kernarg_segment_align: 8
    .kernarg_segment_size: 112
    .language:       OpenCL C
    .language_version:
      - 2
      - 0
    .max_flat_workgroup_size: 256
    .name:           _ZN9rocsparseL42csr2bsr_wavefront_per_row_multipass_kernelILj256ELj64ELj16E21rocsparse_complex_numIdEilEEv20rocsparse_direction_T4_S4_S4_S4_S4_21rocsparse_index_base_PKT2_PKT3_PKS4_S5_PS6_PS9_PS4_
    .private_segment_fixed_size: 0
    .sgpr_count:     46
    .sgpr_spill_count: 0
    .symbol:         _ZN9rocsparseL42csr2bsr_wavefront_per_row_multipass_kernelILj256ELj64ELj16E21rocsparse_complex_numIdEilEEv20rocsparse_direction_T4_S4_S4_S4_S4_21rocsparse_index_base_PKT2_PKT3_PKS4_S5_PS6_PS9_PS4_.kd
    .uniform_work_group_size: 1
    .uses_dynamic_stack: false
    .vgpr_count:     64
    .vgpr_spill_count: 0
    .wavefront_size: 32
  - .args:
      - .offset:         0
        .size:           4
        .value_kind:     by_value
      - .offset:         8
        .size:           8
        .value_kind:     by_value
      - .offset:         16
        .size:           8
        .value_kind:     by_value
      - .offset:         24
        .size:           8
        .value_kind:     by_value
      - .offset:         32
        .size:           8
        .value_kind:     by_value
      - .offset:         40
        .size:           8
        .value_kind:     by_value
      - .offset:         48
        .size:           4
        .value_kind:     by_value
      - .actual_access:  read_only
        .address_space:  global
        .offset:         56
        .size:           8
        .value_kind:     global_buffer
      - .actual_access:  read_only
        .address_space:  global
        .offset:         64
        .size:           8
        .value_kind:     global_buffer
      - .actual_access:  read_only
        .address_space:  global
        .offset:         72
        .size:           8
        .value_kind:     global_buffer
      - .offset:         80
        .size:           4
        .value_kind:     by_value
      - .actual_access:  write_only
        .address_space:  global
        .offset:         88
        .size:           8
        .value_kind:     global_buffer
      - .actual_access:  read_only
        .address_space:  global
        .offset:         96
        .size:           8
        .value_kind:     global_buffer
      - .actual_access:  write_only
        .address_space:  global
        .offset:         104
        .size:           8
        .value_kind:     global_buffer
    .group_segment_fixed_size: 32776
    .kernarg_segment_align: 8
    .kernarg_segment_size: 112
    .language:       OpenCL C
    .language_version:
      - 2
      - 0
    .max_flat_workgroup_size: 256
    .name:           _ZN9rocsparseL42csr2bsr_wavefront_per_row_multipass_kernelILj256ELj32ELj16E21rocsparse_complex_numIdEilEEv20rocsparse_direction_T4_S4_S4_S4_S4_21rocsparse_index_base_PKT2_PKT3_PKS4_S5_PS6_PS9_PS4_
    .private_segment_fixed_size: 0
    .sgpr_count:     50
    .sgpr_spill_count: 0
    .symbol:         _ZN9rocsparseL42csr2bsr_wavefront_per_row_multipass_kernelILj256ELj32ELj16E21rocsparse_complex_numIdEilEEv20rocsparse_direction_T4_S4_S4_S4_S4_21rocsparse_index_base_PKT2_PKT3_PKS4_S5_PS6_PS9_PS4_.kd
    .uniform_work_group_size: 1
    .uses_dynamic_stack: false
    .vgpr_count:     76
    .vgpr_spill_count: 0
    .wavefront_size: 32
  - .args:
      - .offset:         0
        .size:           4
        .value_kind:     by_value
      - .offset:         8
        .size:           8
        .value_kind:     by_value
      - .offset:         16
        .size:           8
        .value_kind:     by_value
      - .offset:         24
        .size:           8
        .value_kind:     by_value
      - .offset:         32
        .size:           8
        .value_kind:     by_value
      - .offset:         40
        .size:           8
        .value_kind:     by_value
      - .offset:         48
        .size:           4
        .value_kind:     by_value
      - .actual_access:  read_only
        .address_space:  global
        .offset:         56
        .size:           8
        .value_kind:     global_buffer
      - .actual_access:  read_only
        .address_space:  global
        .offset:         64
        .size:           8
        .value_kind:     global_buffer
      - .actual_access:  read_only
        .address_space:  global
        .offset:         72
        .size:           8
        .value_kind:     global_buffer
      - .offset:         80
        .size:           4
        .value_kind:     by_value
      - .actual_access:  write_only
        .address_space:  global
        .offset:         88
        .size:           8
        .value_kind:     global_buffer
      - .actual_access:  read_only
        .address_space:  global
        .offset:         96
        .size:           8
        .value_kind:     global_buffer
      - .actual_access:  write_only
        .address_space:  global
        .offset:         104
        .size:           8
        .value_kind:     global_buffer
    .group_segment_fixed_size: 16392
    .kernarg_segment_align: 8
    .kernarg_segment_size: 112
    .language:       OpenCL C
    .language_version:
      - 2
      - 0
    .max_flat_workgroup_size: 256
    .name:           _ZN9rocsparseL38csr2bsr_block_per_row_multipass_kernelILj256ELj32E21rocsparse_complex_numIdEilEEv20rocsparse_direction_T3_S4_S4_S4_S4_21rocsparse_index_base_PKT1_PKT2_PKS4_S5_PS6_PS9_PS4_
    .private_segment_fixed_size: 0
    .sgpr_count:     53
    .sgpr_spill_count: 0
    .symbol:         _ZN9rocsparseL38csr2bsr_block_per_row_multipass_kernelILj256ELj32E21rocsparse_complex_numIdEilEEv20rocsparse_direction_T3_S4_S4_S4_S4_21rocsparse_index_base_PKT1_PKT2_PKS4_S5_PS6_PS9_PS4_.kd
    .uniform_work_group_size: 1
    .uses_dynamic_stack: false
    .vgpr_count:     58
    .vgpr_spill_count: 0
    .wavefront_size: 32
  - .args:
      - .offset:         0
        .size:           4
        .value_kind:     by_value
      - .offset:         8
        .size:           8
        .value_kind:     by_value
      - .offset:         16
        .size:           8
        .value_kind:     by_value
      - .offset:         24
        .size:           8
        .value_kind:     by_value
      - .offset:         32
        .size:           8
        .value_kind:     by_value
      - .offset:         40
        .size:           8
        .value_kind:     by_value
      - .offset:         48
        .size:           8
        .value_kind:     by_value
      - .offset:         56
        .size:           4
        .value_kind:     by_value
      - .actual_access:  read_only
        .address_space:  global
        .offset:         64
        .size:           8
        .value_kind:     global_buffer
      - .actual_access:  read_only
        .address_space:  global
        .offset:         72
        .size:           8
        .value_kind:     global_buffer
      - .actual_access:  read_only
        .address_space:  global
        .offset:         80
        .size:           8
        .value_kind:     global_buffer
      - .offset:         88
        .size:           4
        .value_kind:     by_value
      - .actual_access:  write_only
        .address_space:  global
        .offset:         96
        .size:           8
        .value_kind:     global_buffer
      - .actual_access:  read_only
        .address_space:  global
        .offset:         104
        .size:           8
        .value_kind:     global_buffer
      - .actual_access:  write_only
        .address_space:  global
        .offset:         112
        .size:           8
        .value_kind:     global_buffer
      - .address_space:  global
        .offset:         120
        .size:           8
        .value_kind:     global_buffer
      - .address_space:  global
        .offset:         128
        .size:           8
        .value_kind:     global_buffer
      - .address_space:  global
        .offset:         136
        .size:           8
        .value_kind:     global_buffer
    .group_segment_fixed_size: 0
    .kernarg_segment_align: 8
    .kernarg_segment_size: 144
    .language:       OpenCL C
    .language_version:
      - 2
      - 0
    .max_flat_workgroup_size: 32
    .name:           _ZN9rocsparseL21csr2bsr_65_inf_kernelILj32E21rocsparse_complex_numIdEilEEv20rocsparse_direction_T2_S4_S4_S4_S4_S4_21rocsparse_index_base_PKT0_PKT1_PKS4_S5_PS6_PS9_PS4_SF_SG_SE_
    .private_segment_fixed_size: 0
    .sgpr_count:     54
    .sgpr_spill_count: 0
    .symbol:         _ZN9rocsparseL21csr2bsr_65_inf_kernelILj32E21rocsparse_complex_numIdEilEEv20rocsparse_direction_T2_S4_S4_S4_S4_S4_21rocsparse_index_base_PKT0_PKT1_PKS4_S5_PS6_PS9_PS4_SF_SG_SE_.kd
    .uniform_work_group_size: 1
    .uses_dynamic_stack: false
    .vgpr_count:     56
    .vgpr_spill_count: 0
    .wavefront_size: 32
  - .args:
      - .offset:         0
        .size:           8
        .value_kind:     by_value
      - .offset:         8
        .size:           8
        .value_kind:     by_value
      - .offset:         16
        .size:           8
        .value_kind:     by_value
      - .offset:         24
        .size:           8
        .value_kind:     by_value
      - .offset:         32
        .size:           4
        .value_kind:     by_value
      - .address_space:  global
        .offset:         40
        .size:           8
        .value_kind:     global_buffer
      - .address_space:  global
        .offset:         48
        .size:           8
        .value_kind:     global_buffer
      - .address_space:  global
        .offset:         56
        .size:           8
        .value_kind:     global_buffer
      - .offset:         64
        .size:           4
        .value_kind:     by_value
      - .address_space:  global
        .offset:         72
        .size:           8
        .value_kind:     global_buffer
      - .address_space:  global
        .offset:         80
        .size:           8
        .value_kind:     global_buffer
      - .address_space:  global
        .offset:         88
        .size:           8
        .value_kind:     global_buffer
      - .offset:         96
        .size:           4
        .value_kind:     hidden_block_count_x
      - .offset:         100
        .size:           4
        .value_kind:     hidden_block_count_y
      - .offset:         104
        .size:           4
        .value_kind:     hidden_block_count_z
      - .offset:         108
        .size:           2
        .value_kind:     hidden_group_size_x
      - .offset:         110
        .size:           2
        .value_kind:     hidden_group_size_y
      - .offset:         112
        .size:           2
        .value_kind:     hidden_group_size_z
      - .offset:         114
        .size:           2
        .value_kind:     hidden_remainder_x
      - .offset:         116
        .size:           2
        .value_kind:     hidden_remainder_y
      - .offset:         118
        .size:           2
        .value_kind:     hidden_remainder_z
      - .offset:         136
        .size:           8
        .value_kind:     hidden_global_offset_x
      - .offset:         144
        .size:           8
        .value_kind:     hidden_global_offset_y
      - .offset:         152
        .size:           8
        .value_kind:     hidden_global_offset_z
      - .offset:         160
        .size:           2
        .value_kind:     hidden_grid_dims
    .group_segment_fixed_size: 0
    .kernarg_segment_align: 8
    .kernarg_segment_size: 352
    .language:       OpenCL C
    .language_version:
      - 2
      - 0
    .max_flat_workgroup_size: 256
    .name:           _ZN9rocsparseL35csr2bsr_block_dim_equals_one_kernelILj256E21rocsparse_complex_numIdEllEEvT2_S3_S3_S3_21rocsparse_index_base_PKT0_PKT1_PKS3_S4_PS5_PS8_PS3_
    .private_segment_fixed_size: 0
    .sgpr_count:     21
    .sgpr_spill_count: 0
    .symbol:         _ZN9rocsparseL35csr2bsr_block_dim_equals_one_kernelILj256E21rocsparse_complex_numIdEllEEvT2_S3_S3_S3_21rocsparse_index_base_PKT0_PKT1_PKS3_S4_PS5_PS8_PS3_.kd
    .uniform_work_group_size: 1
    .uses_dynamic_stack: false
    .vgpr_count:     12
    .vgpr_spill_count: 0
    .wavefront_size: 32
  - .args:
      - .offset:         0
        .size:           4
        .value_kind:     by_value
      - .offset:         8
        .size:           8
        .value_kind:     by_value
      - .offset:         16
        .size:           8
        .value_kind:     by_value
      - .offset:         24
        .size:           8
        .value_kind:     by_value
      - .offset:         32
        .size:           8
        .value_kind:     by_value
      - .offset:         40
        .size:           8
        .value_kind:     by_value
      - .offset:         48
        .size:           4
        .value_kind:     by_value
      - .actual_access:  read_only
        .address_space:  global
        .offset:         56
        .size:           8
        .value_kind:     global_buffer
      - .actual_access:  read_only
        .address_space:  global
        .offset:         64
        .size:           8
        .value_kind:     global_buffer
      - .actual_access:  read_only
        .address_space:  global
        .offset:         72
        .size:           8
        .value_kind:     global_buffer
      - .offset:         80
        .size:           4
        .value_kind:     by_value
      - .actual_access:  write_only
        .address_space:  global
        .offset:         88
        .size:           8
        .value_kind:     global_buffer
      - .actual_access:  read_only
        .address_space:  global
        .offset:         96
        .size:           8
        .value_kind:     global_buffer
      - .actual_access:  write_only
        .address_space:  global
        .offset:         104
        .size:           8
        .value_kind:     global_buffer
    .group_segment_fixed_size: 4112
    .kernarg_segment_align: 8
    .kernarg_segment_size: 112
    .language:       OpenCL C
    .language_version:
      - 2
      - 0
    .max_flat_workgroup_size: 256
    .name:           _ZN9rocsparseL42csr2bsr_wavefront_per_row_multipass_kernelILj256ELj16ELj4E21rocsparse_complex_numIdEllEEv20rocsparse_direction_T4_S4_S4_S4_S4_21rocsparse_index_base_PKT2_PKT3_PKS4_S5_PS6_PS9_PS4_
    .private_segment_fixed_size: 0
    .sgpr_count:     43
    .sgpr_spill_count: 0
    .symbol:         _ZN9rocsparseL42csr2bsr_wavefront_per_row_multipass_kernelILj256ELj16ELj4E21rocsparse_complex_numIdEllEEv20rocsparse_direction_T4_S4_S4_S4_S4_21rocsparse_index_base_PKT2_PKT3_PKS4_S5_PS6_PS9_PS4_.kd
    .uniform_work_group_size: 1
    .uses_dynamic_stack: false
    .vgpr_count:     54
    .vgpr_spill_count: 0
    .wavefront_size: 32
  - .args:
      - .offset:         0
        .size:           4
        .value_kind:     by_value
      - .offset:         8
        .size:           8
        .value_kind:     by_value
      - .offset:         16
        .size:           8
        .value_kind:     by_value
      - .offset:         24
        .size:           8
        .value_kind:     by_value
      - .offset:         32
        .size:           8
        .value_kind:     by_value
      - .offset:         40
        .size:           8
        .value_kind:     by_value
      - .offset:         48
        .size:           4
        .value_kind:     by_value
      - .actual_access:  read_only
        .address_space:  global
        .offset:         56
        .size:           8
        .value_kind:     global_buffer
      - .actual_access:  read_only
        .address_space:  global
        .offset:         64
        .size:           8
        .value_kind:     global_buffer
      - .actual_access:  read_only
        .address_space:  global
        .offset:         72
        .size:           8
        .value_kind:     global_buffer
      - .offset:         80
        .size:           4
        .value_kind:     by_value
      - .actual_access:  write_only
        .address_space:  global
        .offset:         88
        .size:           8
        .value_kind:     global_buffer
      - .actual_access:  read_only
        .address_space:  global
        .offset:         96
        .size:           8
        .value_kind:     global_buffer
      - .actual_access:  write_only
        .address_space:  global
        .offset:         104
        .size:           8
        .value_kind:     global_buffer
    .group_segment_fixed_size: 4104
    .kernarg_segment_align: 8
    .kernarg_segment_size: 112
    .language:       OpenCL C
    .language_version:
      - 2
      - 0
    .max_flat_workgroup_size: 256
    .name:           _ZN9rocsparseL42csr2bsr_wavefront_per_row_multipass_kernelILj256ELj64ELj8E21rocsparse_complex_numIdEllEEv20rocsparse_direction_T4_S4_S4_S4_S4_21rocsparse_index_base_PKT2_PKT3_PKS4_S5_PS6_PS9_PS4_
    .private_segment_fixed_size: 0
    .sgpr_count:     43
    .sgpr_spill_count: 0
    .symbol:         _ZN9rocsparseL42csr2bsr_wavefront_per_row_multipass_kernelILj256ELj64ELj8E21rocsparse_complex_numIdEllEEv20rocsparse_direction_T4_S4_S4_S4_S4_21rocsparse_index_base_PKT2_PKT3_PKS4_S5_PS6_PS9_PS4_.kd
    .uniform_work_group_size: 1
    .uses_dynamic_stack: false
    .vgpr_count:     56
    .vgpr_spill_count: 0
    .wavefront_size: 32
  - .args:
      - .offset:         0
        .size:           4
        .value_kind:     by_value
      - .offset:         8
        .size:           8
        .value_kind:     by_value
      - .offset:         16
        .size:           8
        .value_kind:     by_value
      - .offset:         24
        .size:           8
        .value_kind:     by_value
      - .offset:         32
        .size:           8
        .value_kind:     by_value
      - .offset:         40
        .size:           8
        .value_kind:     by_value
      - .offset:         48
        .size:           4
        .value_kind:     by_value
      - .actual_access:  read_only
        .address_space:  global
        .offset:         56
        .size:           8
        .value_kind:     global_buffer
      - .actual_access:  read_only
        .address_space:  global
        .offset:         64
        .size:           8
        .value_kind:     global_buffer
      - .actual_access:  read_only
        .address_space:  global
        .offset:         72
        .size:           8
        .value_kind:     global_buffer
      - .offset:         80
        .size:           4
        .value_kind:     by_value
      - .actual_access:  write_only
        .address_space:  global
        .offset:         88
        .size:           8
        .value_kind:     global_buffer
      - .actual_access:  read_only
        .address_space:  global
        .offset:         96
        .size:           8
        .value_kind:     global_buffer
      - .actual_access:  write_only
        .address_space:  global
        .offset:         104
        .size:           8
        .value_kind:     global_buffer
    .group_segment_fixed_size: 8200
    .kernarg_segment_align: 8
    .kernarg_segment_size: 112
    .language:       OpenCL C
    .language_version:
      - 2
      - 0
    .max_flat_workgroup_size: 256
    .name:           _ZN9rocsparseL42csr2bsr_wavefront_per_row_multipass_kernelILj256ELj32ELj8E21rocsparse_complex_numIdEllEEv20rocsparse_direction_T4_S4_S4_S4_S4_21rocsparse_index_base_PKT2_PKT3_PKS4_S5_PS6_PS9_PS4_
    .private_segment_fixed_size: 0
    .sgpr_count:     45
    .sgpr_spill_count: 0
    .symbol:         _ZN9rocsparseL42csr2bsr_wavefront_per_row_multipass_kernelILj256ELj32ELj8E21rocsparse_complex_numIdEllEEv20rocsparse_direction_T4_S4_S4_S4_S4_21rocsparse_index_base_PKT2_PKT3_PKS4_S5_PS6_PS9_PS4_.kd
    .uniform_work_group_size: 1
    .uses_dynamic_stack: false
    .vgpr_count:     64
    .vgpr_spill_count: 0
    .wavefront_size: 32
  - .args:
      - .offset:         0
        .size:           4
        .value_kind:     by_value
      - .offset:         8
        .size:           8
        .value_kind:     by_value
      - .offset:         16
        .size:           8
        .value_kind:     by_value
      - .offset:         24
        .size:           8
        .value_kind:     by_value
      - .offset:         32
        .size:           8
        .value_kind:     by_value
      - .offset:         40
        .size:           8
        .value_kind:     by_value
      - .offset:         48
        .size:           4
        .value_kind:     by_value
      - .actual_access:  read_only
        .address_space:  global
        .offset:         56
        .size:           8
        .value_kind:     global_buffer
      - .actual_access:  read_only
        .address_space:  global
        .offset:         64
        .size:           8
        .value_kind:     global_buffer
      - .actual_access:  read_only
        .address_space:  global
        .offset:         72
        .size:           8
        .value_kind:     global_buffer
      - .offset:         80
        .size:           4
        .value_kind:     by_value
      - .actual_access:  write_only
        .address_space:  global
        .offset:         88
        .size:           8
        .value_kind:     global_buffer
      - .actual_access:  read_only
        .address_space:  global
        .offset:         96
        .size:           8
        .value_kind:     global_buffer
      - .actual_access:  write_only
        .address_space:  global
        .offset:         104
        .size:           8
        .value_kind:     global_buffer
    .group_segment_fixed_size: 16392
    .kernarg_segment_align: 8
    .kernarg_segment_size: 112
    .language:       OpenCL C
    .language_version:
      - 2
      - 0
    .max_flat_workgroup_size: 256
    .name:           _ZN9rocsparseL42csr2bsr_wavefront_per_row_multipass_kernelILj256ELj64ELj16E21rocsparse_complex_numIdEllEEv20rocsparse_direction_T4_S4_S4_S4_S4_21rocsparse_index_base_PKT2_PKT3_PKS4_S5_PS6_PS9_PS4_
    .private_segment_fixed_size: 0
    .sgpr_count:     47
    .sgpr_spill_count: 0
    .symbol:         _ZN9rocsparseL42csr2bsr_wavefront_per_row_multipass_kernelILj256ELj64ELj16E21rocsparse_complex_numIdEllEEv20rocsparse_direction_T4_S4_S4_S4_S4_21rocsparse_index_base_PKT2_PKT3_PKS4_S5_PS6_PS9_PS4_.kd
    .uniform_work_group_size: 1
    .uses_dynamic_stack: false
    .vgpr_count:     68
    .vgpr_spill_count: 0
    .wavefront_size: 32
  - .args:
      - .offset:         0
        .size:           4
        .value_kind:     by_value
      - .offset:         8
        .size:           8
        .value_kind:     by_value
      - .offset:         16
        .size:           8
        .value_kind:     by_value
      - .offset:         24
        .size:           8
        .value_kind:     by_value
      - .offset:         32
        .size:           8
        .value_kind:     by_value
      - .offset:         40
        .size:           8
        .value_kind:     by_value
      - .offset:         48
        .size:           4
        .value_kind:     by_value
      - .actual_access:  read_only
        .address_space:  global
        .offset:         56
        .size:           8
        .value_kind:     global_buffer
      - .actual_access:  read_only
        .address_space:  global
        .offset:         64
        .size:           8
        .value_kind:     global_buffer
      - .actual_access:  read_only
        .address_space:  global
        .offset:         72
        .size:           8
        .value_kind:     global_buffer
      - .offset:         80
        .size:           4
        .value_kind:     by_value
      - .actual_access:  write_only
        .address_space:  global
        .offset:         88
        .size:           8
        .value_kind:     global_buffer
      - .actual_access:  read_only
        .address_space:  global
        .offset:         96
        .size:           8
        .value_kind:     global_buffer
      - .actual_access:  write_only
        .address_space:  global
        .offset:         104
        .size:           8
        .value_kind:     global_buffer
    .group_segment_fixed_size: 32776
    .kernarg_segment_align: 8
    .kernarg_segment_size: 112
    .language:       OpenCL C
    .language_version:
      - 2
      - 0
    .max_flat_workgroup_size: 256
    .name:           _ZN9rocsparseL42csr2bsr_wavefront_per_row_multipass_kernelILj256ELj32ELj16E21rocsparse_complex_numIdEllEEv20rocsparse_direction_T4_S4_S4_S4_S4_21rocsparse_index_base_PKT2_PKT3_PKS4_S5_PS6_PS9_PS4_
    .private_segment_fixed_size: 0
    .sgpr_count:     51
    .sgpr_spill_count: 0
    .symbol:         _ZN9rocsparseL42csr2bsr_wavefront_per_row_multipass_kernelILj256ELj32ELj16E21rocsparse_complex_numIdEllEEv20rocsparse_direction_T4_S4_S4_S4_S4_21rocsparse_index_base_PKT2_PKT3_PKS4_S5_PS6_PS9_PS4_.kd
    .uniform_work_group_size: 1
    .uses_dynamic_stack: false
    .vgpr_count:     84
    .vgpr_spill_count: 0
    .wavefront_size: 32
  - .args:
      - .offset:         0
        .size:           4
        .value_kind:     by_value
      - .offset:         8
        .size:           8
        .value_kind:     by_value
      - .offset:         16
        .size:           8
        .value_kind:     by_value
      - .offset:         24
        .size:           8
        .value_kind:     by_value
      - .offset:         32
        .size:           8
        .value_kind:     by_value
      - .offset:         40
        .size:           8
        .value_kind:     by_value
      - .offset:         48
        .size:           4
        .value_kind:     by_value
      - .actual_access:  read_only
        .address_space:  global
        .offset:         56
        .size:           8
        .value_kind:     global_buffer
      - .actual_access:  read_only
        .address_space:  global
        .offset:         64
        .size:           8
        .value_kind:     global_buffer
      - .actual_access:  read_only
        .address_space:  global
        .offset:         72
        .size:           8
        .value_kind:     global_buffer
      - .offset:         80
        .size:           4
        .value_kind:     by_value
      - .actual_access:  write_only
        .address_space:  global
        .offset:         88
        .size:           8
        .value_kind:     global_buffer
      - .actual_access:  read_only
        .address_space:  global
        .offset:         96
        .size:           8
        .value_kind:     global_buffer
      - .actual_access:  write_only
        .address_space:  global
        .offset:         104
        .size:           8
        .value_kind:     global_buffer
    .group_segment_fixed_size: 16392
    .kernarg_segment_align: 8
    .kernarg_segment_size: 112
    .language:       OpenCL C
    .language_version:
      - 2
      - 0
    .max_flat_workgroup_size: 256
    .name:           _ZN9rocsparseL38csr2bsr_block_per_row_multipass_kernelILj256ELj32E21rocsparse_complex_numIdEllEEv20rocsparse_direction_T3_S4_S4_S4_S4_21rocsparse_index_base_PKT1_PKT2_PKS4_S5_PS6_PS9_PS4_
    .private_segment_fixed_size: 0
    .sgpr_count:     55
    .sgpr_spill_count: 0
    .symbol:         _ZN9rocsparseL38csr2bsr_block_per_row_multipass_kernelILj256ELj32E21rocsparse_complex_numIdEllEEv20rocsparse_direction_T3_S4_S4_S4_S4_21rocsparse_index_base_PKT1_PKT2_PKS4_S5_PS6_PS9_PS4_.kd
    .uniform_work_group_size: 1
    .uses_dynamic_stack: false
    .vgpr_count:     64
    .vgpr_spill_count: 0
    .wavefront_size: 32
  - .args:
      - .offset:         0
        .size:           4
        .value_kind:     by_value
      - .offset:         8
        .size:           8
        .value_kind:     by_value
      - .offset:         16
        .size:           8
        .value_kind:     by_value
      - .offset:         24
        .size:           8
        .value_kind:     by_value
      - .offset:         32
        .size:           8
        .value_kind:     by_value
      - .offset:         40
        .size:           8
        .value_kind:     by_value
      - .offset:         48
        .size:           8
        .value_kind:     by_value
      - .offset:         56
        .size:           4
        .value_kind:     by_value
      - .actual_access:  read_only
        .address_space:  global
        .offset:         64
        .size:           8
        .value_kind:     global_buffer
      - .actual_access:  read_only
        .address_space:  global
        .offset:         72
        .size:           8
        .value_kind:     global_buffer
      - .actual_access:  read_only
        .address_space:  global
        .offset:         80
        .size:           8
        .value_kind:     global_buffer
      - .offset:         88
        .size:           4
        .value_kind:     by_value
      - .actual_access:  write_only
        .address_space:  global
        .offset:         96
        .size:           8
        .value_kind:     global_buffer
      - .actual_access:  read_only
        .address_space:  global
        .offset:         104
        .size:           8
        .value_kind:     global_buffer
      - .actual_access:  write_only
        .address_space:  global
        .offset:         112
        .size:           8
        .value_kind:     global_buffer
      - .address_space:  global
        .offset:         120
        .size:           8
        .value_kind:     global_buffer
      - .address_space:  global
        .offset:         128
        .size:           8
        .value_kind:     global_buffer
      - .address_space:  global
        .offset:         136
        .size:           8
        .value_kind:     global_buffer
    .group_segment_fixed_size: 0
    .kernarg_segment_align: 8
    .kernarg_segment_size: 144
    .language:       OpenCL C
    .language_version:
      - 2
      - 0
    .max_flat_workgroup_size: 32
    .name:           _ZN9rocsparseL21csr2bsr_65_inf_kernelILj32E21rocsparse_complex_numIdEllEEv20rocsparse_direction_T2_S4_S4_S4_S4_S4_21rocsparse_index_base_PKT0_PKT1_PKS4_S5_PS6_PS9_PS4_SF_SG_SE_
    .private_segment_fixed_size: 0
    .sgpr_count:     54
    .sgpr_spill_count: 0
    .symbol:         _ZN9rocsparseL21csr2bsr_65_inf_kernelILj32E21rocsparse_complex_numIdEllEEv20rocsparse_direction_T2_S4_S4_S4_S4_S4_21rocsparse_index_base_PKT0_PKT1_PKS4_S5_PS6_PS9_PS4_SF_SG_SE_.kd
    .uniform_work_group_size: 1
    .uses_dynamic_stack: false
    .vgpr_count:     56
    .vgpr_spill_count: 0
    .wavefront_size: 32
amdhsa.target:   amdgcn-amd-amdhsa--gfx1250
amdhsa.version:
  - 1
  - 2
...

	.end_amdgpu_metadata
